;; amdgpu-corpus repo=ggml-org/llama.cpp kind=compiled arch=gfx1100 opt=O3
	.text
	.amdgcn_target "amdgcn-amd-amdhsa--gfx1100"
	.amdhsa_code_object_version 6
	.section	.text._ZL18flash_attn_ext_f16ILi64ELi64ELi8ELi4ELb0ELb0EEvPKcS1_S1_S1_S1_PKiPfP15HIP_vector_typeIfLj2EEffffjfiS5_IjLj3EEiiiiiiiiiiiliiliiiiil,"axG",@progbits,_ZL18flash_attn_ext_f16ILi64ELi64ELi8ELi4ELb0ELb0EEvPKcS1_S1_S1_S1_PKiPfP15HIP_vector_typeIfLj2EEffffjfiS5_IjLj3EEiiiiiiiiiiiliiliiiiil,comdat
	.globl	_ZL18flash_attn_ext_f16ILi64ELi64ELi8ELi4ELb0ELb0EEvPKcS1_S1_S1_S1_PKiPfP15HIP_vector_typeIfLj2EEffffjfiS5_IjLj3EEiiiiiiiiiiiliiliiiiil ; -- Begin function _ZL18flash_attn_ext_f16ILi64ELi64ELi8ELi4ELb0ELb0EEvPKcS1_S1_S1_S1_PKiPfP15HIP_vector_typeIfLj2EEffffjfiS5_IjLj3EEiiiiiiiiiiiliiliiiiil
	.p2align	8
	.type	_ZL18flash_attn_ext_f16ILi64ELi64ELi8ELi4ELb0ELb0EEvPKcS1_S1_S1_S1_PKiPfP15HIP_vector_typeIfLj2EEffffjfiS5_IjLj3EEiiiiiiiiiiiliiliiiiil,@function
_ZL18flash_attn_ext_f16ILi64ELi64ELi8ELi4ELb0ELb0EEvPKcS1_S1_S1_S1_PKiPfP15HIP_vector_typeIfLj2EEffffjfiS5_IjLj3EEiiiiiiiiiiiliiliiiiil: ; @_ZL18flash_attn_ext_f16ILi64ELi64ELi8ELi4ELb0ELb0EEvPKcS1_S1_S1_S1_PKiPfP15HIP_vector_typeIfLj2EEffffjfiS5_IjLj3EEiiiiiiiiiiiliiliiiiil
; %bb.0:
	s_clause 0x2
	s_load_b64 s[2:3], s[0:1], 0x80
	s_load_b128 s[44:47], s[0:1], 0x64
	s_load_b32 s40, s[0:1], 0xd0
                                        ; implicit-def: $vgpr255 : SGPR spill to VGPR lane
	s_waitcnt lgkmcnt(0)
	s_abs_i32 s4, s3
	s_abs_i32 s7, s45
	v_cvt_f32_u32_e32 v1, s4
	s_sub_i32 s6, 0, s4
	v_cvt_f32_u32_e32 v3, s40
	s_delay_alu instid0(VALU_DEP_2) | instskip(SKIP_2) | instid1(VALU_DEP_1)
	v_rcp_iflag_f32_e32 v1, v1
	s_waitcnt_depctr 0xfff
	v_mul_f32_e32 v1, 0x4f7ffffe, v1
	v_cvt_u32_f32_e32 v1, v1
	s_delay_alu instid0(VALU_DEP_1) | instskip(SKIP_1) | instid1(VALU_DEP_2)
	v_readfirstlane_b32 s5, v1
	v_cvt_f32_ubyte0_e32 v1, 0
	s_mul_i32 s6, s6, s5
	s_delay_alu instid0(SALU_CYCLE_1) | instskip(NEXT) | instid1(SALU_CYCLE_1)
	s_mul_hi_u32 s6, s5, s6
	s_add_i32 s5, s5, s6
	s_xor_b32 s6, s45, s3
	s_mul_hi_u32 s5, s7, s5
	s_ashr_i32 s6, s6, 31
	s_mul_i32 s8, s5, s4
	s_delay_alu instid0(SALU_CYCLE_1)
	s_sub_i32 s7, s7, s8
	s_add_i32 s8, s5, 1
	s_sub_i32 s9, s7, s4
	s_cmp_ge_u32 s7, s4
	s_cselect_b32 s5, s8, s5
	s_cselect_b32 s7, s9, s7
	s_add_i32 s8, s5, 1
	s_cmp_ge_u32 s7, s4
	s_cselect_b32 s4, s8, s5
	s_add_i32 s2, s2, 63
	s_xor_b32 s4, s4, s6
	s_add_i32 s5, s44, 7
	s_sub_i32 s14, s4, s6
	s_ashr_i32 s7, s2, 31
	s_add_i32 s4, s14, 3
	s_lshr_b32 s78, s5, 3
	s_lshr_b32 s5, s7, 26
	s_ashr_i32 s6, s4, 31
	s_add_i32 s2, s2, s5
	s_lshr_b32 s5, s6, 30
	s_ashr_i32 s82, s2, 6
	s_add_i32 s4, s4, s5
	s_mul_i32 s5, s78, s82
	s_ashr_i32 s2, s4, 2
	v_writelane_b32 v255, s5, 0
	s_mul_i32 s80, s5, s2
	s_mov_b32 s2, 0
	s_mul_i32 s79, s80, s3
	s_delay_alu instid0(SALU_CYCLE_1) | instskip(NEXT) | instid1(SALU_CYCLE_1)
	s_mul_i32 s4, s79, s46
	s_ashr_i32 s5, s4, 31
	s_mul_hi_u32 s3, s4, s15
	s_mul_i32 s6, s5, s15
	s_delay_alu instid0(SALU_CYCLE_1)
	s_add_i32 s3, s3, s6
	s_mul_i32 s6, s4, s15
	s_cmp_lg_u64 s[2:3], 0
	s_cbranch_scc0 .LBB0_304
; %bb.1:
	v_fmamk_f32 v2, v1, 0x4f800000, v3
	s_sub_u32 s9, 0, s40
	s_subb_u32 s10, 0, 0
	s_delay_alu instid0(VALU_DEP_1) | instskip(SKIP_2) | instid1(VALU_DEP_1)
	v_rcp_f32_e32 v2, v2
	s_waitcnt_depctr 0xfff
	v_mul_f32_e32 v2, 0x5f7ffffc, v2
	v_mul_f32_e32 v4, 0x2f800000, v2
	s_delay_alu instid0(VALU_DEP_1) | instskip(NEXT) | instid1(VALU_DEP_1)
	v_trunc_f32_e32 v4, v4
	v_fmamk_f32 v2, v4, 0xcf800000, v2
	v_cvt_u32_f32_e32 v4, v4
	s_delay_alu instid0(VALU_DEP_2) | instskip(NEXT) | instid1(VALU_DEP_2)
	v_cvt_u32_f32_e32 v2, v2
	v_readfirstlane_b32 s7, v4
	s_delay_alu instid0(VALU_DEP_2) | instskip(NEXT) | instid1(VALU_DEP_2)
	v_readfirstlane_b32 s8, v2
	s_mul_i32 s11, s9, s7
	s_delay_alu instid0(VALU_DEP_1)
	s_mul_hi_u32 s13, s9, s8
	s_mul_i32 s12, s10, s8
	s_add_i32 s11, s13, s11
	s_mul_i32 s17, s9, s8
	s_add_i32 s11, s11, s12
	s_mul_hi_u32 s13, s8, s17
	s_mul_hi_u32 s18, s8, s11
	s_mul_i32 s8, s8, s11
	s_mul_i32 s12, s7, s17
	s_add_u32 s8, s13, s8
	s_mul_hi_u32 s16, s7, s17
	s_addc_u32 s13, 0, s18
	s_mul_hi_u32 s17, s7, s11
	s_add_u32 s8, s8, s12
	s_mul_i32 s11, s7, s11
	s_addc_u32 s8, s13, s16
	s_addc_u32 s12, s17, 0
	s_add_u32 s8, s8, s11
	s_addc_u32 s11, 0, s12
	v_add_co_u32 v2, s8, v2, s8
	s_delay_alu instid0(VALU_DEP_1) | instskip(SKIP_1) | instid1(VALU_DEP_1)
	s_cmp_lg_u32 s8, 0
	s_addc_u32 s7, s7, s11
	v_readfirstlane_b32 s8, v2
	s_mul_i32 s11, s9, s7
	s_delay_alu instid0(VALU_DEP_1)
	s_mul_hi_u32 s12, s9, s8
	s_mul_i32 s10, s10, s8
	s_add_i32 s11, s12, s11
	s_mul_i32 s9, s9, s8
	s_add_i32 s11, s11, s10
	s_mul_hi_u32 s12, s7, s9
	s_mul_i32 s13, s7, s9
	s_mul_hi_u32 s9, s8, s9
	s_mul_hi_u32 s16, s8, s11
	s_mul_i32 s8, s8, s11
	s_mul_hi_u32 s10, s7, s11
	s_add_u32 s8, s9, s8
	s_addc_u32 s9, 0, s16
	s_add_u32 s8, s8, s13
	s_mul_i32 s11, s7, s11
	s_addc_u32 s8, s9, s12
	s_addc_u32 s9, s10, 0
	s_add_u32 s8, s8, s11
	s_addc_u32 s9, 0, s9
	v_add_co_u32 v2, s8, v2, s8
	s_delay_alu instid0(VALU_DEP_1) | instskip(SKIP_2) | instid1(SALU_CYCLE_1)
	s_cmp_lg_u32 s8, 0
	s_addc_u32 s7, s7, s9
	s_ashr_i32 s8, s3, 31
	s_add_u32 s10, s6, s8
	s_addc_u32 s11, s3, s8
	v_readfirstlane_b32 s3, v2
	s_mov_b32 s9, s8
	s_delay_alu instid0(SALU_CYCLE_1) | instskip(NEXT) | instid1(SALU_CYCLE_1)
	s_xor_b64 s[10:11], s[10:11], s[8:9]
	s_mul_i32 s13, s10, s7
	s_delay_alu instid0(VALU_DEP_1)
	s_mul_hi_u32 s18, s10, s3
	s_mul_hi_u32 s12, s10, s7
	;; [unrolled: 1-line block ×3, first 2 shown]
	s_mul_i32 s3, s11, s3
	s_add_u32 s13, s18, s13
	s_addc_u32 s12, 0, s12
	s_mul_hi_u32 s16, s11, s7
	s_add_u32 s3, s13, s3
	s_mul_i32 s7, s11, s7
	s_addc_u32 s3, s12, s17
	s_addc_u32 s12, s16, 0
	s_add_u32 s3, s3, s7
	s_addc_u32 s7, 0, s12
	s_mul_i32 s13, s40, s3
	s_add_u32 s12, s3, 1
	v_sub_co_u32 v2, s10, s10, s13
	s_mul_hi_u32 s13, s40, s3
	s_addc_u32 s20, s7, 0
	s_mul_i32 s16, s40, s7
	s_delay_alu instid0(VALU_DEP_1)
	v_sub_co_u32 v4, s17, v2, s40
	s_add_u32 s18, s3, 2
	s_addc_u32 s19, s7, 0
	s_add_i32 s13, s13, s16
	s_cmp_lg_u32 s10, 0
	v_readfirstlane_b32 s10, v4
	s_subb_u32 s11, s11, s13
	s_cmp_lg_u32 s17, 0
	s_subb_u32 s13, s11, 0
	s_delay_alu instid0(VALU_DEP_1) | instskip(SKIP_4) | instid1(SALU_CYCLE_1)
	s_cmp_ge_u32 s10, s40
	s_cselect_b32 s10, -1, 0
	s_cmp_eq_u32 s13, 0
	v_readfirstlane_b32 s13, v2
	s_cselect_b32 s10, s10, -1
	s_cmp_lg_u32 s10, 0
	s_cselect_b32 s10, s18, s12
	s_cselect_b32 s12, s19, s20
	s_cmp_ge_u32 s13, s40
	s_cselect_b32 s13, -1, 0
	s_cmp_eq_u32 s11, 0
	s_cselect_b32 s11, s13, -1
	s_delay_alu instid0(SALU_CYCLE_1) | instskip(SKIP_2) | instid1(SALU_CYCLE_1)
	s_cmp_lg_u32 s11, 0
	s_cselect_b32 s11, s12, s7
	s_cselect_b32 s10, s10, s3
	s_xor_b64 s[10:11], s[10:11], s[8:9]
	s_delay_alu instid0(SALU_CYCLE_1)
	s_sub_u32 s62, s10, s8
	s_load_b64 s[60:61], s[0:1], 0x74
	v_cvt_f32_u32_e32 v2, s40
	s_and_not1_b32 vcc_lo, exec_lo, s2
	s_cbranch_vccnz .LBB0_3
.LBB0_2:
	s_delay_alu instid0(VALU_DEP_1) | instskip(SKIP_3) | instid1(VALU_DEP_1)
	v_rcp_iflag_f32_e32 v4, v2
	s_sub_i32 s3, 0, s40
	s_waitcnt_depctr 0xfff
	v_mul_f32_e32 v4, 0x4f7ffffe, v4
	v_cvt_u32_f32_e32 v4, v4
	s_delay_alu instid0(VALU_DEP_1) | instskip(NEXT) | instid1(VALU_DEP_1)
	v_readfirstlane_b32 s2, v4
	s_mul_i32 s3, s3, s2
	s_delay_alu instid0(SALU_CYCLE_1) | instskip(NEXT) | instid1(SALU_CYCLE_1)
	s_mul_hi_u32 s3, s2, s3
	s_add_i32 s2, s2, s3
	s_delay_alu instid0(SALU_CYCLE_1) | instskip(NEXT) | instid1(SALU_CYCLE_1)
	s_mul_hi_u32 s2, s6, s2
	s_mul_i32 s3, s2, s40
	s_delay_alu instid0(SALU_CYCLE_1)
	s_sub_i32 s3, s6, s3
	s_add_i32 s6, s2, 1
	s_sub_i32 s7, s3, s40
	s_cmp_ge_u32 s3, s40
	s_cselect_b32 s2, s6, s2
	s_cselect_b32 s3, s7, s3
	s_add_i32 s6, s2, 1
	s_cmp_ge_u32 s3, s40
	s_cselect_b32 s62, s6, s2
.LBB0_3:
	s_add_i32 s6, s15, 1
	s_delay_alu instid0(SALU_CYCLE_1) | instskip(SKIP_4) | instid1(SALU_CYCLE_1)
	s_mul_i32 s2, s5, s6
	s_mul_hi_u32 s3, s4, s6
	s_mul_i32 s4, s4, s6
	s_add_i32 s3, s3, s2
	s_mov_b32 s2, 0
	s_cmp_lg_u64 s[2:3], 0
	s_cbranch_scc0 .LBB0_305
; %bb.4:
	v_fmamk_f32 v1, v1, 0x4f800000, v3
	s_sub_u32 s7, 0, s40
	s_subb_u32 s8, 0, 0
	s_delay_alu instid0(VALU_DEP_1) | instskip(SKIP_2) | instid1(VALU_DEP_1)
	v_rcp_f32_e32 v1, v1
	s_waitcnt_depctr 0xfff
	v_mul_f32_e32 v1, 0x5f7ffffc, v1
	v_mul_f32_e32 v3, 0x2f800000, v1
	s_delay_alu instid0(VALU_DEP_1) | instskip(NEXT) | instid1(VALU_DEP_1)
	v_trunc_f32_e32 v3, v3
	v_fmamk_f32 v1, v3, 0xcf800000, v1
	v_cvt_u32_f32_e32 v3, v3
	s_delay_alu instid0(VALU_DEP_2) | instskip(NEXT) | instid1(VALU_DEP_2)
	v_cvt_u32_f32_e32 v1, v1
	v_readfirstlane_b32 s5, v3
	s_delay_alu instid0(VALU_DEP_2) | instskip(NEXT) | instid1(VALU_DEP_2)
	v_readfirstlane_b32 s6, v1
	s_mul_i32 s9, s7, s5
	s_delay_alu instid0(VALU_DEP_1)
	s_mul_hi_u32 s11, s7, s6
	s_mul_i32 s10, s8, s6
	s_add_i32 s9, s11, s9
	s_mul_i32 s12, s7, s6
	s_add_i32 s9, s9, s10
	s_mul_hi_u32 s11, s6, s12
	s_mul_hi_u32 s13, s5, s12
	s_mul_i32 s10, s5, s12
	s_mul_hi_u32 s12, s6, s9
	s_mul_i32 s6, s6, s9
	s_mul_hi_u32 s16, s5, s9
	s_add_u32 s6, s11, s6
	s_addc_u32 s11, 0, s12
	s_add_u32 s6, s6, s10
	s_mul_i32 s9, s5, s9
	s_addc_u32 s6, s11, s13
	s_addc_u32 s10, s16, 0
	s_add_u32 s6, s6, s9
	s_addc_u32 s9, 0, s10
	v_add_co_u32 v1, s6, v1, s6
	s_delay_alu instid0(VALU_DEP_1) | instskip(SKIP_1) | instid1(VALU_DEP_1)
	s_cmp_lg_u32 s6, 0
	s_addc_u32 s5, s5, s9
	v_readfirstlane_b32 s6, v1
	s_mul_i32 s9, s7, s5
	s_delay_alu instid0(VALU_DEP_1)
	s_mul_hi_u32 s10, s7, s6
	s_mul_i32 s8, s8, s6
	s_add_i32 s9, s10, s9
	s_mul_i32 s7, s7, s6
	s_add_i32 s9, s9, s8
	s_mul_hi_u32 s10, s5, s7
	s_mul_i32 s11, s5, s7
	s_mul_hi_u32 s7, s6, s7
	s_mul_hi_u32 s12, s6, s9
	s_mul_i32 s6, s6, s9
	s_mul_hi_u32 s8, s5, s9
	s_add_u32 s6, s7, s6
	s_addc_u32 s7, 0, s12
	s_add_u32 s6, s6, s11
	s_mul_i32 s9, s5, s9
	s_addc_u32 s6, s7, s10
	s_addc_u32 s7, s8, 0
	s_add_u32 s6, s6, s9
	s_addc_u32 s7, 0, s7
	v_add_co_u32 v1, s6, v1, s6
	s_delay_alu instid0(VALU_DEP_1) | instskip(SKIP_2) | instid1(SALU_CYCLE_1)
	s_cmp_lg_u32 s6, 0
	s_addc_u32 s5, s5, s7
	s_ashr_i32 s6, s3, 31
	s_add_u32 s8, s4, s6
	s_addc_u32 s9, s3, s6
	v_readfirstlane_b32 s3, v1
	s_mov_b32 s7, s6
	s_delay_alu instid0(SALU_CYCLE_1) | instskip(NEXT) | instid1(SALU_CYCLE_1)
	s_xor_b64 s[8:9], s[8:9], s[6:7]
	s_mul_i32 s11, s8, s5
	s_delay_alu instid0(VALU_DEP_1)
	s_mul_hi_u32 s12, s8, s3
	s_mul_hi_u32 s10, s8, s5
	s_mul_hi_u32 s16, s9, s3
	s_mul_i32 s3, s9, s3
	s_add_u32 s11, s12, s11
	s_addc_u32 s10, 0, s10
	s_mul_hi_u32 s13, s9, s5
	s_add_u32 s3, s11, s3
	s_mul_i32 s5, s9, s5
	s_addc_u32 s3, s10, s16
	s_addc_u32 s10, s13, 0
	s_add_u32 s3, s3, s5
	s_addc_u32 s5, 0, s10
	s_mul_i32 s11, s40, s3
	s_add_u32 s10, s3, 1
	v_sub_co_u32 v1, s8, s8, s11
	s_mul_hi_u32 s11, s40, s3
	s_addc_u32 s12, s5, 0
	s_mul_i32 s13, s40, s5
	s_delay_alu instid0(VALU_DEP_1)
	v_sub_co_u32 v3, s18, v1, s40
	s_add_u32 s16, s3, 2
	s_addc_u32 s17, s5, 0
	s_add_i32 s11, s11, s13
	s_cmp_lg_u32 s8, 0
	v_readfirstlane_b32 s8, v3
	s_subb_u32 s9, s9, s11
	s_cmp_lg_u32 s18, 0
	s_subb_u32 s11, s9, 0
	s_delay_alu instid0(VALU_DEP_1) | instskip(SKIP_4) | instid1(SALU_CYCLE_1)
	s_cmp_ge_u32 s8, s40
	s_cselect_b32 s8, -1, 0
	s_cmp_eq_u32 s11, 0
	v_readfirstlane_b32 s11, v1
	s_cselect_b32 s8, s8, -1
	s_cmp_lg_u32 s8, 0
	s_cselect_b32 s8, s16, s10
	s_cselect_b32 s10, s17, s12
	s_cmp_ge_u32 s11, s40
	s_cselect_b32 s11, -1, 0
	s_cmp_eq_u32 s9, 0
	s_cselect_b32 s9, s11, -1
	s_delay_alu instid0(SALU_CYCLE_1) | instskip(SKIP_2) | instid1(SALU_CYCLE_1)
	s_cmp_lg_u32 s9, 0
	s_cselect_b32 s9, s10, s5
	s_cselect_b32 s8, s8, s3
	s_xor_b64 s[8:9], s[8:9], s[6:7]
	s_delay_alu instid0(SALU_CYCLE_1)
	s_sub_u32 s66, s8, s6
	s_load_b64 s[12:13], s[0:1], 0x5c
	s_and_not1_b32 vcc_lo, exec_lo, s2
	s_cbranch_vccnz .LBB0_6
.LBB0_5:
	v_rcp_iflag_f32_e32 v1, v2
	s_sub_i32 s3, 0, s40
	s_waitcnt_depctr 0xfff
	v_mul_f32_e32 v1, 0x4f7ffffe, v1
	s_delay_alu instid0(VALU_DEP_1) | instskip(NEXT) | instid1(VALU_DEP_1)
	v_cvt_u32_f32_e32 v1, v1
	v_readfirstlane_b32 s2, v1
	s_delay_alu instid0(VALU_DEP_1) | instskip(NEXT) | instid1(SALU_CYCLE_1)
	s_mul_i32 s3, s3, s2
	s_mul_hi_u32 s3, s2, s3
	s_delay_alu instid0(SALU_CYCLE_1) | instskip(NEXT) | instid1(SALU_CYCLE_1)
	s_add_i32 s2, s2, s3
	s_mul_hi_u32 s2, s4, s2
	s_delay_alu instid0(SALU_CYCLE_1) | instskip(NEXT) | instid1(SALU_CYCLE_1)
	s_mul_i32 s3, s2, s40
	s_sub_i32 s3, s4, s3
	s_add_i32 s4, s2, 1
	s_sub_i32 s5, s3, s40
	s_cmp_ge_u32 s3, s40
	s_cselect_b32 s2, s4, s2
	s_cselect_b32 s3, s5, s3
	s_add_i32 s4, s2, 1
	s_cmp_ge_u32 s3, s40
	s_cselect_b32 s66, s4, s2
.LBB0_6:
	s_abs_i32 s83, s82
	s_clause 0x3
	s_load_b512 s[16:31], s[0:1], 0x0
	s_load_b32 s2, s[0:1], 0x40
	s_load_b64 s[4:5], s[0:1], 0x8c
	s_load_b64 s[36:37], s[0:1], 0xb8
	v_cvt_f32_u32_e32 v1, s83
	s_clause 0x2
	s_load_b128 s[48:51], s[0:1], 0x98
	s_load_b64 s[54:55], s[0:1], 0xa8
	s_load_b64 s[56:57], s[0:1], 0xc8
	s_sub_i32 s1, 0, s83
	s_abs_i32 s3, s62
	s_ashr_i32 s63, s47, 3
	v_rcp_iflag_f32_e32 v1, v1
	s_waitcnt lgkmcnt(0)
	s_ashr_i32 s33, s60, 3
	s_ashr_i32 s0, s62, 31
	;; [unrolled: 1-line block ×3, first 2 shown]
	v_bfe_u32 v129, v0, 10, 10
	v_and_b32_e32 v64, 0x3ff, v0
	s_mov_b32 s69, 0
	s_delay_alu instid0(VALU_DEP_2)
	v_lshlrev_b32_e32 v130, 3, v129
	s_waitcnt_depctr 0xfff
	v_mul_f32_e32 v1, 0x4f7ffffe, v1
	v_add_nc_u32_e32 v132, 4, v129
	v_cvt_f16_f32_e32 v0, s2
	s_ashr_i32 s46, s4, 2
	s_ashr_i32 s52, s37, 1
	v_cvt_u32_f32_e32 v1, v1
	s_ashr_i32 s34, s50, 2
	v_and_b32_e32 v131, 1, v129
	v_and_b32_e32 v133, 3, v129
	v_lshrrev_b32_e32 v141, 2, v129
	v_readfirstlane_b32 s85, v1
	v_add_nc_u32_e32 v140, 8, v129
	v_add_nc_u32_e32 v139, 12, v129
	;; [unrolled: 1-line block ×4, first 2 shown]
	s_mul_i32 s1, s1, s85
	v_add_nc_u32_e32 v136, 24, v129
	s_mul_hi_u32 s1, s85, s1
	v_pack_b32_f16 v134, v0, v0
	s_add_i32 s85, s85, s1
	v_add_nc_u32_e32 v135, 28, v129
	s_mul_hi_u32 s1, s3, s85
	s_mov_b32 s81, s5
	s_mul_i32 s1, s1, s83
	s_delay_alu instid0(SALU_CYCLE_1) | instskip(NEXT) | instid1(SALU_CYCLE_1)
	s_sub_i32 s1, s3, s1
	s_sub_i32 s3, s1, s83
	s_cmp_ge_u32 s1, s83
	s_cselect_b32 s1, s3, s1
	s_delay_alu instid0(SALU_CYCLE_1) | instskip(SKIP_4) | instid1(SALU_CYCLE_1)
	s_sub_i32 s3, s1, s83
	s_cmp_ge_u32 s1, s83
	s_cselect_b32 s1, s3, s1
	s_sub_i32 s3, s66, s62
	s_xor_b32 s1, s1, s0
	s_sub_i32 s70, s1, s0
	s_delay_alu instid0(SALU_CYCLE_1) | instskip(NEXT) | instid1(SALU_CYCLE_1)
	s_add_i32 s0, s3, s70
	s_min_i32 s10, s82, s0
	s_cmp_gt_i32 s66, s62
	s_cselect_b32 s3, -1, 0
	s_cmp_le_i32 s66, s62
	s_cselect_b32 s1, -1, 0
	s_cmp_gt_i32 s82, s0
	s_cselect_b32 s0, -1, 0
	s_delay_alu instid0(SALU_CYCLE_1) | instskip(NEXT) | instid1(SALU_CYCLE_1)
	s_or_b32 s0, s0, s1
	s_and_b32 vcc_lo, exec_lo, s0
	s_cbranch_vccz .LBB0_9
; %bb.7:
	s_and_not1_b32 vcc_lo, exec_lo, s3
	s_cbranch_vccz .LBB0_268
.LBB0_8:
	s_endpgm
.LBB0_9:
	s_cmp_eq_u64 s[24:25], 0
	v_dual_mov_b32 v199, 0 :: v_dual_and_b32 v2, 0x3f0, v130
	s_cselect_b32 s58, -1, 0
	s_cmp_lg_u64 s[26:27], 0
	v_lshrrev_b32_e32 v0, 3, v64
	s_cselect_b32 s65, -1, 0
	s_lshl_b32 s68, s15, 5
	s_ashr_i32 s53, s52, 31
	s_lshl_b64 s[4:5], s[68:69], 3
	s_ashr_i32 s47, s46, 31
	s_lshl_b32 s0, s46, 4
	s_lshl_b32 s1, s34, 4
	s_ashr_i32 s35, s34, 31
	s_add_u32 s3, s30, s4
	s_addc_u32 s4, s31, s5
	s_abs_i32 s86, s79
	v_lshlrev_b32_e32 v18, 4, v129
	v_cvt_f32_u32_e32 v37, s86
	v_and_or_b32 v10, v64, 12, v2
	v_lshl_add_u32 v4, v129, 2, v0
	v_lshrrev_b32_e32 v142, 4, v64
	v_and_b32_e32 v20, 16, v18
	v_rcp_iflag_f32_e32 v37, v37
	v_lshlrev_b32_e32 v0, 2, v64
	v_lshrrev_b32_e32 v22, 2, v10
	v_lshlrev_b32_e32 v25, 1, v142
	v_mul_u32_u24_e32 v145, 0x90, v20
	v_lshlrev_b32_e32 v20, 1, v20
	v_mul_u32_u24_e32 v21, 0x90, v4
	v_mad_u32_u24 v22, 0x90, v22, 0
	v_and_b32_e32 v17, 15, v64
	v_and_b32_e32 v23, 8, v130
	v_mul_f32_e32 v37, 0x4f7ffffe, v37
	v_and_b32_e32 v19, 28, v0
	v_add3_u32 v149, v22, v25, v20
	v_or_b32_e32 v20, v130, v64
	v_mul_u32_u24_e32 v144, 0x90, v17
	v_mul_u32_u24_e32 v23, 0x120, v23
	v_lshlrev_b32_e32 v24, 2, v19
	v_add_nc_u32_e32 v146, 0, v0
	v_lshlrev_b32_e32 v20, 3, v20
	v_lshlrev_b32_e32 v26, 2, v17
	v_mad_u32_u24 v148, 0x90, v17, 0
	v_add3_u32 v147, 0, v21, v24
	v_lshrrev_b32_e32 v21, 1, v129
	v_mul_u32_u24_e32 v22, 36, v129
	v_add_co_u32 v65, s3, s3, v20
	v_or_b32_e32 v17, v18, v17
	s_delay_alu instid0(VALU_DEP_4)
	v_add_nc_u32_e32 v20, 2, v21
	v_add3_u32 v27, 0, 64, v23
	v_add3_u32 v150, 0, v23, v26
	v_lshl_add_u32 v152, v22, 2, v146
	v_or_b32_e32 v22, v18, v64
	v_add_nc_u32_e32 v18, v18, v64
	v_bfe_u32 v23, v129, 1, 4
	v_mad_u32_u24 v17, v17, 36, v142
	v_lshlrev_b32_e32 v24, 1, v20
	v_and_b32_e32 v25, 15, v20
	v_mul_u32_u24_e32 v153, 0x90, v22
	v_and_or_b32 v22, 0x60, v129, v23
	v_mul_u32_u24_e32 v154, 0x90, v18
	v_lshl_add_u32 v155, v17, 2, 0
	v_and_or_b32 v17, 0xe0, v24, v25
	v_add_nc_u32_e32 v18, 4, v21
	v_add_nc_u32_e32 v24, 6, v21
	v_add3_u32 v151, v27, v26, 0x1200
	v_mul_u32_u24_e32 v156, 0x90, v22
	v_mul_u32_u24_e32 v22, 36, v22
	;; [unrolled: 1-line block ×3, first 2 shown]
	v_lshlrev_b32_e32 v26, 1, v18
	v_and_b32_e32 v27, 15, v18
	v_lshlrev_b32_e32 v28, 1, v24
	v_and_b32_e32 v29, 15, v24
	v_lshl_add_u32 v157, v22, 2, v146
	v_mul_u32_u24_e32 v158, 0x90, v17
	v_and_or_b32 v17, 0xe0, v26, v27
	v_lshl_add_u32 v159, v25, 2, v146
	v_and_or_b32 v22, 0xe0, v28, v29
	v_add_nc_u32_e32 v25, 8, v21
	v_lshrrev_b32_e32 v160, 2, v18
	v_mul_u32_u24_e32 v161, 0x90, v17
	v_mul_u32_u24_e32 v17, 36, v17
	;; [unrolled: 1-line block ×3, first 2 shown]
	v_lshlrev_b32_e32 v26, 1, v25
	v_and_b32_e32 v27, 15, v25
	v_add_nc_u32_e32 v28, 10, v21
	v_lshl_add_u32 v162, v17, 2, v146
	v_mul_u32_u24_e32 v163, 0x90, v22
	v_lshl_add_u32 v164, v18, 2, v146
	v_and_or_b32 v17, 0xe0, v26, v27
	v_lshlrev_b32_e32 v18, 1, v28
	v_and_b32_e32 v22, 15, v28
	v_add_nc_u32_e32 v26, 12, v21
	v_lshrrev_b32_e32 v165, 2, v25
	v_add_nc_u32_e32 v25, 14, v21
	v_mul_u32_u24_e32 v166, 0x90, v17
	v_and_or_b32 v18, 0xe0, v18, v22
	v_lshlrev_b32_e32 v22, 1, v26
	v_and_b32_e32 v27, 15, v26
	v_mul_u32_u24_e32 v17, 36, v17
	v_lshlrev_b32_e32 v29, 1, v25
	v_and_b32_e32 v30, 15, v25
	v_mul_lo_u32 v1, s46, v4
	v_and_or_b32 v22, 0xe0, v22, v27
	v_mul_u32_u24_e32 v31, 36, v18
	v_lshl_add_u32 v167, v17, 2, v146
	v_mul_u32_u24_e32 v168, 0x90, v18
	v_and_or_b32 v17, 0xe0, v29, v30
	v_mul_u32_u24_e32 v18, 36, v22
	v_mad_u32_u24 v143, 0x90, v2, 0
	v_ashrrev_i32_e32 v2, 31, v1
	v_lshrrev_b32_e32 v170, 2, v26
	v_add_nc_u32_e32 v26, 16, v21
	v_mul_u32_u24_e32 v27, 36, v17
	v_mul_u32_u24_e32 v22, 0x90, v22
	v_lshl_add_u32 v18, v18, 2, v146
	v_mul_u32_u24_e32 v17, 0x90, v17
	v_add_nc_u32_e32 v5, s0, v1
	v_lshlrev_b64 v[75:76], 2, v[1:2]
	scratch_store_b32 off, v22, off         ; 4-byte Folded Spill
	v_lshrrev_b32_e32 v1, 2, v25
	scratch_store_b32 off, v18, off offset:4 ; 4-byte Folded Spill
	v_lshl_add_u32 v18, v27, 2, v146
	scratch_store_b32 off, v17, off offset:12 ; 4-byte Folded Spill
	v_lshlrev_b32_e32 v17, 1, v26
	v_lshrrev_b32_e32 v22, 2, v26
	s_clause 0x1
	scratch_store_b32 off, v1, off offset:8
	scratch_store_b32 off, v18, off offset:16
	v_add_nc_u32_e32 v18, 18, v21
	v_and_or_b32 v17, 0xe0, v17, v23
	v_add_nc_u32_e32 v23, 22, v21
	v_lshl_add_u32 v169, v31, 2, v146
	v_add_nc_u32_e32 v33, 24, v21
	v_lshrrev_b32_e32 v1, 2, v18
	v_mul_u32_u24_e32 v42, 0x90, v17
	v_mul_u32_u24_e32 v17, 36, v17
	v_lshlrev_b32_e32 v26, 1, v18
	v_and_b32_e32 v27, 15, v18
	scratch_store_b32 off, v1, off offset:40 ; 4-byte Folded Spill
	v_and_b32_e32 v1, 3, v18
	scratch_store_b32 off, v22, off offset:20 ; 4-byte Folded Spill
	v_lshl_add_u32 v17, v17, 2, v146
	v_add_nc_u32_e32 v22, 20, v21
	v_lshlrev_b32_e32 v31, 1, v23
	scratch_store_b64 off, v[1:2], off offset:24 ; 8-byte Folded Spill
	v_and_b32_e32 v32, 15, v23
	scratch_store_b32 off, v17, off offset:36 ; 4-byte Folded Spill
	v_lshlrev_b32_e32 v29, 1, v22
	v_and_b32_e32 v30, 15, v22
	v_and_or_b32 v26, 0xe0, v26, v27
	v_add_nc_u32_e32 v34, 28, v21
	s_abs_i32 s87, s36
	s_abs_i32 s88, s80
	v_and_or_b32 v27, 0xe0, v29, v30
	v_add_nc_u32_e32 v29, 26, v21
	v_and_or_b32 v30, 0xe0, v31, v32
	v_lshlrev_b32_e32 v31, 1, v33
	v_and_b32_e32 v32, 15, v33
	v_lshlrev_b32_e32 v38, 1, v34
	v_lshlrev_b32_e32 v35, 1, v29
	v_and_b32_e32 v36, 15, v29
	v_and_b32_e32 v39, 15, v34
	v_cvt_f32_u32_e32 v40, s87
	v_and_or_b32 v31, 0xe0, v31, v32
	v_writelane_b32 v255, s40, 1
	v_and_or_b32 v32, 0xe0, v35, v36
	v_and_or_b32 v36, 0xe0, v38, v39
	v_cvt_f32_u32_e32 v39, s88
	v_rcp_iflag_f32_e32 v35, v40
	v_cvt_u32_f32_e32 v37, v37
	v_writelane_b32 v255, s15, 2
	v_add_co_ci_u32_e64 v66, null, s4, 0, s3
	v_rcp_iflag_f32_e32 v39, v39
	s_delay_alu instid0(VALU_DEP_3) | instskip(SKIP_3) | instid1(TRANS32_DEP_2)
	v_readfirstlane_b32 s3, v37
	s_mov_b32 s4, s36
	v_add_nc_u32_e32 v21, 30, v21
	v_writelane_b32 v255, s4, 3
	v_mul_f32_e32 v35, 0x4f7ffffe, v35
	s_mul_i32 s7, s78, s82
	v_lshrrev_b32_e32 v22, 2, v22
	s_abs_i32 s89, s7
	v_writelane_b32 v255, s5, 4
	v_mul_f32_e32 v37, 0x4f7ffffe, v39
	v_cvt_u32_f32_e32 v35, v35
	s_sub_i32 s4, 0, s87
	v_lshlrev_b32_e32 v38, 1, v21
	v_cvt_f32_u32_e32 v40, s89
	v_cvt_u32_f32_e32 v17, v37
	v_and_b32_e32 v41, 15, v21
	v_mul_lo_u32 v39, s4, v35
	scratch_store_b32 off, v42, off offset:32 ; 4-byte Folded Spill
	v_rcp_iflag_f32_e32 v40, v40
	v_readfirstlane_b32 s4, v17
	v_mul_u32_u24_e32 v17, 36, v27
	v_and_or_b32 v38, 0xe0, v38, v41
	v_mul_u32_u24_e32 v41, 36, v26
	v_mul_u32_u24_e32 v26, 0x90, v26
	v_lshrrev_b32_e32 v1, 2, v23
	v_lshl_add_u32 v17, v17, 2, v146
	scratch_store_b32 off, v22, off offset:52 ; 4-byte Folded Spill
	v_mul_u32_u24_e32 v22, 0x90, v27
	scratch_store_b32 off, v26, off offset:44 ; 4-byte Folded Spill
	v_mul_f32_e32 v40, 0x4f7ffffe, v40
	s_clause 0x1
	scratch_store_b32 off, v17, off offset:68
	scratch_store_b32 off, v1, off offset:72
	v_mul_u32_u24_e32 v17, 36, v31
	v_lshl_add_u32 v26, v41, 2, v146
	v_and_b32_e32 v1, 3, v23
	v_mul_lo_u32 v3, s34, v4
	s_sub_i32 s6, 0, s86
	v_lshl_add_u32 v17, v17, 2, v146
	s_clause 0x1
	scratch_store_b32 off, v26, off offset:48
	scratch_store_b64 off, v[1:2], off offset:56
	v_cvt_u32_f32_e32 v26, v40
	v_lshrrev_b32_e32 v1, 2, v29
	scratch_store_b32 off, v17, off offset:100 ; 4-byte Folded Spill
	v_add_nc_u32_e32 v9, s1, v3
	v_ashrrev_i32_e32 v4, 31, v3
	v_readfirstlane_b32 s5, v26
	v_mul_u32_u24_e32 v26, 0x90, v30
	scratch_store_b32 off, v22, off offset:64 ; 4-byte Folded Spill
	v_mul_u32_u24_e32 v22, 36, v30
	v_add_nc_u32_e32 v13, s1, v9
	scratch_store_b32 off, v1, off offset:104 ; 4-byte Folded Spill
	v_and_b32_e32 v1, 3, v29
	v_ashrrev_i32_e32 v10, 31, v9
	v_lshl_add_u32 v22, v22, 2, v146
	scratch_store_b32 off, v26, off offset:76 ; 4-byte Folded Spill
	v_add_nc_u32_e32 v15, s1, v13
	v_mul_u32_u24_e32 v26, 0x90, v31
	v_mul_u32_u24_e32 v17, 0x90, v32
	scratch_store_b32 off, v22, off offset:80 ; 4-byte Folded Spill
	v_lshrrev_b32_e32 v22, 2, v33
	v_lshlrev_b64 v[67:68], 2, v[3:4]
	v_ashrrev_i32_e32 v14, 31, v13
	v_lshlrev_b64 v[69:70], 2, v[9:10]
	v_ashrrev_i32_e32 v16, 31, v15
	s_clause 0x1
	scratch_store_b32 off, v22, off offset:84
	scratch_store_b64 off, v[1:2], off offset:88
	v_mul_u32_u24_e32 v22, 36, v32
	scratch_store_b32 off, v26, off offset:96 ; 4-byte Folded Spill
	v_lshrrev_b32_e32 v1, 2, v21
	s_mul_i32 s6, s6, s3
	v_add_nc_u32_e32 v7, s0, v5
	v_lshl_add_u32 v22, v22, 2, v146
	scratch_store_b32 off, v17, off offset:108 ; 4-byte Folded Spill
	v_mul_u32_u24_e32 v17, 36, v36
	v_lshlrev_b64 v[71:72], 2, v[13:14]
	v_add_co_u32 v227, vcc_lo, s20, v67
	scratch_store_b32 off, v22, off offset:112 ; 4-byte Folded Spill
	v_lshrrev_b32_e32 v22, 2, v34
	s_mul_hi_u32 s6, s3, s6
	v_add_co_ci_u32_e32 v228, vcc_lo, s21, v68, vcc_lo
	v_lshl_add_u32 v17, v17, 2, v146
	s_add_i32 s91, s3, s6
	s_sub_i32 s3, 0, s88
	v_lshlrev_b64 v[73:74], 2, v[15:16]
	scratch_store_b32 off, v1, off offset:136 ; 4-byte Folded Spill
	v_and_b32_e32 v1, 3, v21
	scratch_store_b32 off, v22, off offset:116 ; 4-byte Folded Spill
	v_mul_u32_u24_e32 v22, 0x90, v36
	v_add_co_u32 v229, vcc_lo, s20, v69
	scratch_store_b64 off, v[1:2], off offset:120 ; 8-byte Folded Spill
	v_ashrrev_i32_e32 v6, 31, v5
	v_add_nc_u32_e32 v11, s0, v7
	s_mul_i32 s3, s3, s4
	s_sub_i32 s6, 0, s89
	v_add_co_ci_u32_e32 v230, vcc_lo, s21, v70, vcc_lo
	v_add_co_u32 v231, vcc_lo, s20, v71
	v_ashrrev_i32_e32 v8, 31, v7
	s_mul_hi_u32 s3, s4, s3
	s_mul_i32 s6, s6, s5
	s_clause 0x1
	scratch_store_b32 off, v22, off offset:128
	scratch_store_b32 off, v17, off offset:132
	v_mul_u32_u24_e32 v22, 36, v38
	v_mul_u32_u24_e32 v17, 0x90, v38
	v_add_co_ci_u32_e32 v232, vcc_lo, s21, v72, vcc_lo
	s_add_i32 s93, s4, s3
	s_mul_hi_u32 s3, s5, s6
	v_lshlrev_b64 v[77:78], 2, v[5:6]
	v_add_co_u32 v233, vcc_lo, s20, v73
	v_ashrrev_i32_e32 v12, 31, v11
	s_add_i32 s95, s5, s3
	s_lshl_b64 s[4:5], s[52:53], 1
	v_add_co_ci_u32_e32 v234, vcc_lo, s21, v74, vcc_lo
	v_lshlrev_b64 v[79:80], 2, v[7:8]
	v_add_co_u32 v235, vcc_lo, s18, v75
	scratch_store_b32 off, v17, off offset:140 ; 4-byte Folded Spill
	v_lshl_add_u32 v17, v22, 2, v146
	v_writelane_b32 v255, s4, 5
	v_add_co_ci_u32_e32 v236, vcc_lo, s19, v76, vcc_lo
	v_mul_hi_u32 v37, v35, v39
	v_lshlrev_b64 v[81:82], 2, v[11:12]
	v_add_co_u32 v237, vcc_lo, s18, v77
	v_add_co_ci_u32_e32 v238, vcc_lo, s19, v78, vcc_lo
	scratch_store_b32 off, v17, off offset:144 ; 4-byte Folded Spill
	v_and_b32_e32 v17, 7, v64
	v_writelane_b32 v255, s5, 6
	v_add_co_u32 v239, vcc_lo, s18, v79
	v_add_co_ci_u32_e32 v240, vcc_lo, s19, v80, vcc_lo
	v_mad_u64_u32 v[91:92], null, v133, s33, v[64:65]
	v_add_co_u32 v225, s3, s22, v0
	v_add_co_u32 v241, vcc_lo, s18, v81
	v_cmp_eq_u32_e64 s0, 0, v131
	v_cmp_eq_u32_e64 s1, 1, v131
	v_cmp_gt_u32_e64 s2, 16, v64
	v_add_nc_u32_e32 v183, v35, v37
	v_lshlrev_b32_e32 v196, 4, v17
	v_lshlrev_b32_e32 v197, 2, v19
	;; [unrolled: 1-line block ×3, first 2 shown]
	v_mul_u32_u24_e32 v200, 0x90, v129
	v_xor_b32_e32 v201, 1, v142
	v_add_nc_u32_e32 v202, 0x900, v147
	v_add_nc_u32_e32 v203, 0x1200, v147
	;; [unrolled: 1-line block ×6, first 2 shown]
	v_and_b32_e32 v208, 3, v64
	v_lshrrev_b32_e32 v209, 2, v132
	v_lshrrev_b32_e32 v210, 2, v140
	;; [unrolled: 1-line block ×9, first 2 shown]
	v_and_b32_e32 v83, 3, v20
	v_lshrrev_b32_e32 v218, 2, v24
	v_and_b32_e32 v84, 3, v24
	v_lshrrev_b32_e32 v219, 2, v28
	v_and_b32_e32 v85, 3, v28
	v_and_b32_e32 v86, 3, v25
	v_add_co_ci_u32_e64 v226, null, s23, 0, s3
	v_writelane_b32 v255, s33, 7
	v_add_co_ci_u32_e32 v242, vcc_lo, s19, v82, vcc_lo
	v_mbcnt_lo_u32_b32 v243, -1, 0
	v_bfe_u32 v92, v129, 1, 2
	s_ashr_i32 s90, s79, 31
	s_ashr_i32 s92, s80, 31
	;; [unrolled: 1-line block ×3, first 2 shown]
	s_lshl_b64 s[72:73], s[34:35], 8
	s_lshl_b64 s[74:75], s[46:47], 8
	s_mov_b32 s36, s69
	s_mov_b32 s37, s69
	;; [unrolled: 1-line block ×8, first 2 shown]
	s_branch .LBB0_12
.LBB0_10:                               ;   in Loop: Header=BB0_12 Depth=1
	s_or_b32 exec_lo, exec_lo, s5
	s_waitcnt_vscnt null, 0x0
	s_barrier
.LBB0_11:                               ;   in Loop: Header=BB0_12 Depth=1
	s_add_i32 s3, s62, s82
	s_mov_b32 s70, 0
	s_abs_i32 s4, s3
	s_waitcnt_vscnt null, 0x0
	buffer_gl0_inv
	s_mul_hi_u32 s5, s4, s85
	s_delay_alu instid0(SALU_CYCLE_1) | instskip(NEXT) | instid1(SALU_CYCLE_1)
	s_mul_i32 s5, s5, s83
	s_sub_i32 s4, s4, s5
	s_ashr_i32 s5, s3, 31
	s_sub_i32 s6, s4, s83
	s_cmp_ge_u32 s4, s83
	s_cselect_b32 s4, s6, s4
	s_delay_alu instid0(SALU_CYCLE_1) | instskip(SKIP_2) | instid1(SALU_CYCLE_1)
	s_sub_i32 s6, s4, s83
	s_cmp_ge_u32 s4, s83
	s_cselect_b32 s4, s6, s4
	s_xor_b32 s4, s4, s5
	s_delay_alu instid0(SALU_CYCLE_1) | instskip(NEXT) | instid1(SALU_CYCLE_1)
	s_sub_i32 s4, s5, s4
	s_add_i32 s62, s3, s4
	s_delay_alu instid0(SALU_CYCLE_1) | instskip(NEXT) | instid1(SALU_CYCLE_1)
	s_sub_i32 s4, s66, s62
	s_min_i32 s10, s82, s4
	s_cmp_gt_i32 s66, s62
	s_cselect_b32 s3, -1, 0
	s_cmp_le_i32 s82, s4
	s_cselect_b32 s4, -1, 0
	s_delay_alu instid0(SALU_CYCLE_1) | instskip(NEXT) | instid1(SALU_CYCLE_1)
	s_and_b32 s4, s4, s3
	s_and_b32 vcc_lo, exec_lo, s4
	s_cbranch_vccz .LBB0_267
.LBB0_12:                               ; =>This Loop Header: Depth=1
                                        ;     Child Loop BB0_180 Depth 2
                                        ;     Child Loop BB0_53 Depth 2
	s_abs_i32 s3, s62
	s_ashr_i32 s5, s62, 31
	s_mul_hi_u32 s4, s3, s91
	s_xor_b32 s5, s5, s90
	s_mul_i32 s6, s4, s86
	s_delay_alu instid0(SALU_CYCLE_1)
	s_sub_i32 s3, s3, s6
	s_add_i32 s6, s4, 1
	s_sub_i32 s7, s3, s86
	s_cmp_ge_u32 s3, s86
	s_cselect_b32 s4, s6, s4
	s_cselect_b32 s3, s7, s3
	s_add_i32 s6, s4, 1
	s_cmp_ge_u32 s3, s86
	s_cselect_b32 s3, s6, s4
	s_delay_alu instid0(SALU_CYCLE_1) | instskip(NEXT) | instid1(SALU_CYCLE_1)
	s_xor_b32 s3, s3, s5
	s_sub_i32 s3, s3, s5
	s_delay_alu instid0(SALU_CYCLE_1) | instskip(NEXT) | instid1(SALU_CYCLE_1)
	s_mul_i32 s4, s3, s79
	s_sub_i32 s5, s62, s4
	s_delay_alu instid0(SALU_CYCLE_1) | instskip(SKIP_4) | instid1(SALU_CYCLE_1)
	s_abs_i32 s4, s5
	s_ashr_i32 s7, s5, 31
	s_mul_hi_u32 s6, s4, s93
	s_xor_b32 s7, s7, s92
	s_mul_i32 s8, s6, s88
	s_sub_i32 s4, s4, s8
	s_add_i32 s8, s6, 1
	s_sub_i32 s9, s4, s88
	s_cmp_ge_u32 s4, s88
	s_cselect_b32 s6, s8, s6
	s_cselect_b32 s4, s9, s4
	s_add_i32 s8, s6, 1
	s_cmp_ge_u32 s4, s88
	s_cselect_b32 s4, s8, s6
	s_delay_alu instid0(SALU_CYCLE_1) | instskip(NEXT) | instid1(SALU_CYCLE_1)
	s_xor_b32 s4, s4, s7
	s_sub_i32 s4, s4, s7
	s_delay_alu instid0(SALU_CYCLE_1) | instskip(NEXT) | instid1(SALU_CYCLE_1)
	s_mul_i32 s6, s4, s80
	s_sub_i32 s6, s5, s6
	s_delay_alu instid0(SALU_CYCLE_1) | instskip(SKIP_4) | instid1(SALU_CYCLE_1)
	s_abs_i32 s5, s6
	s_ashr_i32 s8, s6, 31
	s_mul_hi_u32 s7, s5, s95
	s_xor_b32 s8, s8, s94
	s_mul_i32 s9, s7, s89
	s_sub_i32 s5, s5, s9
	s_add_i32 s9, s7, 1
	s_sub_i32 s11, s5, s89
	s_cmp_ge_u32 s5, s89
	s_cselect_b32 s7, s9, s7
	s_cselect_b32 s5, s11, s5
	s_add_i32 s9, s7, 1
	s_cmp_ge_u32 s5, s89
	s_cselect_b32 s5, s9, s7
	s_mul_i32 s7, s78, s82
	s_xor_b32 s5, s5, s8
	s_delay_alu instid0(SALU_CYCLE_1) | instskip(NEXT) | instid1(SALU_CYCLE_1)
	s_sub_i32 s5, s5, s8
	s_mul_i32 s7, s5, s7
	s_delay_alu instid0(SALU_CYCLE_1) | instskip(NEXT) | instid1(SALU_CYCLE_1)
	s_sub_i32 s6, s6, s7
	s_abs_i32 s7, s6
	s_ashr_i32 s6, s6, 31
	s_mul_hi_u32 s8, s7, s85
	s_xor_b32 s6, s6, s84
	s_mul_i32 s9, s8, s83
	s_delay_alu instid0(SALU_CYCLE_1)
	s_sub_i32 s7, s7, s9
	s_add_i32 s9, s8, 1
	s_sub_i32 s11, s7, s83
	s_cmp_ge_u32 s7, s83
	s_cselect_b32 s8, s9, s8
	s_cselect_b32 s7, s11, s7
	s_add_i32 s9, s8, 1
	s_cmp_ge_u32 s7, s83
	s_cselect_b32 s7, s9, s8
	s_and_not1_b32 vcc_lo, exec_lo, s65
	s_xor_b32 s7, s7, s6
	s_delay_alu instid0(SALU_CYCLE_1)
	s_sub_i32 s101, s7, s6
	s_cbranch_vccnz .LBB0_14
; %bb.13:                               ;   in Loop: Header=BB0_12 Depth=1
	s_mul_i32 s6, s3, s78
	s_delay_alu instid0(SALU_CYCLE_1) | instskip(NEXT) | instid1(SALU_CYCLE_1)
	s_add_i32 s6, s101, s6
	s_ashr_i32 s7, s6, 31
	s_delay_alu instid0(SALU_CYCLE_1) | instskip(NEXT) | instid1(SALU_CYCLE_1)
	s_lshl_b64 s[6:7], s[6:7], 2
	s_add_u32 s6, s26, s6
	s_addc_u32 s7, s27, s7
	global_load_b32 v0, v199, s[6:7]
	s_waitcnt vmcnt(0)
	v_readfirstlane_b32 s6, v0
	s_delay_alu instid0(VALU_DEP_1) | instskip(NEXT) | instid1(SALU_CYCLE_1)
	s_ashr_i32 s7, s6, 31
	s_lshr_b32 s7, s7, 26
	s_delay_alu instid0(SALU_CYCLE_1) | instskip(NEXT) | instid1(SALU_CYCLE_1)
	s_add_i32 s6, s6, s7
	s_ashr_i32 s6, s6, 6
	s_delay_alu instid0(SALU_CYCLE_1)
	s_min_i32 s10, s10, s6
.LBB0_14:                               ;   in Loop: Header=BB0_12 Depth=1
	s_mul_i32 s6, s4, s14
	s_lshl_b32 s53, s5, 2
	s_mul_i32 s5, s3, s61
	s_add_i32 s6, s53, s6
	s_ashr_i32 s7, s5, 31
	s_mul_i32 s8, s6, s60
	s_add_u32 s5, s16, s5
	s_addc_u32 s7, s17, s7
	s_ashr_i32 s9, s8, 31
	s_add_u32 s33, s5, s8
	s_addc_u32 s15, s7, s9
	s_mul_i32 s5, s3, s49
	s_mul_hi_u32 s7, s3, s48
	s_ashr_i32 s50, s3, 31
	s_add_i32 s5, s7, s5
	s_mul_i32 s7, s50, s48
	s_mul_i32 s11, s3, s48
	s_add_i32 s102, s5, s7
	s_mul_i32 s103, s4, s81
	s_add_u32 s5, s18, s11
	s_addc_u32 s7, s19, s102
	s_ashr_i32 s104, s103, 31
	s_add_u32 s99, s5, s103
	s_addc_u32 s100, s7, s104
	s_abs_i32 s5, s3
	s_mul_i32 s7, s3, s55
	v_mul_hi_u32 v0, s5, v183
	s_mul_hi_u32 s59, s3, s54
	v_or_b32_e32 v246, s53, v133
	s_delay_alu instid0(VALU_DEP_2) | instskip(NEXT) | instid1(VALU_DEP_1)
	v_mul_lo_u32 v0, v0, s87
	v_sub_nc_u32_e32 v0, s5, v0
	s_mul_i32 s5, s44, s45
	s_delay_alu instid0(SALU_CYCLE_1) | instskip(NEXT) | instid1(VALU_DEP_1)
	s_mul_i32 s5, s5, s3
	v_subrev_nc_u32_e32 v1, s87, v0
	v_cmp_le_u32_e32 vcc_lo, s87, v0
	s_add_i32 s5, s6, s5
	s_delay_alu instid0(SALU_CYCLE_1) | instskip(NEXT) | instid1(VALU_DEP_2)
	s_lshl_b32 s68, s5, 5
	v_cndmask_b32_e32 v0, v0, v1, vcc_lo
	s_lshl_b64 s[8:9], s[68:69], 3
	s_mul_i32 s68, s4, s51
	s_add_u32 s71, s28, s8
	s_addc_u32 s96, s29, s9
	v_subrev_nc_u32_e32 v1, s87, v0
	v_cmp_le_u32_e32 vcc_lo, s87, v0
	s_mul_i32 vcc_hi, s3, s54
	s_mul_i32 s3, s50, s54
	s_add_i32 s5, s59, s7
	v_cndmask_b32_e32 v0, v0, v1, vcc_lo
	s_add_i32 s64, s5, s3
	s_add_u32 s3, s20, vcc_hi
	s_addc_u32 s4, s21, s64
	s_ashr_i32 s67, s68, 31
	v_xor_b32_e32 v0, s50, v0
	s_add_u32 s97, s3, s68
	s_addc_u32 s98, s4, s67
	s_ashr_i32 s7, s6, 31
	s_delay_alu instid0(VALU_DEP_1) | instskip(SKIP_1) | instid1(SALU_CYCLE_1)
	v_subrev_nc_u32_e32 v0, s50, v0
	s_lshl_b64 s[4:5], s[6:7], 2
	s_add_u32 s3, s24, s4
	s_addc_u32 s4, s25, s5
	s_delay_alu instid0(VALU_DEP_1)
	v_ashrrev_i32_e32 v1, 31, v0
	v_mul_lo_u32 v2, v0, s57
	v_mul_hi_u32 v3, v0, s56
	v_mul_lo_u32 v93, v0, s56
	s_and_b32 s5, s58, exec_lo
	v_mul_lo_u32 v1, v1, s56
	s_cselect_b32 s77, 0, s4
	s_cselect_b32 s76, 0, s3
	s_cmp_lg_u32 s70, 0
	s_delay_alu instid0(VALU_DEP_3) | instskip(NEXT) | instid1(VALU_DEP_3)
	v_add_nc_u32_e32 v0, v3, v2
	v_add_co_u32 v245, vcc_lo, s22, v93
	s_delay_alu instid0(VALU_DEP_2) | instskip(NEXT) | instid1(VALU_DEP_1)
	v_add_nc_u32_e32 v94, v0, v1
	v_add_co_ci_u32_e32 v244, vcc_lo, s23, v94, vcc_lo
	v_cmp_gt_i32_e32 vcc_lo, s14, v246
	s_cbranch_scc0 .LBB0_49
; %bb.15:                               ;   in Loop: Header=BB0_12 Depth=1
	s_lshl_b32 s50, s101, 3
	s_xor_b32 s4, vcc_lo, -1
	v_add_nc_u32_e32 v0, s50, v141
	s_delay_alu instid0(VALU_DEP_1) | instskip(NEXT) | instid1(VALU_DEP_1)
	v_cmp_le_i32_e64 s3, s44, v0
	s_or_b32 s3, s3, s4
	s_delay_alu instid0(SALU_CYCLE_1) | instskip(NEXT) | instid1(SALU_CYCLE_1)
	s_and_saveexec_b32 s5, s3
	s_xor_b32 s3, exec_lo, s5
	s_cbranch_execz .LBB0_17
; %bb.16:                               ;   in Loop: Header=BB0_12 Depth=1
	ds_store_b32 v152, v199
                                        ; implicit-def: $vgpr0
.LBB0_17:                               ;   in Loop: Header=BB0_12 Depth=1
	s_and_not1_saveexec_b32 s3, s3
	s_cbranch_execz .LBB0_19
; %bb.18:                               ;   in Loop: Header=BB0_12 Depth=1
	v_mad_u64_u32 v[1:2], null, v0, s63, v[91:92]
	s_delay_alu instid0(VALU_DEP_1) | instskip(NEXT) | instid1(VALU_DEP_1)
	v_ashrrev_i32_e32 v2, 31, v1
	v_lshlrev_b64 v[0:1], 3, v[1:2]
	s_delay_alu instid0(VALU_DEP_1) | instskip(NEXT) | instid1(VALU_DEP_2)
	v_add_co_u32 v0, vcc_lo, s33, v0
	v_add_co_ci_u32_e32 v1, vcc_lo, s15, v1, vcc_lo
	global_load_b64 v[0:1], v[0:1], off
	s_waitcnt vmcnt(0)
	v_cvt_f16_f32_e32 v0, v0
	v_cvt_f16_f32_e32 v1, v1
	s_delay_alu instid0(VALU_DEP_1) | instskip(NEXT) | instid1(VALU_DEP_1)
	v_pack_b32_f16 v0, v0, v1
	v_pk_mul_f16 v0, v134, v0
	ds_store_b32 v152, v0
.LBB0_19:                               ;   in Loop: Header=BB0_12 Depth=1
	s_or_b32 exec_lo, exec_lo, s3
	v_add_nc_u32_e32 v0, s50, v209
	s_delay_alu instid0(VALU_DEP_1) | instskip(SKIP_1) | instid1(SALU_CYCLE_1)
	v_cmp_le_i32_e32 vcc_lo, s44, v0
	s_or_b32 s3, vcc_lo, s4
	s_and_saveexec_b32 s5, s3
	s_delay_alu instid0(SALU_CYCLE_1)
	s_xor_b32 s3, exec_lo, s5
	s_cbranch_execz .LBB0_21
; %bb.20:                               ;   in Loop: Header=BB0_12 Depth=1
	ds_store_b32 v152, v199 offset:576
                                        ; implicit-def: $vgpr0
.LBB0_21:                               ;   in Loop: Header=BB0_12 Depth=1
	s_and_not1_saveexec_b32 s3, s3
	s_cbranch_execz .LBB0_23
; %bb.22:                               ;   in Loop: Header=BB0_12 Depth=1
	v_mad_u64_u32 v[1:2], null, v0, s63, v[91:92]
	s_delay_alu instid0(VALU_DEP_1) | instskip(NEXT) | instid1(VALU_DEP_1)
	v_ashrrev_i32_e32 v2, 31, v1
	v_lshlrev_b64 v[0:1], 3, v[1:2]
	s_delay_alu instid0(VALU_DEP_1) | instskip(NEXT) | instid1(VALU_DEP_2)
	v_add_co_u32 v0, vcc_lo, s33, v0
	v_add_co_ci_u32_e32 v1, vcc_lo, s15, v1, vcc_lo
	global_load_b64 v[0:1], v[0:1], off
	s_waitcnt vmcnt(0)
	v_cvt_f16_f32_e32 v0, v0
	v_cvt_f16_f32_e32 v1, v1
	s_delay_alu instid0(VALU_DEP_1) | instskip(NEXT) | instid1(VALU_DEP_1)
	v_pack_b32_f16 v0, v0, v1
	v_pk_mul_f16 v0, v134, v0
	ds_store_b32 v152, v0 offset:576
.LBB0_23:                               ;   in Loop: Header=BB0_12 Depth=1
	s_or_b32 exec_lo, exec_lo, s3
	v_add_nc_u32_e32 v0, s50, v210
	s_delay_alu instid0(VALU_DEP_1) | instskip(SKIP_1) | instid1(SALU_CYCLE_1)
	v_cmp_le_i32_e32 vcc_lo, s44, v0
	s_or_b32 s3, vcc_lo, s4
	s_and_saveexec_b32 s5, s3
	s_delay_alu instid0(SALU_CYCLE_1)
	s_xor_b32 s3, exec_lo, s5
	s_cbranch_execz .LBB0_25
; %bb.24:                               ;   in Loop: Header=BB0_12 Depth=1
	ds_store_b32 v152, v199 offset:1152
                                        ; implicit-def: $vgpr0
.LBB0_25:                               ;   in Loop: Header=BB0_12 Depth=1
	s_and_not1_saveexec_b32 s3, s3
	s_cbranch_execz .LBB0_27
; %bb.26:                               ;   in Loop: Header=BB0_12 Depth=1
	v_mad_u64_u32 v[1:2], null, v0, s63, v[91:92]
	s_delay_alu instid0(VALU_DEP_1) | instskip(NEXT) | instid1(VALU_DEP_1)
	v_ashrrev_i32_e32 v2, 31, v1
	v_lshlrev_b64 v[0:1], 3, v[1:2]
	s_delay_alu instid0(VALU_DEP_1) | instskip(NEXT) | instid1(VALU_DEP_2)
	v_add_co_u32 v0, vcc_lo, s33, v0
	v_add_co_ci_u32_e32 v1, vcc_lo, s15, v1, vcc_lo
	global_load_b64 v[0:1], v[0:1], off
	s_waitcnt vmcnt(0)
	v_cvt_f16_f32_e32 v0, v0
	v_cvt_f16_f32_e32 v1, v1
	s_delay_alu instid0(VALU_DEP_1) | instskip(NEXT) | instid1(VALU_DEP_1)
	v_pack_b32_f16 v0, v0, v1
	v_pk_mul_f16 v0, v134, v0
	ds_store_b32 v152, v0 offset:1152
.LBB0_27:                               ;   in Loop: Header=BB0_12 Depth=1
	s_or_b32 exec_lo, exec_lo, s3
	v_add_nc_u32_e32 v0, s50, v211
	s_delay_alu instid0(VALU_DEP_1) | instskip(SKIP_1) | instid1(SALU_CYCLE_1)
	v_cmp_le_i32_e32 vcc_lo, s44, v0
	s_or_b32 s3, vcc_lo, s4
	s_and_saveexec_b32 s5, s3
	s_delay_alu instid0(SALU_CYCLE_1)
	s_xor_b32 s3, exec_lo, s5
	s_cbranch_execz .LBB0_29
; %bb.28:                               ;   in Loop: Header=BB0_12 Depth=1
	ds_store_b32 v152, v199 offset:1728
                                        ; implicit-def: $vgpr0
.LBB0_29:                               ;   in Loop: Header=BB0_12 Depth=1
	s_and_not1_saveexec_b32 s3, s3
	s_cbranch_execz .LBB0_31
; %bb.30:                               ;   in Loop: Header=BB0_12 Depth=1
	v_mad_u64_u32 v[1:2], null, v0, s63, v[91:92]
	s_delay_alu instid0(VALU_DEP_1) | instskip(NEXT) | instid1(VALU_DEP_1)
	v_ashrrev_i32_e32 v2, 31, v1
	v_lshlrev_b64 v[0:1], 3, v[1:2]
	s_delay_alu instid0(VALU_DEP_1) | instskip(NEXT) | instid1(VALU_DEP_2)
	v_add_co_u32 v0, vcc_lo, s33, v0
	v_add_co_ci_u32_e32 v1, vcc_lo, s15, v1, vcc_lo
	global_load_b64 v[0:1], v[0:1], off
	s_waitcnt vmcnt(0)
	v_cvt_f16_f32_e32 v0, v0
	v_cvt_f16_f32_e32 v1, v1
	s_delay_alu instid0(VALU_DEP_1) | instskip(NEXT) | instid1(VALU_DEP_1)
	v_pack_b32_f16 v0, v0, v1
	v_pk_mul_f16 v0, v134, v0
	ds_store_b32 v152, v0 offset:1728
.LBB0_31:                               ;   in Loop: Header=BB0_12 Depth=1
	s_or_b32 exec_lo, exec_lo, s3
	v_add_nc_u32_e32 v0, s50, v212
	s_delay_alu instid0(VALU_DEP_1) | instskip(SKIP_1) | instid1(SALU_CYCLE_1)
	v_cmp_le_i32_e32 vcc_lo, s44, v0
	s_or_b32 s3, vcc_lo, s4
	s_and_saveexec_b32 s5, s3
	s_delay_alu instid0(SALU_CYCLE_1)
	s_xor_b32 s3, exec_lo, s5
	s_cbranch_execz .LBB0_33
; %bb.32:                               ;   in Loop: Header=BB0_12 Depth=1
	ds_store_b32 v152, v199 offset:2304
                                        ; implicit-def: $vgpr0
.LBB0_33:                               ;   in Loop: Header=BB0_12 Depth=1
	s_and_not1_saveexec_b32 s3, s3
	s_cbranch_execz .LBB0_35
; %bb.34:                               ;   in Loop: Header=BB0_12 Depth=1
	v_mad_u64_u32 v[1:2], null, v0, s63, v[91:92]
	s_delay_alu instid0(VALU_DEP_1) | instskip(NEXT) | instid1(VALU_DEP_1)
	v_ashrrev_i32_e32 v2, 31, v1
	v_lshlrev_b64 v[0:1], 3, v[1:2]
	s_delay_alu instid0(VALU_DEP_1) | instskip(NEXT) | instid1(VALU_DEP_2)
	v_add_co_u32 v0, vcc_lo, s33, v0
	v_add_co_ci_u32_e32 v1, vcc_lo, s15, v1, vcc_lo
	global_load_b64 v[0:1], v[0:1], off
	s_waitcnt vmcnt(0)
	v_cvt_f16_f32_e32 v0, v0
	v_cvt_f16_f32_e32 v1, v1
	s_delay_alu instid0(VALU_DEP_1) | instskip(NEXT) | instid1(VALU_DEP_1)
	v_pack_b32_f16 v0, v0, v1
	v_pk_mul_f16 v0, v134, v0
	ds_store_b32 v152, v0 offset:2304
.LBB0_35:                               ;   in Loop: Header=BB0_12 Depth=1
	s_or_b32 exec_lo, exec_lo, s3
	v_add_nc_u32_e32 v0, s50, v213
	s_delay_alu instid0(VALU_DEP_1) | instskip(SKIP_1) | instid1(SALU_CYCLE_1)
	v_cmp_le_i32_e32 vcc_lo, s44, v0
	s_or_b32 s3, vcc_lo, s4
	s_and_saveexec_b32 s5, s3
	s_delay_alu instid0(SALU_CYCLE_1)
	s_xor_b32 s3, exec_lo, s5
	s_cbranch_execz .LBB0_37
; %bb.36:                               ;   in Loop: Header=BB0_12 Depth=1
	ds_store_b32 v152, v199 offset:2880
                                        ; implicit-def: $vgpr0
.LBB0_37:                               ;   in Loop: Header=BB0_12 Depth=1
	s_and_not1_saveexec_b32 s3, s3
	s_cbranch_execz .LBB0_39
; %bb.38:                               ;   in Loop: Header=BB0_12 Depth=1
	v_mad_u64_u32 v[1:2], null, v0, s63, v[91:92]
	s_delay_alu instid0(VALU_DEP_1) | instskip(NEXT) | instid1(VALU_DEP_1)
	v_ashrrev_i32_e32 v2, 31, v1
	v_lshlrev_b64 v[0:1], 3, v[1:2]
	s_delay_alu instid0(VALU_DEP_1) | instskip(NEXT) | instid1(VALU_DEP_2)
	v_add_co_u32 v0, vcc_lo, s33, v0
	v_add_co_ci_u32_e32 v1, vcc_lo, s15, v1, vcc_lo
	global_load_b64 v[0:1], v[0:1], off
	s_waitcnt vmcnt(0)
	v_cvt_f16_f32_e32 v0, v0
	v_cvt_f16_f32_e32 v1, v1
	s_delay_alu instid0(VALU_DEP_1) | instskip(NEXT) | instid1(VALU_DEP_1)
	v_pack_b32_f16 v0, v0, v1
	v_pk_mul_f16 v0, v134, v0
	ds_store_b32 v152, v0 offset:2880
.LBB0_39:                               ;   in Loop: Header=BB0_12 Depth=1
	s_or_b32 exec_lo, exec_lo, s3
	v_add_nc_u32_e32 v0, s50, v214
	s_delay_alu instid0(VALU_DEP_1) | instskip(SKIP_1) | instid1(SALU_CYCLE_1)
	v_cmp_le_i32_e32 vcc_lo, s44, v0
	s_or_b32 s3, vcc_lo, s4
	s_and_saveexec_b32 s5, s3
	s_delay_alu instid0(SALU_CYCLE_1)
	s_xor_b32 s3, exec_lo, s5
	s_cbranch_execz .LBB0_41
; %bb.40:                               ;   in Loop: Header=BB0_12 Depth=1
	ds_store_b32 v152, v199 offset:3456
                                        ; implicit-def: $vgpr0
.LBB0_41:                               ;   in Loop: Header=BB0_12 Depth=1
	s_and_not1_saveexec_b32 s3, s3
	s_cbranch_execz .LBB0_43
; %bb.42:                               ;   in Loop: Header=BB0_12 Depth=1
	v_mad_u64_u32 v[1:2], null, v0, s63, v[91:92]
	s_delay_alu instid0(VALU_DEP_1) | instskip(NEXT) | instid1(VALU_DEP_1)
	v_ashrrev_i32_e32 v2, 31, v1
	v_lshlrev_b64 v[0:1], 3, v[1:2]
	s_delay_alu instid0(VALU_DEP_1) | instskip(NEXT) | instid1(VALU_DEP_2)
	v_add_co_u32 v0, vcc_lo, s33, v0
	v_add_co_ci_u32_e32 v1, vcc_lo, s15, v1, vcc_lo
	global_load_b64 v[0:1], v[0:1], off
	s_waitcnt vmcnt(0)
	v_cvt_f16_f32_e32 v0, v0
	v_cvt_f16_f32_e32 v1, v1
	s_delay_alu instid0(VALU_DEP_1) | instskip(NEXT) | instid1(VALU_DEP_1)
	v_pack_b32_f16 v0, v0, v1
	v_pk_mul_f16 v0, v134, v0
	ds_store_b32 v152, v0 offset:3456
.LBB0_43:                               ;   in Loop: Header=BB0_12 Depth=1
	s_or_b32 exec_lo, exec_lo, s3
	v_add_nc_u32_e32 v0, s50, v215
	s_delay_alu instid0(VALU_DEP_1) | instskip(SKIP_1) | instid1(SALU_CYCLE_1)
	v_cmp_le_i32_e32 vcc_lo, s44, v0
	s_or_b32 s3, vcc_lo, s4
	s_and_saveexec_b32 s4, s3
	s_delay_alu instid0(SALU_CYCLE_1)
	s_xor_b32 s3, exec_lo, s4
	s_cbranch_execz .LBB0_45
; %bb.44:                               ;   in Loop: Header=BB0_12 Depth=1
	ds_store_b32 v152, v199 offset:4032
                                        ; implicit-def: $vgpr0
.LBB0_45:                               ;   in Loop: Header=BB0_12 Depth=1
	s_and_not1_saveexec_b32 s3, s3
	s_cbranch_execz .LBB0_47
; %bb.46:                               ;   in Loop: Header=BB0_12 Depth=1
	v_mad_u64_u32 v[1:2], null, v0, s63, v[91:92]
	s_delay_alu instid0(VALU_DEP_1) | instskip(NEXT) | instid1(VALU_DEP_1)
	v_ashrrev_i32_e32 v2, 31, v1
	v_lshlrev_b64 v[0:1], 3, v[1:2]
	s_delay_alu instid0(VALU_DEP_1) | instskip(NEXT) | instid1(VALU_DEP_2)
	v_add_co_u32 v0, vcc_lo, s33, v0
	v_add_co_ci_u32_e32 v1, vcc_lo, s15, v1, vcc_lo
	global_load_b64 v[0:1], v[0:1], off
	s_waitcnt vmcnt(0)
	v_cvt_f16_f32_e32 v0, v0
	v_cvt_f16_f32_e32 v1, v1
	s_delay_alu instid0(VALU_DEP_1) | instskip(NEXT) | instid1(VALU_DEP_1)
	v_pack_b32_f16 v0, v0, v1
	v_pk_mul_f16 v0, v134, v0
	ds_store_b32 v152, v0 offset:4032
.LBB0_47:                               ;   in Loop: Header=BB0_12 Depth=1
	s_or_b32 exec_lo, exec_lo, s3
	v_add_nc_u32_e32 v0, v143, v144
	s_waitcnt lgkmcnt(0)
	s_waitcnt_vscnt null, 0x0
	s_barrier
	buffer_gl0_inv
	v_add_nc_u32_e32 v49, s50, v129
	ds_load_b128 v[24:27], v0
	ds_load_b128 v[28:31], v0 offset:16
	ds_load_b128 v[16:19], v0 offset:32
	;; [unrolled: 1-line block ×7, first 2 shown]
	v_add_nc_u32_e32 v48, s50, v132
	s_add_i32 s59, s10, -1
	s_waitcnt lgkmcnt(0)
	v_mul_hi_u32 v51, s12, v49
	s_cmp_gt_i32 s59, s70
	v_mul_hi_u32 v50, s12, v48
	s_barrier
	buffer_gl0_inv
	s_cbranch_scc1 .LBB0_50
; %bb.48:                               ;   in Loop: Header=BB0_12 Depth=1
	v_add_nc_u32_e32 v0, v49, v51
	v_dual_mov_b32 v250, 32 :: v_dual_add_nc_u32 v1, v48, v50
	v_xor_b32_e32 v249, 16, v243
	s_mov_b32 s3, 0
	s_delay_alu instid0(VALU_DEP_3) | instskip(NEXT) | instid1(VALU_DEP_3)
	v_lshrrev_b32_e32 v0, s13, v0
	v_lshrrev_b32_e32 v1, s13, v1
	s_mov_b32 s4, 0xfeffffff
	s_delay_alu instid0(VALU_DEP_2) | instskip(NEXT) | instid1(VALU_DEP_2)
	v_mul_lo_u32 v0, v0, s44
	v_mul_lo_u32 v1, v1, s44
	s_delay_alu instid0(VALU_DEP_2) | instskip(NEXT) | instid1(VALU_DEP_2)
	v_sub_nc_u32_e32 v0, v49, v0
	v_sub_nc_u32_e32 v1, v48, v1
	s_delay_alu instid0(VALU_DEP_2) | instskip(NEXT) | instid1(VALU_DEP_2)
	v_mad_i64_i32 v[97:98], null, v0, s52, 0
	v_mad_i64_i32 v[95:96], null, v1, s52, 0
	s_branch .LBB0_51
.LBB0_49:                               ;   in Loop: Header=BB0_12 Depth=1
	s_cbranch_execz .LBB0_11
	s_branch .LBB0_143
.LBB0_50:                               ;   in Loop: Header=BB0_12 Depth=1
	s_mov_b32 s3, -1
                                        ; implicit-def: $sgpr4
                                        ; implicit-def: $vgpr97_vgpr98
                                        ; implicit-def: $vgpr95_vgpr96
                                        ; implicit-def: $vgpr249
                                        ; implicit-def: $vgpr250
.LBB0_51:                               ;   in Loop: Header=BB0_12 Depth=1
	s_delay_alu instid0(SALU_CYCLE_1) | instskip(SKIP_2) | instid1(VALU_DEP_3)
	v_cndmask_b32_e64 v0, 0, 1, s3
	v_dual_mov_b32 v15, s3 :: v_dual_mov_b32 v248, s4
	v_dual_mov_b32 v247, s3 :: v_dual_mov_b32 v14, s3
	v_cmp_ne_u32_e32 vcc_lo, 1, v0
	v_dual_mov_b32 v13, s3 :: v_dual_mov_b32 v12, s3
	v_dual_mov_b32 v11, s3 :: v_dual_mov_b32 v10, s3
	;; [unrolled: 1-line block ×7, first 2 shown]
	s_cbranch_vccnz .LBB0_54
; %bb.52:                               ;   in Loop: Header=BB0_12 Depth=1
	v_dual_mov_b32 v247, 0 :: v_dual_add_nc_u32 v0, v49, v51
	v_dual_mov_b32 v250, 32 :: v_dual_add_nc_u32 v1, v48, v50
	v_xor_b32_e32 v249, 16, v243
	s_delay_alu instid0(VALU_DEP_3) | instskip(SKIP_1) | instid1(VALU_DEP_3)
	v_lshrrev_b32_e32 v0, s13, v0
	s_lshl_b32 s8, s70, 6
	v_lshrrev_b32_e32 v1, s13, v1
	s_delay_alu instid0(VALU_DEP_3) | instskip(NEXT) | instid1(VALU_DEP_3)
	v_cmp_gt_i32_e32 vcc_lo, 32, v249
	v_mul_lo_u32 v3, v0, s44
	v_mov_b32_e32 v0, 0
	s_delay_alu instid0(VALU_DEP_4) | instskip(SKIP_2) | instid1(VALU_DEP_4)
	v_mul_lo_u32 v1, v1, s44
	v_lshlrev_b32_e32 v2, 1, v198
	v_cndmask_b32_e32 v4, v243, v249, vcc_lo
	v_dual_mov_b32 v248, 0xfeffffff :: v_dual_mov_b32 v7, v0
	v_mov_b32_e32 v6, v0
	v_sub_nc_u32_e32 v3, v49, v3
	v_mov_b32_e32 v8, v0
	v_sub_nc_u32_e32 v1, v48, v1
	v_mov_b32_e32 v9, v0
	v_mov_b32_e32 v10, v0
	v_mad_i64_i32 v[97:98], null, v3, s52, 0
	s_delay_alu instid0(VALU_DEP_4)
	v_mad_i64_i32 v[95:96], null, v1, s52, 0
	v_mov_b32_e32 v1, v0
	v_add_co_u32 v184, vcc_lo, v245, v2
	v_add_co_ci_u32_e32 v185, vcc_lo, 0, v244, vcc_lo
	v_mov_b32_e32 v2, v0
	v_dual_mov_b32 v3, v0 :: v_dual_lshlrev_b32 v186, 2, v4
	v_mov_b32_e32 v5, v0
	v_mov_b32_e32 v4, v0
	;; [unrolled: 1-line block ×7, first 2 shown]
.LBB0_53:                               ;   Parent Loop BB0_12 Depth=1
                                        ; =>  This Inner Loop Header: Depth=2
	s_ashr_i32 s9, s8, 31
	v_lshlrev_b64 v[48:49], 1, v[97:98]
	s_lshl_b64 s[4:5], s[8:9], 1
	v_lshlrev_b64 v[50:51], 1, v[95:96]
	v_add_co_u32 v52, vcc_lo, v184, s4
	v_add_co_ci_u32_e32 v53, vcc_lo, s5, v185, vcc_lo
	s_mul_hi_i32 s5, s8, s46
	s_delay_alu instid0(VALU_DEP_2) | instskip(NEXT) | instid1(VALU_DEP_2)
	v_add_co_u32 v48, vcc_lo, v52, v48
	v_add_co_ci_u32_e32 v49, vcc_lo, v53, v49, vcc_lo
	v_add_co_u32 v50, vcc_lo, v52, v50
	v_add_co_ci_u32_e32 v51, vcc_lo, v53, v51, vcc_lo
	s_mul_i32 s4, s8, s46
	s_clause 0x1
	global_load_b32 v48, v[48:49], off
	global_load_b32 v49, v[50:51], off
	v_add_nc_u32_e32 v50, v146, v200
	v_dual_mov_b32 v106, s43 :: v_dual_add_nc_u32 v87, v148, v145
	v_mov_b32_e32 v105, s42
	s_lshl_b64 s[4:5], s[4:5], 2
	s_delay_alu instid0(VALU_DEP_3)
	v_dual_mov_b32 v103, s40 :: v_dual_add_nc_u32 v50, 0x2400, v50
	s_add_u32 s3, s99, s4
	s_addc_u32 s4, s100, s5
	v_dual_mov_b32 v104, s41 :: v_dual_mov_b32 v101, s38
	v_dual_mov_b32 v102, s39 :: v_dual_mov_b32 v99, s36
	v_mov_b32_e32 v100, s37
	s_mul_hi_i32 s5, s8, s34
	s_waitcnt vmcnt(0)
	ds_store_2addr_b32 v50, v48, v49 offset1:144
	v_add_co_u32 v48, vcc_lo, s3, v75
	v_add_co_ci_u32_e32 v49, vcc_lo, s4, v76, vcc_lo
	s_delay_alu instid0(VALU_DEP_2) | instskip(NEXT) | instid1(VALU_DEP_2)
	v_add_co_u32 v48, vcc_lo, v48, v197
	v_add_co_ci_u32_e32 v49, vcc_lo, 0, v49, vcc_lo
	v_add_co_u32 v50, vcc_lo, s3, v77
	v_add_co_ci_u32_e32 v51, vcc_lo, s4, v78, vcc_lo
	s_delay_alu instid0(VALU_DEP_2) | instskip(NEXT) | instid1(VALU_DEP_2)
	v_add_co_u32 v52, vcc_lo, v50, v197
	v_add_co_ci_u32_e32 v53, vcc_lo, 0, v51, vcc_lo
	s_clause 0x1
	global_load_b128 v[48:51], v[48:49], off
	global_load_b128 v[52:55], v[52:53], off
	s_waitcnt vmcnt(1)
	ds_store_b128 v147, v[48:51]
	s_waitcnt vmcnt(0)
	ds_store_b128 v202, v[52:55]
	v_add_co_u32 v48, vcc_lo, s3, v79
	v_add_co_ci_u32_e32 v49, vcc_lo, s4, v80, vcc_lo
	s_delay_alu instid0(VALU_DEP_2) | instskip(NEXT) | instid1(VALU_DEP_2)
	v_add_co_u32 v48, vcc_lo, v48, v197
	v_add_co_ci_u32_e32 v49, vcc_lo, 0, v49, vcc_lo
	v_add_co_u32 v50, vcc_lo, s3, v81
	v_add_co_ci_u32_e32 v51, vcc_lo, s4, v82, vcc_lo
	s_mul_i32 s4, s8, s34
	s_delay_alu instid0(VALU_DEP_2) | instskip(NEXT) | instid1(VALU_DEP_2)
	v_add_co_u32 v52, vcc_lo, v50, v197
	v_add_co_ci_u32_e32 v53, vcc_lo, 0, v51, vcc_lo
	s_clause 0x1
	global_load_b128 v[48:51], v[48:49], off
	global_load_b128 v[52:55], v[52:53], off
	s_lshl_b64 s[4:5], s[4:5], 2
	s_waitcnt vmcnt(1)
	ds_store_b128 v203, v[48:51]
	s_waitcnt vmcnt(0)
	ds_store_b128 v204, v[52:55]
	s_waitcnt lgkmcnt(0)
	s_barrier
	buffer_gl0_inv
	ds_load_b128 v[48:51], v87
	ds_load_b128 v[52:55], v87 offset:16
	ds_load_b128 v[56:59], v87 offset:4608
	;; [unrolled: 1-line block ×3, first 2 shown]
	s_add_u32 s3, s97, s4
	s_addc_u32 s4, s98, s5
	v_cmp_eq_u32_e64 s5, 0, v142
	s_add_i32 s70, s70, 1
	s_add_i32 s8, s8, 64
	s_cmp_lt_i32 s70, s59
	s_waitcnt lgkmcnt(2)
	v_wmma_f32_16x16x16_f16 v[107:114], v[48:55], v[24:31], v[99:106]
	ds_load_b128 v[48:51], v87 offset:32
	ds_load_b128 v[52:55], v87 offset:48
	s_waitcnt lgkmcnt(2)
	v_wmma_f32_16x16x16_f16 v[115:122], v[56:63], v[24:31], v[99:106]
	s_waitcnt lgkmcnt(0)
	v_wmma_f32_16x16x16_f16 v[107:114], v[48:55], v[16:23], v[107:114]
	ds_load_b128 v[48:51], v87 offset:4640
	ds_load_b128 v[52:55], v87 offset:4656
	s_waitcnt lgkmcnt(0)
	v_wmma_f32_16x16x16_f16 v[115:122], v[48:55], v[16:23], v[115:122]
	ds_load_b128 v[48:51], v87 offset:64
	ds_load_b128 v[52:55], v87 offset:80
	;; [unrolled: 4-line block ×5, first 2 shown]
	s_waitcnt lgkmcnt(0)
	s_barrier
	buffer_gl0_inv
	v_wmma_f32_16x16x16_f16 v[115:122], v[48:55], v[40:47], v[115:122]
	ds_load_u16 v48, v149 offset:9216
	ds_load_u16 v49, v149 offset:9220
	;; [unrolled: 1-line block ×16, first 2 shown]
	s_waitcnt lgkmcnt(15)
	v_cvt_f32_f16_e32 v48, v48
	s_waitcnt lgkmcnt(7)
	v_cvt_f32_f16_e32 v56, v56
	;; [unrolled: 2-line block ×6, first 2 shown]
	v_cvt_f32_f16_e32 v54, v54
	v_add_f32_e32 v193, v115, v56
	v_add_co_u32 v56, vcc_lo, s3, v67
	v_dual_add_f32 v194, v116, v57 :: v_dual_add_f32 v191, v118, v59
	s_delay_alu instid0(VALU_DEP_4) | instskip(SKIP_1) | instid1(VALU_DEP_4)
	v_add_f32_e32 v54, v113, v54
	v_add_co_ci_u32_e32 v57, vcc_lo, s4, v68, vcc_lo
	v_add_co_u32 v56, vcc_lo, v56, v197
	s_waitcnt lgkmcnt(2)
	v_cvt_f32_f16_e32 v61, v61
	s_delay_alu instid0(VALU_DEP_3) | instskip(SKIP_2) | instid1(VALU_DEP_4)
	v_add_co_ci_u32_e32 v57, vcc_lo, 0, v57, vcc_lo
	v_add_f32_e32 v192, v117, v58
	v_add_co_u32 v58, vcc_lo, s3, v69
	v_add_f32_e32 v189, v120, v61
	v_add_co_ci_u32_e32 v59, vcc_lo, s4, v70, vcc_lo
	s_waitcnt lgkmcnt(0)
	v_cvt_f32_f16_e32 v63, v63
	v_add_f32_e32 v190, v119, v60
	v_add_co_u32 v60, vcc_lo, v58, v197
	v_cvt_f32_f16_e32 v51, v51
	s_delay_alu instid0(VALU_DEP_4) | instskip(SKIP_2) | instid1(VALU_DEP_4)
	v_add_f32_e32 v187, v122, v63
	v_cvt_f32_f16_e32 v62, v62
	v_add_co_ci_u32_e32 v61, vcc_lo, 0, v59, vcc_lo
	v_dual_add_f32 v48, v107, v48 :: v_dual_add_f32 v51, v110, v51
	s_delay_alu instid0(VALU_DEP_3)
	v_add_f32_e32 v188, v121, v62
	s_clause 0x1
	global_load_b128 v[56:59], v[56:57], off
	global_load_b128 v[60:63], v[60:61], off
	v_cvt_f32_f16_e32 v49, v49
	v_cvt_f32_f16_e32 v50, v50
	;; [unrolled: 1-line block ×5, first 2 shown]
	s_delay_alu instid0(VALU_DEP_4) | instskip(NEXT) | instid1(VALU_DEP_3)
	v_dual_add_f32 v49, v108, v49 :: v_dual_add_f32 v50, v109, v50
	v_dual_add_f32 v52, v111, v52 :: v_dual_add_f32 v55, v114, v55
	s_delay_alu instid0(VALU_DEP_3)
	v_add_f32_e32 v53, v112, v53
	s_waitcnt vmcnt(1)
	ds_store_b128 v147, v[56:59]
	s_waitcnt vmcnt(0)
	ds_store_b128 v202, v[60:63]
	v_add_co_u32 v56, vcc_lo, s3, v71
	v_add_co_ci_u32_e32 v57, vcc_lo, s4, v72, vcc_lo
	s_delay_alu instid0(VALU_DEP_2) | instskip(NEXT) | instid1(VALU_DEP_2)
	v_add_co_u32 v56, vcc_lo, v56, v197
	v_add_co_ci_u32_e32 v57, vcc_lo, 0, v57, vcc_lo
	v_add_co_u32 v58, vcc_lo, s3, v73
	v_add_co_ci_u32_e32 v59, vcc_lo, s4, v74, vcc_lo
	v_cmp_eq_u32_e64 s4, 1, v142
	s_delay_alu instid0(VALU_DEP_3) | instskip(NEXT) | instid1(VALU_DEP_3)
	v_add_co_u32 v60, vcc_lo, v58, v197
	v_add_co_ci_u32_e32 v61, vcc_lo, 0, v59, vcc_lo
	s_clause 0x1
	global_load_b128 v[56:59], v[56:57], off
	global_load_b128 v[60:63], v[60:61], off
	s_waitcnt vmcnt(1)
	ds_store_b128 v203, v[56:59]
	s_waitcnt vmcnt(0)
	ds_store_b128 v204, v[60:63]
	v_dual_mov_b32 v56, v248 :: v_dual_add_f32 v59, 0x40051340, v51
	v_dual_add_f32 v57, 0x40051340, v48 :: v_dual_add_f32 v58, 0x40051340, v49
	s_waitcnt lgkmcnt(0)
	s_barrier
	buffer_gl0_inv
	ds_load_2addr_b32 v[99:100], v150 offset1:16
	ds_load_2addr_b32 v[101:102], v150 offset0:36 offset1:52
	ds_load_2addr_b32 v[103:104], v150 offset0:72 offset1:88
	;; [unrolled: 1-line block ×3, first 2 shown]
	v_max3_f32 v57, v56, v57, v58
	v_add_f32_e32 v58, 0x40051340, v50
	ds_load_2addr_b32 v[111:112], v150 offset0:144 offset1:180
	ds_load_2addr_b32 v[107:108], v150 offset0:196 offset1:216
	;; [unrolled: 1-line block ×3, first 2 shown]
	v_add_nc_u32_e32 v63, 0x400, v150
	ds_load_2addr_b32 v[115:116], v63 offset0:12 offset1:32
	ds_load_2addr_b32 v[113:114], v63 offset0:68 offset1:84
	v_max3_f32 v57, v57, v58, v59
	v_dual_add_f32 v59, 0x40051340, v53 :: v_dual_add_f32 v58, 0x40051340, v52
	ds_load_2addr_b32 v[117:118], v63 offset0:104 offset1:120
	ds_load_2addr_b32 v[119:120], v63 offset0:140 offset1:156
	;; [unrolled: 1-line block ×3, first 2 shown]
	v_max3_f32 v57, v57, v58, v59
	v_dual_add_f32 v58, 0x40051340, v54 :: v_dual_add_f32 v59, 0x40051340, v55
	s_delay_alu instid0(VALU_DEP_1) | instskip(SKIP_1) | instid1(VALU_DEP_1)
	v_max3_f32 v57, v57, v58, v59
	v_dual_add_f32 v58, 0x40051340, v193 :: v_dual_add_f32 v59, 0x40051340, v194
	v_max3_f32 v57, v57, v58, v59
	v_dual_add_f32 v58, 0x40051340, v192 :: v_dual_add_f32 v59, 0x40051340, v191
	s_waitcnt lgkmcnt(0)
	v_perm_b32 v62, v122, v121, 0x5040100
	s_delay_alu instid0(VALU_DEP_2) | instskip(SKIP_1) | instid1(VALU_DEP_1)
	v_max3_f32 v57, v57, v58, v59
	v_dual_add_f32 v59, 0x40051340, v189 :: v_dual_add_f32 v58, 0x40051340, v190
	v_max3_f32 v57, v57, v58, v59
	v_dual_add_f32 v58, 0x40051340, v188 :: v_dual_add_f32 v59, 0x40051340, v187
	s_delay_alu instid0(VALU_DEP_1) | instskip(SKIP_3) | instid1(VALU_DEP_1)
	v_max3_f32 v57, v57, v58, v59
	ds_bpermute_b32 v58, v186, v57
	s_waitcnt lgkmcnt(0)
	v_max_f32_e32 v58, v58, v58
	v_max_f32_e32 v248, v57, v58
	s_delay_alu instid0(VALU_DEP_1) | instskip(NEXT) | instid1(VALU_DEP_1)
	v_sub_f32_e32 v49, v49, v248
	v_mul_f32_e32 v57, 0x3fb8aa3b, v49
	v_cmp_ngt_f32_e32 vcc_lo, 0xc2ce8ed0, v49
	s_delay_alu instid0(VALU_DEP_2) | instskip(SKIP_1) | instid1(VALU_DEP_1)
	v_fma_f32 v58, 0x3fb8aa3b, v49, -v57
	v_rndne_f32_e32 v59, v57
	v_dual_fmac_f32 v58, 0x32a5705f, v49 :: v_dual_sub_f32 v57, v57, v59
	v_cvt_i32_f32_e32 v59, v59
	s_delay_alu instid0(VALU_DEP_2) | instskip(NEXT) | instid1(VALU_DEP_1)
	v_add_f32_e32 v57, v57, v58
	v_exp_f32_e32 v57, v57
	s_waitcnt_depctr 0xfff
	v_ldexp_f32 v57, v57, v59
	s_delay_alu instid0(VALU_DEP_1)
	v_dual_cndmask_b32 v57, 0, v57 :: v_dual_sub_f32 v48, v48, v248
	v_cmp_nlt_f32_e32 vcc_lo, 0x42b17218, v49
	v_sub_f32_e32 v50, v50, v248
	v_sub_f32_e32 v51, v51, v248
	;; [unrolled: 1-line block ×3, first 2 shown]
	v_cmp_ngt_f32_e64 s3, 0xc2ce8ed0, v48
	v_cndmask_b32_e32 v251, 0x7f800000, v57, vcc_lo
	v_cmp_eq_u32_e32 vcc_lo, 1, v201
	v_cmp_ngt_f32_e64 s6, 0xc2ce8ed0, v50
	v_sub_f32_e32 v56, v56, v248
	v_sub_f32_e32 v54, v54, v248
	ds_bpermute_b32 v57, v186, v251
	v_mul_f32_e32 v58, 0x3fb8aa3b, v48
	v_add_nc_u32_e32 v88, 0x800, v150
	ds_load_2addr_b32 v[123:124], v63 offset0:228 offset1:248
	ds_load_2addr_b32 v[125:126], v88 offset0:8 offset1:28
	v_fma_f32 v60, 0x3fb8aa3b, v48, -v58
	v_rndne_f32_e32 v61, v58
	v_sub_f32_e32 v52, v52, v248
	v_sub_f32_e32 v55, v55, v248
	s_delay_alu instid0(VALU_DEP_4) | instskip(NEXT) | instid1(VALU_DEP_4)
	v_fmac_f32_e32 v60, 0x32a5705f, v48
	v_sub_f32_e32 v58, v58, v61
	v_cvt_i32_f32_e32 v59, v61
	s_delay_alu instid0(VALU_DEP_2) | instskip(NEXT) | instid1(VALU_DEP_1)
	v_add_f32_e32 v58, v58, v60
	v_exp_f32_e32 v58, v58
	s_waitcnt lgkmcnt(0)
	v_perm_b32 v63, v126, v124, 0x5040100
	s_waitcnt_depctr 0xfff
	v_ldexp_f32 v58, v58, v59
	s_delay_alu instid0(VALU_DEP_1) | instskip(SKIP_1) | instid1(VALU_DEP_1)
	v_cndmask_b32_e64 v49, 0, v58, s3
	v_cmp_nlt_f32_e64 s3, 0x42b17218, v48
	v_cndmask_b32_e64 v195, 0x7f800000, v49, s3
	v_cmp_eq_u32_e64 s3, 0, v201
	ds_bpermute_b32 v48, v186, v195
	s_waitcnt lgkmcnt(0)
	v_cndmask_b32_e32 v49, v195, v48, vcc_lo
	v_cndmask_b32_e64 v48, v195, v48, s3
	s_delay_alu instid0(VALU_DEP_2) | instskip(NEXT) | instid1(VALU_DEP_2)
	v_cndmask_b32_e64 v59, v49, v251, s4
	v_cndmask_b32_e64 v58, v48, v251, s5
	v_cvt_f16_f32_e32 v48, v48
	v_cvt_f16_f32_e32 v49, v49
	s_delay_alu instid0(VALU_DEP_3) | instskip(SKIP_1) | instid1(VALU_DEP_3)
	v_cndmask_b32_e64 v58, v58, v57, s3
	v_cndmask_b32_e32 v57, v59, v57, vcc_lo
	v_pack_b32_f16 v48, v48, v49
	s_delay_alu instid0(VALU_DEP_3) | instskip(NEXT) | instid1(VALU_DEP_3)
	v_cvt_f16_f32_e32 v59, v58
	v_cvt_f16_f32_e32 v60, v57
	s_delay_alu instid0(VALU_DEP_1) | instskip(SKIP_1) | instid1(VALU_DEP_1)
	v_pack_b32_f16 v49, v59, v60
	v_mul_f32_e32 v59, 0x3fb8aa3b, v50
	v_fma_f32 v60, 0x3fb8aa3b, v50, -v59
	v_rndne_f32_e32 v61, v59
	s_delay_alu instid0(VALU_DEP_1) | instskip(NEXT) | instid1(VALU_DEP_1)
	v_dual_fmac_f32 v60, 0x32a5705f, v50 :: v_dual_sub_f32 v59, v59, v61
	v_add_f32_e32 v59, v59, v60
	v_cvt_i32_f32_e32 v60, v61
	s_delay_alu instid0(VALU_DEP_2) | instskip(SKIP_2) | instid1(VALU_DEP_1)
	v_exp_f32_e32 v59, v59
	s_waitcnt_depctr 0xfff
	v_ldexp_f32 v59, v59, v60
	v_cndmask_b32_e64 v59, 0, v59, s6
	v_cmp_nlt_f32_e64 s6, 0x42b17218, v50
	s_delay_alu instid0(VALU_DEP_1) | instskip(SKIP_1) | instid1(VALU_DEP_2)
	v_cndmask_b32_e64 v252, 0x7f800000, v59, s6
	v_cmp_ngt_f32_e64 s6, 0xc2ce8ed0, v51
	v_cndmask_b32_e64 v50, v58, v252, s5
	ds_bpermute_b32 v58, v186, v252
	v_cndmask_b32_e64 v57, v57, v252, s4
	s_waitcnt lgkmcnt(0)
	v_cndmask_b32_e64 v59, v50, v58, s3
	s_delay_alu instid0(VALU_DEP_2) | instskip(NEXT) | instid1(VALU_DEP_2)
	v_cndmask_b32_e32 v57, v57, v58, vcc_lo
	v_cvt_f16_f32_e32 v50, v59
	s_delay_alu instid0(VALU_DEP_2) | instskip(NEXT) | instid1(VALU_DEP_1)
	v_cvt_f16_f32_e32 v58, v57
	v_pack_b32_f16 v50, v50, v58
	v_mul_f32_e32 v58, 0x3fb8aa3b, v51
	s_delay_alu instid0(VALU_DEP_1) | instskip(SKIP_1) | instid1(VALU_DEP_2)
	v_fma_f32 v60, 0x3fb8aa3b, v51, -v58
	v_rndne_f32_e32 v61, v58
	v_fmac_f32_e32 v60, 0x32a5705f, v51
	s_delay_alu instid0(VALU_DEP_2) | instskip(NEXT) | instid1(VALU_DEP_1)
	v_sub_f32_e32 v58, v58, v61
	v_add_f32_e32 v58, v58, v60
	v_cvt_i32_f32_e32 v60, v61
	s_delay_alu instid0(VALU_DEP_2) | instskip(SKIP_2) | instid1(VALU_DEP_1)
	v_exp_f32_e32 v58, v58
	s_waitcnt_depctr 0xfff
	v_ldexp_f32 v58, v58, v60
	v_cndmask_b32_e64 v58, 0, v58, s6
	v_cmp_nlt_f32_e64 s6, 0x42b17218, v51
	s_delay_alu instid0(VALU_DEP_1)
	v_cndmask_b32_e64 v253, 0x7f800000, v58, s6
	v_cmp_ngt_f32_e64 s6, 0xc2ce8ed0, v52
	ds_bpermute_b32 v58, v186, v253
	v_cndmask_b32_e64 v51, v59, v253, s5
	v_cndmask_b32_e64 v57, v57, v253, s4
	s_waitcnt lgkmcnt(0)
	s_delay_alu instid0(VALU_DEP_2) | instskip(NEXT) | instid1(VALU_DEP_2)
	v_cndmask_b32_e64 v59, v51, v58, s3
	v_cndmask_b32_e32 v57, v57, v58, vcc_lo
	s_delay_alu instid0(VALU_DEP_2) | instskip(NEXT) | instid1(VALU_DEP_2)
	v_cvt_f16_f32_e32 v51, v59
	v_cvt_f16_f32_e32 v58, v57
	s_delay_alu instid0(VALU_DEP_1) | instskip(SKIP_1) | instid1(VALU_DEP_1)
	v_pack_b32_f16 v51, v51, v58
	v_mul_f32_e32 v58, 0x3fb8aa3b, v52
	v_fma_f32 v60, 0x3fb8aa3b, v52, -v58
	v_rndne_f32_e32 v61, v58
	s_delay_alu instid0(VALU_DEP_2) | instskip(NEXT) | instid1(VALU_DEP_2)
	v_fmac_f32_e32 v60, 0x32a5705f, v52
	v_sub_f32_e32 v58, v58, v61
	s_delay_alu instid0(VALU_DEP_1) | instskip(SKIP_1) | instid1(VALU_DEP_2)
	v_add_f32_e32 v58, v58, v60
	v_cvt_i32_f32_e32 v60, v61
	v_exp_f32_e32 v58, v58
	s_waitcnt_depctr 0xfff
	v_ldexp_f32 v58, v58, v60
	s_delay_alu instid0(VALU_DEP_1) | instskip(SKIP_1) | instid1(VALU_DEP_1)
	v_cndmask_b32_e64 v58, 0, v58, s6
	v_cmp_nlt_f32_e64 s6, 0x42b17218, v52
	v_cndmask_b32_e64 v254, 0x7f800000, v58, s6
	v_cmp_ngt_f32_e64 s6, 0xc2ce8ed0, v53
	ds_bpermute_b32 v58, v186, v254
	v_cndmask_b32_e64 v52, v59, v254, s5
	v_cndmask_b32_e64 v57, v57, v254, s4
	s_waitcnt lgkmcnt(0)
	s_delay_alu instid0(VALU_DEP_2) | instskip(NEXT) | instid1(VALU_DEP_2)
	v_cndmask_b32_e64 v59, v52, v58, s3
	v_cndmask_b32_e32 v57, v57, v58, vcc_lo
	s_delay_alu instid0(VALU_DEP_2) | instskip(NEXT) | instid1(VALU_DEP_2)
	v_cvt_f16_f32_e32 v52, v59
	v_cvt_f16_f32_e32 v58, v57
	s_delay_alu instid0(VALU_DEP_1) | instskip(SKIP_1) | instid1(VALU_DEP_1)
	v_pack_b32_f16 v52, v52, v58
	v_mul_f32_e32 v58, 0x3fb8aa3b, v53
	v_fma_f32 v60, 0x3fb8aa3b, v53, -v58
	v_rndne_f32_e32 v61, v58
	s_delay_alu instid0(VALU_DEP_2) | instskip(NEXT) | instid1(VALU_DEP_2)
	v_fmac_f32_e32 v60, 0x32a5705f, v53
	v_sub_f32_e32 v58, v58, v61
	s_delay_alu instid0(VALU_DEP_1) | instskip(SKIP_1) | instid1(VALU_DEP_2)
	v_add_f32_e32 v58, v58, v60
	v_cvt_i32_f32_e32 v60, v61
	v_exp_f32_e32 v58, v58
	s_waitcnt_depctr 0xfff
	v_ldexp_f32 v58, v58, v60
	s_delay_alu instid0(VALU_DEP_1) | instskip(SKIP_1) | instid1(VALU_DEP_1)
	v_cndmask_b32_e64 v58, 0, v58, s6
	v_cmp_nlt_f32_e64 s6, 0x42b17218, v53
	;; [unrolled: 29-line block ×3, first 2 shown]
	v_cndmask_b32_e64 v90, 0x7f800000, v58, s6
	v_cmp_ngt_f32_e64 s6, 0xc2ce8ed0, v55
	ds_bpermute_b32 v58, v186, v90
	v_cndmask_b32_e64 v54, v59, v90, s5
	v_cndmask_b32_e64 v57, v57, v90, s4
	s_waitcnt lgkmcnt(0)
	s_delay_alu instid0(VALU_DEP_2) | instskip(NEXT) | instid1(VALU_DEP_2)
	v_cndmask_b32_e64 v59, v54, v58, s3
	v_cndmask_b32_e32 v57, v57, v58, vcc_lo
	s_delay_alu instid0(VALU_DEP_2) | instskip(NEXT) | instid1(VALU_DEP_2)
	v_cvt_f16_f32_e32 v54, v59
	v_cvt_f16_f32_e32 v58, v57
	s_delay_alu instid0(VALU_DEP_1) | instskip(SKIP_1) | instid1(VALU_DEP_1)
	v_pack_b32_f16 v54, v54, v58
	v_mul_f32_e32 v58, 0x3fb8aa3b, v55
	v_fma_f32 v60, 0x3fb8aa3b, v55, -v58
	v_rndne_f32_e32 v61, v58
	s_delay_alu instid0(VALU_DEP_2) | instskip(NEXT) | instid1(VALU_DEP_2)
	v_fmac_f32_e32 v60, 0x32a5705f, v55
	v_sub_f32_e32 v58, v58, v61
	s_delay_alu instid0(VALU_DEP_1) | instskip(SKIP_2) | instid1(VALU_DEP_3)
	v_add_f32_e32 v58, v58, v60
	v_cvt_i32_f32_e32 v60, v61
	v_perm_b32 v61, v119, v117, 0x5040100
	v_exp_f32_e32 v58, v58
	s_waitcnt_depctr 0xfff
	v_ldexp_f32 v58, v58, v60
	v_perm_b32 v60, v113, v116, 0x5040100
	s_delay_alu instid0(VALU_DEP_2) | instskip(SKIP_1) | instid1(VALU_DEP_1)
	v_cndmask_b32_e64 v58, 0, v58, s6
	v_cmp_nlt_f32_e64 s6, 0x42b17218, v55
	v_cndmask_b32_e64 v181, 0x7f800000, v58, s6
	ds_bpermute_b32 v58, v186, v181
	v_cndmask_b32_e64 v55, v59, v181, s5
	v_cndmask_b32_e64 v57, v57, v181, s4
	s_waitcnt lgkmcnt(0)
	s_delay_alu instid0(VALU_DEP_2) | instskip(NEXT) | instid1(VALU_DEP_2)
	v_cndmask_b32_e64 v55, v55, v58, s3
	v_cndmask_b32_e32 v57, v57, v58, vcc_lo
	s_delay_alu instid0(VALU_DEP_2) | instskip(NEXT) | instid1(VALU_DEP_2)
	v_cvt_f16_f32_e32 v55, v55
	v_cvt_f16_f32_e32 v57, v57
	s_delay_alu instid0(VALU_DEP_1) | instskip(SKIP_1) | instid1(VALU_DEP_1)
	v_pack_b32_f16 v55, v55, v57
	v_mul_f32_e32 v57, 0x3fb8aa3b, v56
	v_fma_f32 v58, 0x3fb8aa3b, v56, -v57
	v_rndne_f32_e32 v59, v57
	s_delay_alu instid0(VALU_DEP_1) | instskip(NEXT) | instid1(VALU_DEP_1)
	v_dual_fmac_f32 v58, 0x32a5705f, v56 :: v_dual_sub_f32 v57, v57, v59
	v_add_f32_e32 v57, v57, v58
	v_cvt_i32_f32_e32 v58, v59
	v_cmp_ngt_f32_e64 s6, 0xc2ce8ed0, v56
	v_perm_b32 v59, v110, v108, 0x5040100
	s_delay_alu instid0(VALU_DEP_4) | instskip(SKIP_3) | instid1(VALU_DEP_2)
	v_exp_f32_e32 v57, v57
	s_waitcnt_depctr 0xfff
	v_ldexp_f32 v57, v57, v58
	v_perm_b32 v58, v112, v111, 0x5040100
	v_cndmask_b32_e64 v57, 0, v57, s6
	v_cmp_nlt_f32_e64 s6, 0x42b17218, v56
	s_delay_alu instid0(VALU_DEP_1) | instskip(SKIP_2) | instid1(VALU_DEP_2)
	v_cndmask_b32_e64 v57, 0x7f800000, v57, s6
	v_cmp_le_f32_e64 s6, 0xc1a00000, v56
	v_perm_b32 v56, v101, v99, 0x5040100
	v_cndmask_b32_e64 v223, 0, v57, s6
	v_perm_b32 v57, v105, v103, 0x5040100
	s_delay_alu instid0(VALU_DEP_2) | instskip(NEXT) | instid1(VALU_DEP_1)
	v_cvt_f16_f32_e64 v87, v223
	v_pk_mul_f16 v0, v87, v0 op_sel_hi:[0,1]
	v_pk_mul_f16 v1, v87, v1 op_sel_hi:[0,1]
	;; [unrolled: 1-line block ×12, first 2 shown]
	v_wmma_f16_16x16x16_f16 v[0:7], v[56:63], v[48:55], v[0:7]
	v_add_nc_u32_e32 v58, 0x200, v207
	v_pk_mul_f16 v12, v87, v12 op_sel_hi:[0,1]
	v_pk_mul_f16 v13, v87, v13 op_sel_hi:[0,1]
	;; [unrolled: 1-line block ×4, first 2 shown]
	ds_load_2addr_b32 v[127:128], v58 offset0:16 offset1:160
	ds_load_b32 v89, v207 offset:1728
	ds_load_b32 v171, v207 offset:6768
	ds_load_b32 v172, v206 offset:1728
	ds_load_b32 v87, v150 offset:2224
	ds_load_b32 v173, v150 offset:6768
	v_perm_b32 v56, v102, v100, 0x5040100
	v_perm_b32 v57, v106, v104, 0x5040100
	v_perm_b32 v59, v115, v109, 0x5040100
	v_perm_b32 v61, v120, v118, 0x5040100
	s_waitcnt lgkmcnt(4)
	v_perm_b32 v62, v123, v89, 0x5040100
	v_perm_b32 v58, v107, v127, 0x5040100
	;; [unrolled: 1-line block ×3, first 2 shown]
	s_waitcnt lgkmcnt(1)
	v_perm_b32 v63, v87, v125, 0x5040100
	s_delay_alu instid0(VALU_DEP_1)
	v_wmma_f16_16x16x16_f16 v[8:15], v[56:63], v[48:55], v[8:15]
	v_perm_b32 v58, v112, v111, 0x7060302
	v_perm_b32 v62, v122, v121, 0x7060302
	;; [unrolled: 1-line block ×8, first 2 shown]
	s_delay_alu instid0(VALU_DEP_1)
	v_wmma_f16_16x16x16_f16 v[0:7], v[56:63], v[48:55], v[0:7] op_sel:[0,0,1]
	v_perm_b32 v56, v102, v100, 0x7060302
	v_perm_b32 v57, v106, v104, 0x7060302
	;; [unrolled: 1-line block ×8, first 2 shown]
	s_delay_alu instid0(VALU_DEP_1) | instskip(SKIP_3) | instid1(VALU_DEP_3)
	v_wmma_f16_16x16x16_f16 v[8:15], v[56:63], v[48:55], v[8:15] op_sel:[0,0,1]
	v_sub_f32_e32 v48, v194, v248
	v_add_nc_u32_e32 v62, 0x1800, v150
	v_add_nc_u32_e32 v61, 0x1600, v150
	v_mul_f32_e32 v49, 0x3fb8aa3b, v48
	v_cmp_ngt_f32_e64 s6, 0xc2ce8ed0, v48
	s_delay_alu instid0(VALU_DEP_2) | instskip(SKIP_1) | instid1(VALU_DEP_1)
	v_fma_f32 v50, 0x3fb8aa3b, v48, -v49
	v_rndne_f32_e32 v51, v49
	v_dual_fmac_f32 v50, 0x32a5705f, v48 :: v_dual_sub_f32 v49, v49, v51
	v_cvt_i32_f32_e32 v51, v51
	s_delay_alu instid0(VALU_DEP_2) | instskip(SKIP_1) | instid1(VALU_DEP_2)
	v_add_f32_e32 v49, v49, v50
	v_sub_f32_e32 v50, v193, v248
	v_exp_f32_e32 v49, v49
	s_delay_alu instid0(VALU_DEP_1) | instskip(SKIP_1) | instid1(VALU_DEP_2)
	v_mul_f32_e32 v52, 0x3fb8aa3b, v50
	v_cmp_ngt_f32_e64 s7, 0xc2ce8ed0, v50
	v_fma_f32 v53, 0x3fb8aa3b, v50, -v52
	v_rndne_f32_e32 v54, v52
	s_waitcnt_depctr 0xfff
	v_ldexp_f32 v49, v49, v51
	v_fmac_f32_e32 v53, 0x32a5705f, v50
	v_sub_f32_e32 v52, v52, v54
	v_cvt_i32_f32_e32 v51, v54
	s_delay_alu instid0(VALU_DEP_4) | instskip(SKIP_1) | instid1(VALU_DEP_4)
	v_cndmask_b32_e64 v49, 0, v49, s6
	v_cmp_nlt_f32_e64 s6, 0x42b17218, v48
	v_add_f32_e32 v52, v52, v53
	s_delay_alu instid0(VALU_DEP_2) | instskip(NEXT) | instid1(VALU_DEP_2)
	v_cndmask_b32_e64 v125, 0x7f800000, v49, s6
	v_exp_f32_e32 v52, v52
	s_waitcnt_depctr 0xfff
	v_ldexp_f32 v51, v52, v51
	s_delay_alu instid0(VALU_DEP_1)
	v_cndmask_b32_e64 v48, 0, v51, s7
	v_cmp_nlt_f32_e64 s7, 0x42b17218, v50
	ds_bpermute_b32 v50, v186, v125
	v_cndmask_b32_e64 v89, 0x7f800000, v48, s7
	ds_bpermute_b32 v48, v186, v89
	s_waitcnt lgkmcnt(0)
	v_cndmask_b32_e32 v49, v89, v48, vcc_lo
	v_cndmask_b32_e64 v48, v89, v48, s3
	s_delay_alu instid0(VALU_DEP_2) | instskip(NEXT) | instid1(VALU_DEP_2)
	v_cndmask_b32_e64 v52, v49, v125, s4
	v_cndmask_b32_e64 v51, v48, v125, s5
	v_cvt_f16_f32_e32 v48, v48
	v_cvt_f16_f32_e32 v49, v49
	s_delay_alu instid0(VALU_DEP_3) | instskip(SKIP_1) | instid1(VALU_DEP_3)
	v_cndmask_b32_e64 v51, v51, v50, s3
	v_cndmask_b32_e32 v50, v52, v50, vcc_lo
	v_pack_b32_f16 v48, v48, v49
	s_delay_alu instid0(VALU_DEP_3) | instskip(NEXT) | instid1(VALU_DEP_3)
	v_cvt_f16_f32_e32 v52, v51
	v_cvt_f16_f32_e32 v53, v50
	s_delay_alu instid0(VALU_DEP_1) | instskip(SKIP_1) | instid1(VALU_DEP_1)
	v_pack_b32_f16 v49, v52, v53
	v_sub_f32_e32 v52, v192, v248
	v_mul_f32_e32 v53, 0x3fb8aa3b, v52
	v_cmp_ngt_f32_e64 s6, 0xc2ce8ed0, v52
	s_delay_alu instid0(VALU_DEP_2) | instskip(SKIP_1) | instid1(VALU_DEP_1)
	v_fma_f32 v54, 0x3fb8aa3b, v52, -v53
	v_rndne_f32_e32 v55, v53
	v_dual_fmac_f32 v54, 0x32a5705f, v52 :: v_dual_sub_f32 v53, v53, v55
	s_delay_alu instid0(VALU_DEP_1) | instskip(SKIP_1) | instid1(VALU_DEP_2)
	v_add_f32_e32 v53, v53, v54
	v_cvt_i32_f32_e32 v54, v55
	v_exp_f32_e32 v53, v53
	s_waitcnt_depctr 0xfff
	v_ldexp_f32 v53, v53, v54
	s_delay_alu instid0(VALU_DEP_1) | instskip(SKIP_1) | instid1(VALU_DEP_1)
	v_cndmask_b32_e64 v53, 0, v53, s6
	v_cmp_nlt_f32_e64 s6, 0x42b17218, v52
	v_cndmask_b32_e64 v126, 0x7f800000, v53, s6
	ds_bpermute_b32 v52, v186, v126
	v_cndmask_b32_e64 v51, v51, v126, s5
	v_cndmask_b32_e64 v50, v50, v126, s4
	s_waitcnt lgkmcnt(0)
	s_delay_alu instid0(VALU_DEP_2) | instskip(NEXT) | instid1(VALU_DEP_2)
	v_cndmask_b32_e64 v51, v51, v52, s3
	v_cndmask_b32_e32 v52, v50, v52, vcc_lo
	s_delay_alu instid0(VALU_DEP_2) | instskip(NEXT) | instid1(VALU_DEP_2)
	v_cvt_f16_f32_e32 v50, v51
	v_cvt_f16_f32_e32 v53, v52
	s_delay_alu instid0(VALU_DEP_1) | instskip(SKIP_1) | instid1(VALU_DEP_1)
	v_pack_b32_f16 v50, v50, v53
	v_sub_f32_e32 v53, v191, v248
	v_mul_f32_e32 v54, 0x3fb8aa3b, v53
	v_cmp_ngt_f32_e64 s6, 0xc2ce8ed0, v53
	s_delay_alu instid0(VALU_DEP_2) | instskip(SKIP_1) | instid1(VALU_DEP_1)
	v_fma_f32 v55, 0x3fb8aa3b, v53, -v54
	v_rndne_f32_e32 v56, v54
	v_dual_fmac_f32 v55, 0x32a5705f, v53 :: v_dual_sub_f32 v54, v54, v56
	s_delay_alu instid0(VALU_DEP_1) | instskip(SKIP_1) | instid1(VALU_DEP_2)
	v_add_f32_e32 v54, v54, v55
	v_cvt_i32_f32_e32 v55, v56
	v_exp_f32_e32 v54, v54
	s_waitcnt_depctr 0xfff
	v_ldexp_f32 v54, v54, v55
	s_delay_alu instid0(VALU_DEP_1) | instskip(SKIP_1) | instid1(VALU_DEP_1)
	v_cndmask_b32_e64 v54, 0, v54, s6
	v_cmp_nlt_f32_e64 s6, 0x42b17218, v53
	v_cndmask_b32_e64 v127, 0x7f800000, v54, s6
	ds_bpermute_b32 v53, v186, v127
	v_cndmask_b32_e64 v51, v51, v127, s5
	v_cndmask_b32_e64 v52, v52, v127, s4
	s_waitcnt lgkmcnt(0)
	s_delay_alu instid0(VALU_DEP_2) | instskip(NEXT) | instid1(VALU_DEP_2)
	v_cndmask_b32_e64 v54, v51, v53, s3
	v_cndmask_b32_e32 v52, v52, v53, vcc_lo
	s_delay_alu instid0(VALU_DEP_2) | instskip(NEXT) | instid1(VALU_DEP_2)
	v_cvt_f16_f32_e32 v51, v54
	v_cvt_f16_f32_e32 v53, v52
	s_delay_alu instid0(VALU_DEP_1) | instskip(SKIP_1) | instid1(VALU_DEP_1)
	v_pack_b32_f16 v51, v51, v53
	v_sub_f32_e32 v53, v190, v248
	v_mul_f32_e32 v55, 0x3fb8aa3b, v53
	v_cmp_ngt_f32_e64 s6, 0xc2ce8ed0, v53
	s_delay_alu instid0(VALU_DEP_2) | instskip(SKIP_1) | instid1(VALU_DEP_2)
	v_fma_f32 v56, 0x3fb8aa3b, v53, -v55
	v_rndne_f32_e32 v57, v55
	v_fmac_f32_e32 v56, 0x32a5705f, v53
	s_delay_alu instid0(VALU_DEP_2) | instskip(NEXT) | instid1(VALU_DEP_1)
	v_sub_f32_e32 v55, v55, v57
	v_add_f32_e32 v55, v55, v56
	v_cvt_i32_f32_e32 v56, v57
	s_delay_alu instid0(VALU_DEP_2) | instskip(SKIP_2) | instid1(VALU_DEP_1)
	v_exp_f32_e32 v55, v55
	s_waitcnt_depctr 0xfff
	v_ldexp_f32 v55, v55, v56
	v_cndmask_b32_e64 v55, 0, v55, s6
	v_cmp_nlt_f32_e64 s6, 0x42b17218, v53
	s_delay_alu instid0(VALU_DEP_1) | instskip(NEXT) | instid1(VALU_DEP_1)
	v_cndmask_b32_e64 v128, 0x7f800000, v55, s6
	v_cndmask_b32_e64 v53, v54, v128, s5
	ds_bpermute_b32 v54, v186, v128
	v_cndmask_b32_e64 v52, v52, v128, s4
	s_waitcnt lgkmcnt(0)
	v_cndmask_b32_e64 v53, v53, v54, s3
	s_delay_alu instid0(VALU_DEP_2) | instskip(NEXT) | instid1(VALU_DEP_2)
	v_cndmask_b32_e32 v54, v52, v54, vcc_lo
	v_cvt_f16_f32_e32 v52, v53
	s_delay_alu instid0(VALU_DEP_2) | instskip(NEXT) | instid1(VALU_DEP_1)
	v_cvt_f16_f32_e32 v55, v54
	v_pack_b32_f16 v52, v52, v55
	v_sub_f32_e32 v55, v189, v248
	s_delay_alu instid0(VALU_DEP_1) | instskip(SKIP_1) | instid1(VALU_DEP_2)
	v_mul_f32_e32 v56, 0x3fb8aa3b, v55
	v_cmp_ngt_f32_e64 s6, 0xc2ce8ed0, v55
	v_fma_f32 v57, 0x3fb8aa3b, v55, -v56
	v_rndne_f32_e32 v58, v56
	s_delay_alu instid0(VALU_DEP_1) | instskip(NEXT) | instid1(VALU_DEP_1)
	v_dual_fmac_f32 v57, 0x32a5705f, v55 :: v_dual_sub_f32 v56, v56, v58
	v_add_f32_e32 v56, v56, v57
	v_cvt_i32_f32_e32 v57, v58
	s_delay_alu instid0(VALU_DEP_2) | instskip(SKIP_2) | instid1(VALU_DEP_1)
	v_exp_f32_e32 v56, v56
	s_waitcnt_depctr 0xfff
	v_ldexp_f32 v56, v56, v57
	v_cndmask_b32_e64 v56, 0, v56, s6
	v_cmp_nlt_f32_e64 s6, 0x42b17218, v55
	s_delay_alu instid0(VALU_DEP_1) | instskip(SKIP_4) | instid1(VALU_DEP_2)
	v_cndmask_b32_e64 v174, 0x7f800000, v56, s6
	ds_bpermute_b32 v55, v186, v174
	v_cndmask_b32_e64 v53, v53, v174, s5
	v_cndmask_b32_e64 v54, v54, v174, s4
	s_waitcnt lgkmcnt(0)
	v_cndmask_b32_e64 v56, v53, v55, s3
	s_delay_alu instid0(VALU_DEP_2) | instskip(NEXT) | instid1(VALU_DEP_2)
	v_cndmask_b32_e32 v54, v54, v55, vcc_lo
	v_cvt_f16_f32_e32 v53, v56
	s_delay_alu instid0(VALU_DEP_2) | instskip(NEXT) | instid1(VALU_DEP_1)
	v_cvt_f16_f32_e32 v55, v54
	v_pack_b32_f16 v53, v53, v55
	v_sub_f32_e32 v55, v188, v248
	s_delay_alu instid0(VALU_DEP_1) | instskip(SKIP_1) | instid1(VALU_DEP_2)
	v_mul_f32_e32 v57, 0x3fb8aa3b, v55
	v_cmp_ngt_f32_e64 s6, 0xc2ce8ed0, v55
	v_fma_f32 v58, 0x3fb8aa3b, v55, -v57
	v_rndne_f32_e32 v59, v57
	s_delay_alu instid0(VALU_DEP_2) | instskip(NEXT) | instid1(VALU_DEP_2)
	v_fmac_f32_e32 v58, 0x32a5705f, v55
	v_sub_f32_e32 v57, v57, v59
	s_delay_alu instid0(VALU_DEP_1) | instskip(SKIP_1) | instid1(VALU_DEP_2)
	v_add_f32_e32 v57, v57, v58
	v_cvt_i32_f32_e32 v58, v59
	v_exp_f32_e32 v57, v57
	s_waitcnt_depctr 0xfff
	v_ldexp_f32 v57, v57, v58
	s_delay_alu instid0(VALU_DEP_1) | instskip(SKIP_1) | instid1(VALU_DEP_1)
	v_cndmask_b32_e64 v57, 0, v57, s6
	v_cmp_nlt_f32_e64 s6, 0x42b17218, v55
	v_cndmask_b32_e64 v175, 0x7f800000, v57, s6
	s_delay_alu instid0(VALU_DEP_1) | instskip(SKIP_4) | instid1(VALU_DEP_2)
	v_cndmask_b32_e64 v55, v56, v175, s5
	ds_bpermute_b32 v56, v186, v175
	v_cndmask_b32_e64 v54, v54, v175, s4
	s_waitcnt lgkmcnt(0)
	v_cndmask_b32_e64 v55, v55, v56, s3
	v_cndmask_b32_e32 v56, v54, v56, vcc_lo
	s_delay_alu instid0(VALU_DEP_2) | instskip(NEXT) | instid1(VALU_DEP_2)
	v_cvt_f16_f32_e32 v54, v55
	v_cvt_f16_f32_e32 v57, v56
	s_delay_alu instid0(VALU_DEP_1) | instskip(SKIP_1) | instid1(VALU_DEP_1)
	v_pack_b32_f16 v54, v54, v57
	v_sub_f32_e32 v57, v187, v248
	v_mul_f32_e32 v58, 0x3fb8aa3b, v57
	v_cmp_ngt_f32_e64 s6, 0xc2ce8ed0, v57
	s_delay_alu instid0(VALU_DEP_2) | instskip(SKIP_1) | instid1(VALU_DEP_1)
	v_fma_f32 v59, 0x3fb8aa3b, v57, -v58
	v_rndne_f32_e32 v60, v58
	v_dual_fmac_f32 v59, 0x32a5705f, v57 :: v_dual_sub_f32 v58, v58, v60
	s_delay_alu instid0(VALU_DEP_1) | instskip(SKIP_1) | instid1(VALU_DEP_2)
	v_add_f32_e32 v58, v58, v59
	v_cvt_i32_f32_e32 v59, v60
	v_exp_f32_e32 v58, v58
	s_waitcnt_depctr 0xfff
	v_ldexp_f32 v58, v58, v59
	v_add_nc_u32_e32 v59, 0x1400, v150
	s_delay_alu instid0(VALU_DEP_2) | instskip(SKIP_1) | instid1(VALU_DEP_1)
	v_cndmask_b32_e64 v58, 0, v58, s6
	v_cmp_nlt_f32_e64 s6, 0x42b17218, v57
	v_cndmask_b32_e64 v176, 0x7f800000, v58, s6
	v_add_nc_u32_e32 v58, 0x200, v206
	ds_bpermute_b32 v57, v186, v176
	v_cndmask_b32_e64 v55, v55, v176, s5
	v_cndmask_b32_e64 v56, v56, v176, s4
	s_waitcnt lgkmcnt(0)
	s_delay_alu instid0(VALU_DEP_2) | instskip(NEXT) | instid1(VALU_DEP_2)
	v_cndmask_b32_e64 v55, v55, v57, s3
	v_cndmask_b32_e32 v56, v56, v57, vcc_lo
	s_delay_alu instid0(VALU_DEP_2) | instskip(NEXT) | instid1(VALU_DEP_2)
	v_cvt_f16_f32_e32 v55, v55
	v_cvt_f16_f32_e32 v56, v56
	s_delay_alu instid0(VALU_DEP_1)
	v_pack_b32_f16 v55, v55, v56
	v_add_nc_u32_e32 v56, 0x1000, v150
	ds_load_2addr_b32 v[87:88], v56 offset0:128 offset1:164
	ds_load_2addr_b32 v[99:100], v56 offset0:200 offset1:236
	;; [unrolled: 1-line block ×7, first 2 shown]
	s_waitcnt lgkmcnt(6)
	v_perm_b32 v56, v88, v87, 0x5040100
	s_waitcnt lgkmcnt(5)
	v_perm_b32 v57, v100, v99, 0x5040100
	;; [unrolled: 2-line block ×4, first 2 shown]
	v_perm_b32 v60, v106, v102, 0x5040100
	s_waitcnt lgkmcnt(1)
	v_perm_b32 v61, v108, v107, 0x5040100
	s_waitcnt lgkmcnt(0)
	v_perm_b32 v62, v109, v172, 0x5040100
	v_perm_b32 v63, v173, v110, 0x5040100
	s_delay_alu instid0(VALU_DEP_1)
	v_wmma_f16_16x16x16_f16 v[0:7], v[56:63], v[48:55], v[0:7]
	v_add_nc_u32_e32 v61, 0x1600, v207
	v_add_nc_u32_e32 v56, 0x1000, v207
	;; [unrolled: 1-line block ×5, first 2 shown]
	ds_load_2addr_b32 v[111:112], v56 offset0:128 offset1:164
	ds_load_2addr_b32 v[113:114], v56 offset0:200 offset1:236
	;; [unrolled: 1-line block ×6, first 2 shown]
	ds_load_b32 v177, v151 offset:1728
	ds_load_2addr_b32 v[123:124], v62 offset0:84 offset1:120
	s_waitcnt lgkmcnt(0)
	s_barrier
	buffer_gl0_inv
	v_perm_b32 v56, v112, v111, 0x5040100
	v_perm_b32 v57, v114, v113, 0x5040100
	;; [unrolled: 1-line block ×8, first 2 shown]
	s_delay_alu instid0(VALU_DEP_1)
	v_wmma_f16_16x16x16_f16 v[8:15], v[56:63], v[48:55], v[8:15]
	v_perm_b32 v58, v103, v101, 0x7060302
	v_perm_b32 v59, v105, v104, 0x7060302
	v_perm_b32 v60, v106, v102, 0x7060302
	v_perm_b32 v62, v109, v172, 0x7060302
	v_perm_b32 v63, v173, v110, 0x7060302
	v_perm_b32 v56, v88, v87, 0x7060302
	v_perm_b32 v57, v100, v99, 0x7060302
	v_perm_b32 v61, v108, v107, 0x7060302
	s_delay_alu instid0(VALU_DEP_1)
	v_wmma_f16_16x16x16_f16 v[0:7], v[56:63], v[48:55], v[0:7] op_sel:[0,0,1]
	v_perm_b32 v58, v117, v115, 0x7060302
	v_perm_b32 v59, v119, v118, 0x7060302
	v_perm_b32 v60, v120, v116, 0x7060302
	v_perm_b32 v62, v123, v177, 0x7060302
	v_perm_b32 v63, v171, v124, 0x7060302
	v_perm_b32 v56, v112, v111, 0x7060302
	v_perm_b32 v57, v114, v113, 0x7060302
	v_perm_b32 v61, v122, v121, 0x7060302
	s_delay_alu instid0(VALU_DEP_1) | instskip(SKIP_1) | instid1(VALU_DEP_1)
	v_wmma_f16_16x16x16_f16 v[8:15], v[56:63], v[48:55], v[8:15] op_sel:[0,0,1]
	v_add_f32_e32 v48, v195, v251
	v_dual_mov_b32 v49, v247 :: v_dual_add_f32 v48, v252, v48
	s_delay_alu instid0(VALU_DEP_1) | instskip(NEXT) | instid1(VALU_DEP_1)
	v_add_f32_e32 v48, v253, v48
	v_add_f32_e32 v48, v254, v48
	s_delay_alu instid0(VALU_DEP_1) | instskip(NEXT) | instid1(VALU_DEP_1)
	v_add_f32_e32 v48, v224, v48
	v_add_f32_e32 v48, v90, v48
	;; [unrolled: 3-line block ×6, first 2 shown]
	s_delay_alu instid0(VALU_DEP_1) | instskip(NEXT) | instid1(VALU_DEP_1)
	v_add_f32_e32 v247, v176, v48
	v_fmac_f32_e32 v247, v49, v223
	s_cbranch_scc1 .LBB0_53
.LBB0_54:                               ;   in Loop: Header=BB0_12 Depth=1
	s_lshl_b32 s4, s70, 6
	v_lshlrev_b32_e32 v48, 1, v198
	s_ashr_i32 s5, s4, 31
	v_add_nc_u32_e32 v87, v148, v145
	s_lshl_b64 s[6:7], s[4:5], 1
	s_delay_alu instid0(SALU_CYCLE_1) | instskip(SKIP_2) | instid1(VALU_DEP_2)
	v_add_co_u32 v49, vcc_lo, v245, s6
	v_add_co_ci_u32_e32 v50, vcc_lo, s7, v244, vcc_lo
	s_mul_hi_i32 s7, s46, s4
	v_add_co_u32 v52, vcc_lo, v49, v48
	v_lshlrev_b64 v[48:49], 1, v[97:98]
	s_delay_alu instid0(VALU_DEP_3) | instskip(SKIP_3) | instid1(VALU_DEP_4)
	v_add_co_ci_u32_e32 v53, vcc_lo, 0, v50, vcc_lo
	v_lshlrev_b64 v[50:51], 1, v[95:96]
	v_mov_b32_e32 v102, s43
	s_mul_i32 s6, s46, s4
	v_add_co_u32 v48, vcc_lo, v52, v48
	v_add_co_ci_u32_e32 v49, vcc_lo, v53, v49, vcc_lo
	s_delay_alu instid0(VALU_DEP_4)
	v_add_co_u32 v50, vcc_lo, v52, v50
	v_add_co_ci_u32_e32 v51, vcc_lo, v53, v51, vcc_lo
	s_clause 0x1
	global_load_b32 v48, v[48:49], off
	global_load_b32 v49, v[50:51], off
	v_dual_mov_b32 v99, s40 :: v_dual_add_nc_u32 v50, v146, v200
	s_lshl_b64 s[6:7], s[6:7], 2
	v_mov_b32_e32 v97, s38
	s_add_u32 s3, s99, s6
	s_delay_alu instid0(VALU_DEP_2)
	v_add_nc_u32_e32 v50, 0x2400, v50
	s_addc_u32 s5, s100, s7
	v_dual_mov_b32 v101, s42 :: v_dual_mov_b32 v100, s41
	v_dual_mov_b32 v95, s36 :: v_dual_mov_b32 v98, s39
	v_mov_b32_e32 v96, s37
	s_waitcnt vmcnt(0)
	ds_store_2addr_b32 v50, v48, v49 offset1:144
	v_add_co_u32 v48, vcc_lo, s3, v75
	v_add_co_ci_u32_e32 v49, vcc_lo, s5, v76, vcc_lo
	s_delay_alu instid0(VALU_DEP_2) | instskip(NEXT) | instid1(VALU_DEP_2)
	v_add_co_u32 v48, vcc_lo, v48, v197
	v_add_co_ci_u32_e32 v49, vcc_lo, 0, v49, vcc_lo
	v_add_co_u32 v50, vcc_lo, s3, v77
	v_add_co_ci_u32_e32 v51, vcc_lo, s5, v78, vcc_lo
	s_delay_alu instid0(VALU_DEP_2) | instskip(NEXT) | instid1(VALU_DEP_2)
	v_add_co_u32 v52, vcc_lo, v50, v197
	v_add_co_ci_u32_e32 v53, vcc_lo, 0, v51, vcc_lo
	s_clause 0x1
	global_load_b128 v[48:51], v[48:49], off
	global_load_b128 v[52:55], v[52:53], off
	s_waitcnt vmcnt(1)
	ds_store_b128 v147, v[48:51]
	s_waitcnt vmcnt(0)
	ds_store_b128 v202, v[52:55]
	v_add_co_u32 v48, vcc_lo, s3, v79
	v_add_co_ci_u32_e32 v49, vcc_lo, s5, v80, vcc_lo
	s_delay_alu instid0(VALU_DEP_2) | instskip(NEXT) | instid1(VALU_DEP_2)
	v_add_co_u32 v48, vcc_lo, v48, v197
	v_add_co_ci_u32_e32 v49, vcc_lo, 0, v49, vcc_lo
	v_add_co_u32 v50, vcc_lo, s3, v81
	v_add_co_ci_u32_e32 v51, vcc_lo, s5, v82, vcc_lo
	s_mul_hi_i32 s5, s34, s4
	s_delay_alu instid0(VALU_DEP_2) | instskip(NEXT) | instid1(VALU_DEP_2)
	v_add_co_u32 v52, vcc_lo, v50, v197
	v_add_co_ci_u32_e32 v53, vcc_lo, 0, v51, vcc_lo
	s_clause 0x1
	global_load_b128 v[48:51], v[48:49], off
	global_load_b128 v[52:55], v[52:53], off
	v_cmp_lt_i32_e32 vcc_lo, v249, v250
	s_mul_i32 s4, s34, s4
	s_waitcnt vmcnt(1)
	ds_store_b128 v203, v[48:51]
	s_waitcnt vmcnt(0)
	ds_store_b128 v204, v[52:55]
	s_waitcnt lgkmcnt(0)
	s_barrier
	buffer_gl0_inv
	ds_load_b128 v[48:51], v87
	ds_load_b128 v[52:55], v87 offset:16
	ds_load_b128 v[56:59], v87 offset:4608
	;; [unrolled: 1-line block ×3, first 2 shown]
	s_lshl_b64 s[4:5], s[4:5], 2
	s_delay_alu instid0(SALU_CYCLE_1)
	s_add_u32 s3, s97, s4
	s_addc_u32 s4, s98, s5
	v_cmp_eq_u32_e64 s5, 1, v142
	s_cmp_lg_u64 s[76:77], 0
	s_waitcnt lgkmcnt(2)
	v_wmma_f32_16x16x16_f16 v[103:110], v[48:55], v[24:31], v[95:102]
	s_waitcnt lgkmcnt(0)
	v_wmma_f32_16x16x16_f16 v[48:55], v[56:63], v[24:31], v[95:102]
	ds_load_b128 v[24:27], v87 offset:32
	ds_load_b128 v[28:31], v87 offset:48
	v_add_nc_u32_e32 v58, 0x800, v150
	s_waitcnt lgkmcnt(0)
	v_wmma_f32_16x16x16_f16 v[103:110], v[24:31], v[16:23], v[103:110]
	ds_load_b128 v[24:27], v87 offset:4640
	ds_load_b128 v[28:31], v87 offset:4656
	s_waitcnt lgkmcnt(0)
	v_wmma_f32_16x16x16_f16 v[48:55], v[24:31], v[16:23], v[48:55]
	ds_load_b128 v[16:19], v87 offset:64
	ds_load_b128 v[20:23], v87 offset:80
	;; [unrolled: 4-line block ×5, first 2 shown]
	s_waitcnt lgkmcnt(0)
	s_barrier
	buffer_gl0_inv
	v_wmma_f32_16x16x16_f16 v[48:55], v[16:23], v[40:47], v[48:55]
	ds_load_u16 v16, v149 offset:9216
	ds_load_u16 v17, v149 offset:9220
	;; [unrolled: 1-line block ×16, first 2 shown]
	s_waitcnt lgkmcnt(15)
	v_cvt_f32_f16_e32 v16, v16
	s_waitcnt lgkmcnt(14)
	v_cvt_f32_f16_e32 v17, v17
	;; [unrolled: 2-line block ×5, first 2 shown]
	v_cvt_f32_f16_e32 v21, v21
	v_cvt_f32_f16_e32 v22, v22
	v_dual_add_f32 v16, v103, v16 :: v_dual_add_f32 v17, v104, v17
	s_waitcnt lgkmcnt(6)
	v_cvt_f32_f16_e32 v25, v25
	v_add_f32_e32 v21, v108, v21
	s_waitcnt lgkmcnt(5)
	v_cvt_f32_f16_e32 v26, v26
	v_cvt_f32_f16_e32 v20, v20
	;; [unrolled: 1-line block ×3, first 2 shown]
	v_dual_add_f32 v18, v105, v18 :: v_dual_add_f32 v19, v106, v19
	v_dual_add_f32 v22, v109, v22 :: v_dual_add_f32 v99, v48, v24
	s_waitcnt lgkmcnt(4)
	v_cvt_f32_f16_e32 v27, v27
	s_waitcnt lgkmcnt(2)
	v_cvt_f32_f16_e32 v29, v29
	;; [unrolled: 2-line block ×3, first 2 shown]
	v_add_f32_e32 v100, v49, v25
	v_dual_add_f32 v98, v50, v26 :: v_dual_add_f32 v25, 0x40051340, v17
	v_add_f32_e32 v24, 0x40051340, v16
	v_dual_add_f32 v20, v107, v20 :: v_dual_add_f32 v95, v53, v29
	v_add_f32_e32 v23, v110, v23
	v_add_f32_e32 v62, v55, v31
	s_delay_alu instid0(VALU_DEP_4) | instskip(SKIP_4) | instid1(VALU_DEP_4)
	v_max3_f32 v24, v248, v24, v25
	v_dual_add_f32 v25, 0x40051340, v18 :: v_dual_add_f32 v26, 0x40051340, v19
	v_cvt_f32_f16_e32 v28, v28
	v_cvt_f32_f16_e32 v30, v30
	v_add_f32_e32 v97, v51, v27
	v_max3_f32 v24, v24, v25, v26
	v_dual_add_f32 v25, 0x40051340, v20 :: v_dual_add_f32 v26, 0x40051340, v21
	s_delay_alu instid0(VALU_DEP_4) | instskip(NEXT) | instid1(VALU_DEP_2)
	v_dual_add_f32 v96, v52, v28 :: v_dual_add_f32 v63, v54, v30
	v_max3_f32 v24, v24, v25, v26
	v_dual_add_f32 v25, 0x40051340, v22 :: v_dual_add_f32 v26, 0x40051340, v23
	s_delay_alu instid0(VALU_DEP_1) | instskip(SKIP_1) | instid1(VALU_DEP_1)
	v_max3_f32 v24, v24, v25, v26
	v_dual_add_f32 v25, 0x40051340, v99 :: v_dual_add_f32 v26, 0x40051340, v100
	v_max3_f32 v24, v24, v25, v26
	v_dual_add_f32 v25, 0x40051340, v98 :: v_dual_add_f32 v26, 0x40051340, v97
	s_delay_alu instid0(VALU_DEP_1) | instskip(SKIP_1) | instid1(VALU_DEP_1)
	v_max3_f32 v24, v24, v25, v26
	;; [unrolled: 5-line block ×3, first 2 shown]
	v_cndmask_b32_e32 v25, v243, v249, vcc_lo
	v_lshlrev_b32_e32 v60, 2, v25
	ds_bpermute_b32 v25, v60, v24
	s_waitcnt lgkmcnt(0)
	v_max_f32_e32 v25, v25, v25
	s_delay_alu instid0(VALU_DEP_1) | instskip(NEXT) | instid1(VALU_DEP_1)
	v_max_f32_e32 v61, v24, v25
	v_sub_f32_e32 v24, v248, v61
	s_delay_alu instid0(VALU_DEP_1) | instskip(NEXT) | instid1(VALU_DEP_1)
	v_mul_f32_e32 v25, 0x3fb8aa3b, v24
	v_fma_f32 v26, 0x3fb8aa3b, v24, -v25
	v_rndne_f32_e32 v27, v25
	s_delay_alu instid0(VALU_DEP_1)
	v_dual_sub_f32 v25, v25, v27 :: v_dual_fmac_f32 v26, 0x32a5705f, v24
	v_sub_f32_e32 v17, v17, v61
	v_cmp_ngt_f32_e32 vcc_lo, 0xc2ce8ed0, v24
	v_sub_f32_e32 v16, v16, v61
	v_sub_f32_e32 v19, v19, v61
	v_add_f32_e32 v25, v25, v26
	v_cvt_i32_f32_e32 v26, v27
	v_sub_f32_e32 v21, v21, v61
	v_sub_f32_e32 v18, v18, v61
	;; [unrolled: 1-line block ×3, first 2 shown]
	v_exp_f32_e32 v25, v25
	v_sub_f32_e32 v22, v22, v61
	s_delay_alu instid0(VALU_DEP_3) | instskip(SKIP_2) | instid1(VALU_DEP_1)
	v_cmp_ngt_f32_e64 s6, 0xc2ce8ed0, v18
	s_waitcnt_depctr 0xfff
	v_ldexp_f32 v25, v25, v26
	v_cndmask_b32_e32 v25, 0, v25, vcc_lo
	v_cmp_nlt_f32_e32 vcc_lo, 0x42b17218, v24
	s_delay_alu instid0(VALU_DEP_2) | instskip(SKIP_1) | instid1(VALU_DEP_2)
	v_cndmask_b32_e32 v25, 0x7f800000, v25, vcc_lo
	v_cmp_le_f32_e32 vcc_lo, 0xc1a00000, v24
	v_cndmask_b32_e32 v101, 0, v25, vcc_lo
	s_delay_alu instid0(VALU_DEP_1) | instskip(NEXT) | instid1(VALU_DEP_1)
	v_cvt_f16_f32_e32 v24, v101
	v_pk_mul_f16 v0, v24, v0 op_sel_hi:[0,1]
	v_pk_mul_f16 v1, v24, v1 op_sel_hi:[0,1]
	;; [unrolled: 1-line block ×16, first 2 shown]
	v_add_co_u32 v24, vcc_lo, s3, v67
	v_add_co_ci_u32_e32 v25, vcc_lo, s4, v68, vcc_lo
	s_delay_alu instid0(VALU_DEP_2) | instskip(NEXT) | instid1(VALU_DEP_2)
	v_add_co_u32 v24, vcc_lo, v24, v197
	v_add_co_ci_u32_e32 v25, vcc_lo, 0, v25, vcc_lo
	v_add_co_u32 v26, vcc_lo, s3, v69
	v_add_co_ci_u32_e32 v27, vcc_lo, s4, v70, vcc_lo
	s_delay_alu instid0(VALU_DEP_2) | instskip(NEXT) | instid1(VALU_DEP_2)
	v_add_co_u32 v28, vcc_lo, v26, v197
	v_add_co_ci_u32_e32 v29, vcc_lo, 0, v27, vcc_lo
	s_clause 0x1
	global_load_b128 v[24:27], v[24:25], off
	global_load_b128 v[28:31], v[28:29], off
	s_waitcnt vmcnt(1)
	ds_store_b128 v147, v[24:27]
	s_waitcnt vmcnt(0)
	ds_store_b128 v202, v[28:31]
	v_add_co_u32 v24, vcc_lo, s3, v71
	v_add_co_ci_u32_e32 v25, vcc_lo, s4, v72, vcc_lo
	s_delay_alu instid0(VALU_DEP_2) | instskip(NEXT) | instid1(VALU_DEP_2)
	v_add_co_u32 v24, vcc_lo, v24, v197
	v_add_co_ci_u32_e32 v25, vcc_lo, 0, v25, vcc_lo
	v_add_co_u32 v26, vcc_lo, s3, v73
	v_add_co_ci_u32_e32 v27, vcc_lo, s4, v74, vcc_lo
	v_cmp_eq_u32_e64 s4, 0, v142
	s_delay_alu instid0(VALU_DEP_3) | instskip(NEXT) | instid1(VALU_DEP_3)
	v_add_co_u32 v28, vcc_lo, v26, v197
	v_add_co_ci_u32_e32 v29, vcc_lo, 0, v27, vcc_lo
	s_clause 0x1
	global_load_b128 v[24:27], v[24:25], off
	global_load_b128 v[28:31], v[28:29], off
	s_waitcnt vmcnt(1)
	ds_store_b128 v203, v[24:27]
	s_waitcnt vmcnt(0)
	ds_store_b128 v204, v[28:31]
	v_mul_f32_e32 v24, 0x3fb8aa3b, v17
	v_cmp_ngt_f32_e32 vcc_lo, 0xc2ce8ed0, v17
	v_add_nc_u32_e32 v31, 0x400, v150
	s_waitcnt lgkmcnt(0)
	s_barrier
	v_fma_f32 v25, 0x3fb8aa3b, v17, -v24
	v_rndne_f32_e32 v26, v24
	buffer_gl0_inv
	ds_load_2addr_b32 v[32:33], v150 offset1:16
	ds_load_2addr_b32 v[34:35], v150 offset0:36 offset1:52
	ds_load_2addr_b32 v[36:37], v150 offset0:72 offset1:88
	;; [unrolled: 1-line block ×4, first 2 shown]
	v_dual_fmac_f32 v25, 0x32a5705f, v17 :: v_dual_sub_f32 v24, v24, v26
	v_cvt_i32_f32_e32 v26, v26
	ds_load_2addr_b32 v[40:41], v150 offset0:196 offset1:216
	ds_load_2addr_b32 v[42:43], v150 offset0:232 offset1:252
	;; [unrolled: 1-line block ×6, first 2 shown]
	v_dual_add_f32 v24, v24, v25 :: v_dual_mul_f32 v25, 0x3fb8aa3b, v16
	ds_load_2addr_b32 v[54:55], v31 offset0:176 offset1:212
	ds_load_2addr_b32 v[56:57], v31 offset0:228 offset1:248
	;; [unrolled: 1-line block ×3, first 2 shown]
	v_exp_f32_e32 v24, v24
	v_fma_f32 v27, 0x3fb8aa3b, v16, -v25
	v_rndne_f32_e32 v28, v25
	s_delay_alu instid0(VALU_DEP_1) | instskip(NEXT) | instid1(VALU_DEP_3)
	v_sub_f32_e32 v25, v25, v28
	v_fmac_f32_e32 v27, 0x32a5705f, v16
	v_cmp_ngt_f32_e64 s3, 0xc2ce8ed0, v16
	s_waitcnt_depctr 0xfff
	v_ldexp_f32 v24, v24, v26
	v_cvt_i32_f32_e32 v26, v28
	v_add_f32_e32 v25, v25, v27
	s_waitcnt lgkmcnt(3)
	v_perm_b32 v29, v52, v50, 0x5040100
	v_cndmask_b32_e32 v24, 0, v24, vcc_lo
	v_cmp_nlt_f32_e32 vcc_lo, 0x42b17218, v17
	s_waitcnt lgkmcnt(2)
	v_perm_b32 v30, v55, v54, 0x5040100
	v_exp_f32_e32 v25, v25
	s_waitcnt lgkmcnt(0)
	v_perm_b32 v31, v59, v57, 0x5040100
	v_cndmask_b32_e32 v103, 0x7f800000, v24, vcc_lo
	v_cmp_eq_u32_e32 vcc_lo, 1, v201
	v_sub_f32_e32 v23, v23, v61
	ds_bpermute_b32 v24, v60, v103
	v_ldexp_f32 v25, v25, v26
	s_delay_alu instid0(VALU_DEP_1) | instskip(SKIP_1) | instid1(VALU_DEP_1)
	v_cndmask_b32_e64 v17, 0, v25, s3
	v_cmp_nlt_f32_e64 s3, 0x42b17218, v16
	v_cndmask_b32_e64 v102, 0x7f800000, v17, s3
	v_cmp_eq_u32_e64 s3, 0, v201
	ds_bpermute_b32 v16, v60, v102
	s_waitcnt lgkmcnt(0)
	v_cndmask_b32_e32 v17, v102, v16, vcc_lo
	v_cndmask_b32_e64 v16, v102, v16, s3
	s_delay_alu instid0(VALU_DEP_2) | instskip(NEXT) | instid1(VALU_DEP_2)
	v_cndmask_b32_e64 v26, v17, v103, s5
	v_cndmask_b32_e64 v25, v16, v103, s4
	v_cvt_f16_f32_e32 v16, v16
	v_cvt_f16_f32_e32 v17, v17
	s_delay_alu instid0(VALU_DEP_3) | instskip(SKIP_1) | instid1(VALU_DEP_3)
	v_cndmask_b32_e64 v25, v25, v24, s3
	v_cndmask_b32_e32 v24, v26, v24, vcc_lo
	v_pack_b32_f16 v16, v16, v17
	s_delay_alu instid0(VALU_DEP_3) | instskip(NEXT) | instid1(VALU_DEP_3)
	v_cvt_f16_f32_e32 v26, v25
	v_cvt_f16_f32_e32 v27, v24
	s_delay_alu instid0(VALU_DEP_1) | instskip(SKIP_1) | instid1(VALU_DEP_1)
	v_pack_b32_f16 v17, v26, v27
	v_mul_f32_e32 v26, 0x3fb8aa3b, v18
	v_fma_f32 v27, 0x3fb8aa3b, v18, -v26
	v_rndne_f32_e32 v28, v26
	s_delay_alu instid0(VALU_DEP_1) | instskip(NEXT) | instid1(VALU_DEP_1)
	v_dual_fmac_f32 v27, 0x32a5705f, v18 :: v_dual_sub_f32 v26, v26, v28
	v_add_f32_e32 v26, v26, v27
	v_cvt_i32_f32_e32 v27, v28
	s_delay_alu instid0(VALU_DEP_2) | instskip(SKIP_2) | instid1(VALU_DEP_1)
	v_exp_f32_e32 v26, v26
	s_waitcnt_depctr 0xfff
	v_ldexp_f32 v26, v26, v27
	v_cndmask_b32_e64 v26, 0, v26, s6
	v_cmp_nlt_f32_e64 s6, 0x42b17218, v18
	s_delay_alu instid0(VALU_DEP_1) | instskip(SKIP_1) | instid1(VALU_DEP_2)
	v_cndmask_b32_e64 v104, 0x7f800000, v26, s6
	v_cmp_ngt_f32_e64 s6, 0xc2ce8ed0, v19
	v_cndmask_b32_e64 v18, v25, v104, s4
	ds_bpermute_b32 v25, v60, v104
	v_cndmask_b32_e64 v24, v24, v104, s5
	s_waitcnt lgkmcnt(0)
	v_cndmask_b32_e64 v26, v18, v25, s3
	s_delay_alu instid0(VALU_DEP_2) | instskip(NEXT) | instid1(VALU_DEP_2)
	v_cndmask_b32_e32 v24, v24, v25, vcc_lo
	v_cvt_f16_f32_e32 v18, v26
	s_delay_alu instid0(VALU_DEP_2) | instskip(NEXT) | instid1(VALU_DEP_1)
	v_cvt_f16_f32_e32 v25, v24
	v_pack_b32_f16 v18, v18, v25
	v_mul_f32_e32 v25, 0x3fb8aa3b, v19
	s_delay_alu instid0(VALU_DEP_1) | instskip(SKIP_1) | instid1(VALU_DEP_2)
	v_fma_f32 v27, 0x3fb8aa3b, v19, -v25
	v_rndne_f32_e32 v28, v25
	v_fmac_f32_e32 v27, 0x32a5705f, v19
	s_delay_alu instid0(VALU_DEP_2) | instskip(NEXT) | instid1(VALU_DEP_1)
	v_sub_f32_e32 v25, v25, v28
	v_add_f32_e32 v25, v25, v27
	v_cvt_i32_f32_e32 v27, v28
	s_delay_alu instid0(VALU_DEP_2) | instskip(SKIP_2) | instid1(VALU_DEP_1)
	v_exp_f32_e32 v25, v25
	s_waitcnt_depctr 0xfff
	v_ldexp_f32 v25, v25, v27
	v_cndmask_b32_e64 v25, 0, v25, s6
	v_cmp_nlt_f32_e64 s6, 0x42b17218, v19
	s_delay_alu instid0(VALU_DEP_1)
	v_cndmask_b32_e64 v105, 0x7f800000, v25, s6
	v_cmp_ngt_f32_e64 s6, 0xc2ce8ed0, v20
	ds_bpermute_b32 v25, v60, v105
	v_cndmask_b32_e64 v19, v26, v105, s4
	v_cndmask_b32_e64 v24, v24, v105, s5
	s_waitcnt lgkmcnt(0)
	s_delay_alu instid0(VALU_DEP_2) | instskip(NEXT) | instid1(VALU_DEP_2)
	v_cndmask_b32_e64 v26, v19, v25, s3
	v_cndmask_b32_e32 v24, v24, v25, vcc_lo
	s_delay_alu instid0(VALU_DEP_2) | instskip(NEXT) | instid1(VALU_DEP_2)
	v_cvt_f16_f32_e32 v19, v26
	v_cvt_f16_f32_e32 v25, v24
	s_delay_alu instid0(VALU_DEP_1) | instskip(SKIP_1) | instid1(VALU_DEP_1)
	v_pack_b32_f16 v19, v19, v25
	v_mul_f32_e32 v25, 0x3fb8aa3b, v20
	v_fma_f32 v27, 0x3fb8aa3b, v20, -v25
	v_rndne_f32_e32 v28, v25
	s_delay_alu instid0(VALU_DEP_2) | instskip(NEXT) | instid1(VALU_DEP_2)
	v_fmac_f32_e32 v27, 0x32a5705f, v20
	v_sub_f32_e32 v25, v25, v28
	s_delay_alu instid0(VALU_DEP_1) | instskip(SKIP_1) | instid1(VALU_DEP_2)
	v_add_f32_e32 v25, v25, v27
	v_cvt_i32_f32_e32 v27, v28
	v_exp_f32_e32 v25, v25
	s_waitcnt_depctr 0xfff
	v_ldexp_f32 v25, v25, v27
	s_delay_alu instid0(VALU_DEP_1) | instskip(SKIP_1) | instid1(VALU_DEP_1)
	v_cndmask_b32_e64 v25, 0, v25, s6
	v_cmp_nlt_f32_e64 s6, 0x42b17218, v20
	v_cndmask_b32_e64 v106, 0x7f800000, v25, s6
	v_cmp_ngt_f32_e64 s6, 0xc2ce8ed0, v21
	ds_bpermute_b32 v25, v60, v106
	v_cndmask_b32_e64 v20, v26, v106, s4
	v_cndmask_b32_e64 v24, v24, v106, s5
	s_waitcnt lgkmcnt(0)
	s_delay_alu instid0(VALU_DEP_2) | instskip(NEXT) | instid1(VALU_DEP_2)
	v_cndmask_b32_e64 v26, v20, v25, s3
	v_cndmask_b32_e32 v24, v24, v25, vcc_lo
	s_delay_alu instid0(VALU_DEP_2) | instskip(NEXT) | instid1(VALU_DEP_2)
	v_cvt_f16_f32_e32 v20, v26
	v_cvt_f16_f32_e32 v25, v24
	s_delay_alu instid0(VALU_DEP_1) | instskip(SKIP_1) | instid1(VALU_DEP_1)
	v_pack_b32_f16 v20, v20, v25
	v_mul_f32_e32 v25, 0x3fb8aa3b, v21
	v_fma_f32 v27, 0x3fb8aa3b, v21, -v25
	v_rndne_f32_e32 v28, v25
	s_delay_alu instid0(VALU_DEP_2) | instskip(NEXT) | instid1(VALU_DEP_2)
	v_fmac_f32_e32 v27, 0x32a5705f, v21
	v_sub_f32_e32 v25, v25, v28
	s_delay_alu instid0(VALU_DEP_1) | instskip(SKIP_1) | instid1(VALU_DEP_2)
	v_add_f32_e32 v25, v25, v27
	v_cvt_i32_f32_e32 v27, v28
	v_exp_f32_e32 v25, v25
	s_waitcnt_depctr 0xfff
	v_ldexp_f32 v25, v25, v27
	s_delay_alu instid0(VALU_DEP_1) | instskip(SKIP_1) | instid1(VALU_DEP_1)
	v_cndmask_b32_e64 v25, 0, v25, s6
	v_cmp_nlt_f32_e64 s6, 0x42b17218, v21
	;; [unrolled: 29-line block ×3, first 2 shown]
	v_cndmask_b32_e64 v108, 0x7f800000, v25, s6
	v_cmp_ngt_f32_e64 s6, 0xc2ce8ed0, v23
	ds_bpermute_b32 v25, v60, v108
	v_cndmask_b32_e64 v22, v26, v108, s4
	v_cndmask_b32_e64 v24, v24, v108, s5
	s_waitcnt lgkmcnt(0)
	s_delay_alu instid0(VALU_DEP_2) | instskip(NEXT) | instid1(VALU_DEP_2)
	v_cndmask_b32_e64 v26, v22, v25, s3
	v_cndmask_b32_e32 v24, v24, v25, vcc_lo
	s_delay_alu instid0(VALU_DEP_2) | instskip(NEXT) | instid1(VALU_DEP_2)
	v_cvt_f16_f32_e32 v22, v26
	v_cvt_f16_f32_e32 v25, v24
	s_delay_alu instid0(VALU_DEP_1) | instskip(SKIP_1) | instid1(VALU_DEP_1)
	v_pack_b32_f16 v22, v22, v25
	v_mul_f32_e32 v25, 0x3fb8aa3b, v23
	v_fma_f32 v27, 0x3fb8aa3b, v23, -v25
	v_rndne_f32_e32 v28, v25
	s_delay_alu instid0(VALU_DEP_2) | instskip(NEXT) | instid1(VALU_DEP_2)
	v_fmac_f32_e32 v27, 0x32a5705f, v23
	v_sub_f32_e32 v25, v25, v28
	s_delay_alu instid0(VALU_DEP_1) | instskip(SKIP_2) | instid1(VALU_DEP_3)
	v_add_f32_e32 v25, v25, v27
	v_cvt_i32_f32_e32 v27, v28
	v_perm_b32 v28, v46, v49, 0x5040100
	v_exp_f32_e32 v25, v25
	s_waitcnt_depctr 0xfff
	v_ldexp_f32 v25, v25, v27
	v_perm_b32 v27, v43, v41, 0x5040100
	s_delay_alu instid0(VALU_DEP_2) | instskip(SKIP_1) | instid1(VALU_DEP_1)
	v_cndmask_b32_e64 v25, 0, v25, s6
	v_cmp_nlt_f32_e64 s6, 0x42b17218, v23
	v_cndmask_b32_e64 v109, 0x7f800000, v25, s6
	ds_bpermute_b32 v25, v60, v109
	v_cndmask_b32_e64 v23, v26, v109, s4
	v_cndmask_b32_e64 v24, v24, v109, s5
	v_perm_b32 v26, v45, v44, 0x5040100
	s_waitcnt lgkmcnt(0)
	s_delay_alu instid0(VALU_DEP_3) | instskip(NEXT) | instid1(VALU_DEP_3)
	v_cndmask_b32_e64 v23, v23, v25, s3
	v_cndmask_b32_e32 v24, v24, v25, vcc_lo
	v_perm_b32 v25, v38, v36, 0x5040100
	s_delay_alu instid0(VALU_DEP_3) | instskip(NEXT) | instid1(VALU_DEP_3)
	v_cvt_f16_f32_e32 v23, v23
	v_cvt_f16_f32_e32 v24, v24
	s_delay_alu instid0(VALU_DEP_1) | instskip(SKIP_1) | instid1(VALU_DEP_1)
	v_pack_b32_f16 v23, v23, v24
	v_perm_b32 v24, v34, v32, 0x5040100
	v_wmma_f16_16x16x16_f16 v[0:7], v[24:31], v[16:23], v[0:7]
	v_add_nc_u32_e32 v26, 0x200, v207
	v_perm_b32 v24, v35, v33, 0x5040100
	v_perm_b32 v25, v39, v37, 0x5040100
	;; [unrolled: 1-line block ×4, first 2 shown]
	ds_load_2addr_b32 v[87:88], v26 offset0:16 offset1:160
	ds_load_b32 v89, v207 offset:1728
	ds_load_b32 v90, v207 offset:6768
	;; [unrolled: 1-line block ×5, first 2 shown]
	s_waitcnt lgkmcnt(4)
	v_perm_b32 v30, v56, v89, 0x5040100
	v_perm_b32 v26, v40, v87, 0x5040100
	;; [unrolled: 1-line block ×3, first 2 shown]
	s_waitcnt lgkmcnt(1)
	v_perm_b32 v31, v111, v58, 0x5040100
	s_delay_alu instid0(VALU_DEP_1)
	v_wmma_f16_16x16x16_f16 v[8:15], v[24:31], v[16:23], v[8:15]
	v_perm_b32 v26, v45, v44, 0x7060302
	v_perm_b32 v30, v55, v54, 0x7060302
	v_perm_b32 v24, v34, v32, 0x7060302
	v_perm_b32 v25, v38, v36, 0x7060302
	v_perm_b32 v27, v43, v41, 0x7060302
	v_perm_b32 v28, v46, v49, 0x7060302
	v_perm_b32 v29, v52, v50, 0x7060302
	v_perm_b32 v31, v59, v57, 0x7060302
	s_delay_alu instid0(VALU_DEP_1)
	v_wmma_f16_16x16x16_f16 v[0:7], v[24:31], v[16:23], v[0:7] op_sel:[0,0,1]
	v_perm_b32 v24, v35, v33, 0x7060302
	v_perm_b32 v25, v39, v37, 0x7060302
	;; [unrolled: 1-line block ×8, first 2 shown]
	s_delay_alu instid0(VALU_DEP_1) | instskip(SKIP_2) | instid1(VALU_DEP_2)
	v_wmma_f16_16x16x16_f16 v[8:15], v[24:31], v[16:23], v[8:15] op_sel:[0,0,1]
	v_sub_f32_e32 v16, v100, v61
	v_add_nc_u32_e32 v30, 0x1800, v150
	v_mul_f32_e32 v17, 0x3fb8aa3b, v16
	v_cmp_ngt_f32_e64 s6, 0xc2ce8ed0, v16
	s_delay_alu instid0(VALU_DEP_2) | instskip(SKIP_1) | instid1(VALU_DEP_1)
	v_fma_f32 v18, 0x3fb8aa3b, v16, -v17
	v_rndne_f32_e32 v19, v17
	v_dual_fmac_f32 v18, 0x32a5705f, v16 :: v_dual_sub_f32 v17, v17, v19
	v_cvt_i32_f32_e32 v19, v19
	s_delay_alu instid0(VALU_DEP_2) | instskip(NEXT) | instid1(VALU_DEP_1)
	v_dual_add_f32 v17, v17, v18 :: v_dual_sub_f32 v18, v99, v61
	v_exp_f32_e32 v17, v17
	s_delay_alu instid0(VALU_DEP_1) | instskip(SKIP_1) | instid1(VALU_DEP_2)
	v_mul_f32_e32 v20, 0x3fb8aa3b, v18
	v_cmp_ngt_f32_e64 s7, 0xc2ce8ed0, v18
	v_fma_f32 v21, 0x3fb8aa3b, v18, -v20
	v_rndne_f32_e32 v22, v20
	s_waitcnt_depctr 0xfff
	v_ldexp_f32 v17, v17, v19
	v_fmac_f32_e32 v21, 0x32a5705f, v18
	v_sub_f32_e32 v20, v20, v22
	s_delay_alu instid0(VALU_DEP_3) | instskip(SKIP_1) | instid1(VALU_DEP_3)
	v_cndmask_b32_e64 v17, 0, v17, s6
	v_cmp_nlt_f32_e64 s6, 0x42b17218, v16
	v_add_f32_e32 v20, v20, v21
	s_delay_alu instid0(VALU_DEP_2) | instskip(NEXT) | instid1(VALU_DEP_2)
	v_cndmask_b32_e64 v47, 0x7f800000, v17, s6
	v_exp_f32_e32 v19, v20
	v_cvt_i32_f32_e32 v20, v22
	v_add_nc_u32_e32 v29, 0x1600, v150
	s_waitcnt_depctr 0xfff
	v_ldexp_f32 v19, v19, v20
	s_delay_alu instid0(VALU_DEP_1)
	v_cndmask_b32_e64 v16, 0, v19, s7
	v_cmp_nlt_f32_e64 s7, 0x42b17218, v18
	ds_bpermute_b32 v18, v60, v47
	v_cndmask_b32_e64 v46, 0x7f800000, v16, s7
	ds_bpermute_b32 v16, v60, v46
	s_waitcnt lgkmcnt(0)
	v_cndmask_b32_e32 v17, v46, v16, vcc_lo
	v_cndmask_b32_e64 v16, v46, v16, s3
	s_delay_alu instid0(VALU_DEP_2) | instskip(NEXT) | instid1(VALU_DEP_2)
	v_cndmask_b32_e64 v20, v17, v47, s5
	v_cndmask_b32_e64 v19, v16, v47, s4
	v_cvt_f16_f32_e32 v16, v16
	v_cvt_f16_f32_e32 v17, v17
	s_delay_alu instid0(VALU_DEP_3) | instskip(SKIP_1) | instid1(VALU_DEP_3)
	v_cndmask_b32_e64 v19, v19, v18, s3
	v_cndmask_b32_e32 v18, v20, v18, vcc_lo
	v_pack_b32_f16 v16, v16, v17
	s_delay_alu instid0(VALU_DEP_3) | instskip(NEXT) | instid1(VALU_DEP_3)
	v_cvt_f16_f32_e32 v20, v19
	v_cvt_f16_f32_e32 v21, v18
	s_delay_alu instid0(VALU_DEP_1) | instskip(SKIP_1) | instid1(VALU_DEP_1)
	v_pack_b32_f16 v17, v20, v21
	v_sub_f32_e32 v20, v98, v61
	v_mul_f32_e32 v21, 0x3fb8aa3b, v20
	v_cmp_ngt_f32_e64 s6, 0xc2ce8ed0, v20
	s_delay_alu instid0(VALU_DEP_2) | instskip(SKIP_1) | instid1(VALU_DEP_1)
	v_fma_f32 v22, 0x3fb8aa3b, v20, -v21
	v_rndne_f32_e32 v23, v21
	v_dual_fmac_f32 v22, 0x32a5705f, v20 :: v_dual_sub_f32 v21, v21, v23
	s_delay_alu instid0(VALU_DEP_1) | instskip(SKIP_1) | instid1(VALU_DEP_2)
	v_add_f32_e32 v21, v21, v22
	v_cvt_i32_f32_e32 v22, v23
	v_exp_f32_e32 v21, v21
	s_waitcnt_depctr 0xfff
	v_ldexp_f32 v21, v21, v22
	s_delay_alu instid0(VALU_DEP_1) | instskip(SKIP_1) | instid1(VALU_DEP_1)
	v_cndmask_b32_e64 v21, 0, v21, s6
	v_cmp_nlt_f32_e64 s6, 0x42b17218, v20
	v_cndmask_b32_e64 v48, 0x7f800000, v21, s6
	ds_bpermute_b32 v20, v60, v48
	v_cndmask_b32_e64 v19, v19, v48, s4
	v_cndmask_b32_e64 v18, v18, v48, s5
	s_waitcnt lgkmcnt(0)
	s_delay_alu instid0(VALU_DEP_2) | instskip(NEXT) | instid1(VALU_DEP_2)
	v_cndmask_b32_e64 v19, v19, v20, s3
	v_cndmask_b32_e32 v20, v18, v20, vcc_lo
	s_delay_alu instid0(VALU_DEP_2) | instskip(NEXT) | instid1(VALU_DEP_2)
	v_cvt_f16_f32_e32 v18, v19
	v_cvt_f16_f32_e32 v21, v20
	s_delay_alu instid0(VALU_DEP_1) | instskip(SKIP_1) | instid1(VALU_DEP_1)
	v_pack_b32_f16 v18, v18, v21
	v_sub_f32_e32 v21, v97, v61
	v_mul_f32_e32 v22, 0x3fb8aa3b, v21
	v_cmp_ngt_f32_e64 s6, 0xc2ce8ed0, v21
	s_delay_alu instid0(VALU_DEP_2) | instskip(SKIP_1) | instid1(VALU_DEP_1)
	v_fma_f32 v23, 0x3fb8aa3b, v21, -v22
	v_rndne_f32_e32 v24, v22
	v_dual_fmac_f32 v23, 0x32a5705f, v21 :: v_dual_sub_f32 v22, v22, v24
	s_delay_alu instid0(VALU_DEP_1) | instskip(SKIP_1) | instid1(VALU_DEP_2)
	v_add_f32_e32 v22, v22, v23
	v_cvt_i32_f32_e32 v23, v24
	v_exp_f32_e32 v22, v22
	s_waitcnt_depctr 0xfff
	v_ldexp_f32 v22, v22, v23
	s_delay_alu instid0(VALU_DEP_1) | instskip(SKIP_1) | instid1(VALU_DEP_1)
	v_cndmask_b32_e64 v22, 0, v22, s6
	v_cmp_nlt_f32_e64 s6, 0x42b17218, v21
	v_cndmask_b32_e64 v49, 0x7f800000, v22, s6
	ds_bpermute_b32 v21, v60, v49
	v_cndmask_b32_e64 v19, v19, v49, s4
	v_cndmask_b32_e64 v20, v20, v49, s5
	s_waitcnt lgkmcnt(0)
	s_delay_alu instid0(VALU_DEP_2) | instskip(NEXT) | instid1(VALU_DEP_2)
	v_cndmask_b32_e64 v22, v19, v21, s3
	v_cndmask_b32_e32 v20, v20, v21, vcc_lo
	s_delay_alu instid0(VALU_DEP_2) | instskip(NEXT) | instid1(VALU_DEP_2)
	v_cvt_f16_f32_e32 v19, v22
	v_cvt_f16_f32_e32 v21, v20
	s_delay_alu instid0(VALU_DEP_1) | instskip(SKIP_1) | instid1(VALU_DEP_1)
	v_pack_b32_f16 v19, v19, v21
	v_sub_f32_e32 v21, v96, v61
	v_mul_f32_e32 v23, 0x3fb8aa3b, v21
	v_cmp_ngt_f32_e64 s6, 0xc2ce8ed0, v21
	s_delay_alu instid0(VALU_DEP_2) | instskip(SKIP_1) | instid1(VALU_DEP_2)
	v_fma_f32 v24, 0x3fb8aa3b, v21, -v23
	v_rndne_f32_e32 v25, v23
	v_fmac_f32_e32 v24, 0x32a5705f, v21
	s_delay_alu instid0(VALU_DEP_2) | instskip(NEXT) | instid1(VALU_DEP_1)
	v_sub_f32_e32 v23, v23, v25
	v_add_f32_e32 v23, v23, v24
	v_cvt_i32_f32_e32 v24, v25
	s_delay_alu instid0(VALU_DEP_2) | instskip(SKIP_2) | instid1(VALU_DEP_1)
	v_exp_f32_e32 v23, v23
	s_waitcnt_depctr 0xfff
	v_ldexp_f32 v23, v23, v24
	v_cndmask_b32_e64 v23, 0, v23, s6
	v_cmp_nlt_f32_e64 s6, 0x42b17218, v21
	s_delay_alu instid0(VALU_DEP_1) | instskip(NEXT) | instid1(VALU_DEP_1)
	v_cndmask_b32_e64 v50, 0x7f800000, v23, s6
	v_cndmask_b32_e64 v21, v22, v50, s4
	ds_bpermute_b32 v22, v60, v50
	v_cndmask_b32_e64 v20, v20, v50, s5
	s_waitcnt lgkmcnt(0)
	v_cndmask_b32_e64 v21, v21, v22, s3
	s_delay_alu instid0(VALU_DEP_2) | instskip(NEXT) | instid1(VALU_DEP_2)
	v_cndmask_b32_e32 v22, v20, v22, vcc_lo
	v_cvt_f16_f32_e32 v20, v21
	s_delay_alu instid0(VALU_DEP_2) | instskip(NEXT) | instid1(VALU_DEP_1)
	v_cvt_f16_f32_e32 v23, v22
	v_pack_b32_f16 v20, v20, v23
	v_sub_f32_e32 v23, v95, v61
	s_delay_alu instid0(VALU_DEP_1) | instskip(SKIP_1) | instid1(VALU_DEP_2)
	v_mul_f32_e32 v24, 0x3fb8aa3b, v23
	v_cmp_ngt_f32_e64 s6, 0xc2ce8ed0, v23
	v_fma_f32 v25, 0x3fb8aa3b, v23, -v24
	v_rndne_f32_e32 v26, v24
	s_delay_alu instid0(VALU_DEP_1) | instskip(NEXT) | instid1(VALU_DEP_1)
	v_dual_fmac_f32 v25, 0x32a5705f, v23 :: v_dual_sub_f32 v24, v24, v26
	v_add_f32_e32 v24, v24, v25
	v_cvt_i32_f32_e32 v25, v26
	s_delay_alu instid0(VALU_DEP_2) | instskip(SKIP_2) | instid1(VALU_DEP_1)
	v_exp_f32_e32 v24, v24
	s_waitcnt_depctr 0xfff
	v_ldexp_f32 v24, v24, v25
	v_cndmask_b32_e64 v24, 0, v24, s6
	v_cmp_nlt_f32_e64 s6, 0x42b17218, v23
	s_delay_alu instid0(VALU_DEP_1) | instskip(SKIP_4) | instid1(VALU_DEP_2)
	v_cndmask_b32_e64 v51, 0x7f800000, v24, s6
	ds_bpermute_b32 v23, v60, v51
	v_cndmask_b32_e64 v21, v21, v51, s4
	v_cndmask_b32_e64 v22, v22, v51, s5
	s_waitcnt lgkmcnt(0)
	v_cndmask_b32_e64 v24, v21, v23, s3
	s_delay_alu instid0(VALU_DEP_2) | instskip(NEXT) | instid1(VALU_DEP_2)
	v_cndmask_b32_e32 v22, v22, v23, vcc_lo
	v_cvt_f16_f32_e32 v21, v24
	s_delay_alu instid0(VALU_DEP_2) | instskip(NEXT) | instid1(VALU_DEP_1)
	v_cvt_f16_f32_e32 v23, v22
	v_pack_b32_f16 v21, v21, v23
	v_sub_f32_e32 v23, v63, v61
	s_delay_alu instid0(VALU_DEP_1) | instskip(SKIP_1) | instid1(VALU_DEP_2)
	v_mul_f32_e32 v25, 0x3fb8aa3b, v23
	v_cmp_ngt_f32_e64 s6, 0xc2ce8ed0, v23
	v_fma_f32 v26, 0x3fb8aa3b, v23, -v25
	v_rndne_f32_e32 v27, v25
	s_delay_alu instid0(VALU_DEP_2) | instskip(NEXT) | instid1(VALU_DEP_2)
	v_fmac_f32_e32 v26, 0x32a5705f, v23
	v_sub_f32_e32 v25, v25, v27
	s_delay_alu instid0(VALU_DEP_1) | instskip(SKIP_1) | instid1(VALU_DEP_2)
	v_add_f32_e32 v25, v25, v26
	v_cvt_i32_f32_e32 v26, v27
	v_exp_f32_e32 v25, v25
	s_waitcnt_depctr 0xfff
	v_ldexp_f32 v25, v25, v26
	s_delay_alu instid0(VALU_DEP_1) | instskip(SKIP_1) | instid1(VALU_DEP_1)
	v_cndmask_b32_e64 v25, 0, v25, s6
	v_cmp_nlt_f32_e64 s6, 0x42b17218, v23
	v_cndmask_b32_e64 v52, 0x7f800000, v25, s6
	s_delay_alu instid0(VALU_DEP_1) | instskip(SKIP_4) | instid1(VALU_DEP_2)
	v_cndmask_b32_e64 v23, v24, v52, s4
	ds_bpermute_b32 v24, v60, v52
	v_cndmask_b32_e64 v22, v22, v52, s5
	s_waitcnt lgkmcnt(0)
	v_cndmask_b32_e64 v23, v23, v24, s3
	v_cndmask_b32_e32 v24, v22, v24, vcc_lo
	s_delay_alu instid0(VALU_DEP_2) | instskip(NEXT) | instid1(VALU_DEP_2)
	v_cvt_f16_f32_e32 v22, v23
	v_cvt_f16_f32_e32 v25, v24
	s_delay_alu instid0(VALU_DEP_1) | instskip(SKIP_1) | instid1(VALU_DEP_1)
	v_pack_b32_f16 v22, v22, v25
	v_sub_f32_e32 v25, v62, v61
	v_mul_f32_e32 v26, 0x3fb8aa3b, v25
	v_cmp_ngt_f32_e64 s6, 0xc2ce8ed0, v25
	s_delay_alu instid0(VALU_DEP_2) | instskip(SKIP_1) | instid1(VALU_DEP_1)
	v_fma_f32 v27, 0x3fb8aa3b, v25, -v26
	v_rndne_f32_e32 v28, v26
	v_dual_fmac_f32 v27, 0x32a5705f, v25 :: v_dual_sub_f32 v26, v26, v28
	s_delay_alu instid0(VALU_DEP_1) | instskip(SKIP_1) | instid1(VALU_DEP_2)
	v_add_f32_e32 v26, v26, v27
	v_cvt_i32_f32_e32 v27, v28
	v_exp_f32_e32 v26, v26
	s_waitcnt_depctr 0xfff
	v_ldexp_f32 v26, v26, v27
	v_add_nc_u32_e32 v27, 0x1400, v150
	s_delay_alu instid0(VALU_DEP_2) | instskip(SKIP_1) | instid1(VALU_DEP_1)
	v_cndmask_b32_e64 v26, 0, v26, s6
	v_cmp_nlt_f32_e64 s6, 0x42b17218, v25
	v_cndmask_b32_e64 v53, 0x7f800000, v26, s6
	v_add_nc_u32_e32 v26, 0x200, v206
	ds_bpermute_b32 v25, v60, v53
	v_cndmask_b32_e64 v23, v23, v53, s4
	v_cndmask_b32_e64 v24, v24, v53, s5
	s_waitcnt lgkmcnt(0)
	s_delay_alu instid0(VALU_DEP_2) | instskip(NEXT) | instid1(VALU_DEP_2)
	v_cndmask_b32_e64 v23, v23, v25, s3
	v_cndmask_b32_e32 v24, v24, v25, vcc_lo
	s_cselect_b32 s3, -1, 0
	s_delay_alu instid0(SALU_CYCLE_1) | instskip(NEXT) | instid1(VALU_DEP_2)
	s_and_b32 s4, s0, s3
	v_cvt_f16_f32_e32 v23, v23
	s_delay_alu instid0(VALU_DEP_2) | instskip(NEXT) | instid1(VALU_DEP_1)
	v_cvt_f16_f32_e32 v24, v24
	v_pack_b32_f16 v23, v23, v24
	v_add_nc_u32_e32 v24, 0x1000, v150
	ds_load_2addr_b32 v[32:33], v24 offset0:128 offset1:164
	ds_load_2addr_b32 v[34:35], v24 offset0:200 offset1:236
	;; [unrolled: 1-line block ×7, first 2 shown]
	s_waitcnt lgkmcnt(6)
	v_perm_b32 v24, v33, v32, 0x5040100
	s_waitcnt lgkmcnt(5)
	v_perm_b32 v25, v35, v34, 0x5040100
	;; [unrolled: 2-line block ×4, first 2 shown]
	v_perm_b32 v28, v41, v37, 0x5040100
	s_waitcnt lgkmcnt(1)
	v_perm_b32 v29, v43, v42, 0x5040100
	s_waitcnt lgkmcnt(0)
	v_perm_b32 v30, v44, v110, 0x5040100
	v_perm_b32 v31, v112, v45, 0x5040100
	s_delay_alu instid0(VALU_DEP_1)
	v_wmma_f16_16x16x16_f16 v[0:7], v[24:31], v[16:23], v[0:7]
	v_perm_b32 v26, v38, v36, 0x7060302
	v_perm_b32 v27, v40, v39, 0x7060302
	;; [unrolled: 1-line block ×8, first 2 shown]
	s_delay_alu instid0(VALU_DEP_1)
	v_wmma_f16_16x16x16_f16 v[0:7], v[24:31], v[16:23], v[0:7] op_sel:[0,0,1]
	v_add_nc_u32_e32 v24, 0x1000, v207
	v_add_nc_u32_e32 v26, 0x200, v151
	;; [unrolled: 1-line block ×5, first 2 shown]
	ds_load_2addr_b32 v[32:33], v24 offset0:128 offset1:164
	ds_load_2addr_b32 v[34:35], v24 offset0:200 offset1:236
	;; [unrolled: 1-line block ×6, first 2 shown]
	ds_load_b32 v54, v151 offset:1728
	ds_load_2addr_b32 v[44:45], v30 offset0:84 offset1:120
	s_waitcnt lgkmcnt(0)
	s_barrier
	buffer_gl0_inv
	v_perm_b32 v24, v33, v32, 0x5040100
	v_perm_b32 v25, v35, v34, 0x5040100
	;; [unrolled: 1-line block ×8, first 2 shown]
	s_delay_alu instid0(VALU_DEP_1)
	v_wmma_f16_16x16x16_f16 v[8:15], v[24:31], v[16:23], v[8:15]
	v_perm_b32 v26, v38, v36, 0x7060302
	v_perm_b32 v27, v40, v39, 0x7060302
	;; [unrolled: 1-line block ×8, first 2 shown]
	s_delay_alu instid0(VALU_DEP_1) | instskip(SKIP_1) | instid1(VALU_DEP_1)
	v_wmma_f16_16x16x16_f16 v[8:15], v[24:31], v[16:23], v[8:15] op_sel:[0,0,1]
	v_add_f32_e32 v16, v102, v103
	v_add_f32_e32 v16, v104, v16
	s_delay_alu instid0(VALU_DEP_1) | instskip(NEXT) | instid1(VALU_DEP_1)
	v_add_f32_e32 v16, v105, v16
	v_add_f32_e32 v16, v106, v16
	s_delay_alu instid0(VALU_DEP_1) | instskip(NEXT) | instid1(VALU_DEP_1)
	;; [unrolled: 3-line block ×7, first 2 shown]
	v_add_f32_e32 v16, v53, v16
	v_fmac_f32_e32 v16, v247, v101
	ds_bpermute_b32 v17, v60, v16
	s_waitcnt lgkmcnt(0)
	v_add_f32_e32 v16, v16, v17
	s_and_saveexec_b32 s3, s4
	s_cbranch_execz .LBB0_56
; %bb.55:                               ;   in Loop: Header=BB0_12 Depth=1
	v_dual_max_f32 v18, v61, v61 :: v_dual_lshlrev_b32 v17, 2, v208
	global_load_b32 v17, v17, s[76:77]
	s_waitcnt vmcnt(0)
	v_max_f32_e32 v19, v17, v17
	s_delay_alu instid0(VALU_DEP_1) | instskip(NEXT) | instid1(VALU_DEP_1)
	v_max_f32_e32 v18, v18, v19
	v_sub_f32_e32 v17, v17, v18
	s_delay_alu instid0(VALU_DEP_1) | instskip(SKIP_2) | instid1(VALU_DEP_3)
	v_mul_f32_e32 v23, 0x3fb8aa3b, v17
	v_sub_f32_e32 v19, v61, v18
	v_mov_b32_e32 v61, v18
	v_rndne_f32_e32 v25, v23
	s_delay_alu instid0(VALU_DEP_3) | instskip(NEXT) | instid1(VALU_DEP_1)
	v_mul_f32_e32 v20, 0x3fb8aa3b, v19
	v_fma_f32 v21, 0x3fb8aa3b, v19, -v20
	v_rndne_f32_e32 v22, v20
	s_delay_alu instid0(VALU_DEP_1) | instskip(SKIP_1) | instid1(VALU_DEP_2)
	v_dual_fmac_f32 v21, 0x32a5705f, v19 :: v_dual_sub_f32 v20, v20, v22
	v_cvt_i32_f32_e32 v22, v22
	v_add_f32_e32 v20, v20, v21
	v_cmp_ngt_f32_e32 vcc_lo, 0xc2ce8ed0, v19
	v_sub_f32_e32 v21, v23, v25
	s_delay_alu instid0(VALU_DEP_3) | instskip(SKIP_3) | instid1(VALU_DEP_2)
	v_exp_f32_e32 v20, v20
	s_waitcnt_depctr 0xfff
	v_ldexp_f32 v20, v20, v22
	v_cvt_i32_f32_e32 v22, v25
	v_cndmask_b32_e32 v20, 0, v20, vcc_lo
	v_fma_f32 v24, 0x3fb8aa3b, v17, -v23
	v_cmp_nlt_f32_e32 vcc_lo, 0x42b17218, v19
	s_delay_alu instid0(VALU_DEP_2) | instskip(NEXT) | instid1(VALU_DEP_4)
	v_fmac_f32_e32 v24, 0x32a5705f, v17
	v_cndmask_b32_e32 v20, 0x7f800000, v20, vcc_lo
	v_cmp_ngt_f32_e32 vcc_lo, 0xc2ce8ed0, v17
	s_delay_alu instid0(VALU_DEP_3) | instskip(NEXT) | instid1(VALU_DEP_1)
	v_add_f32_e32 v21, v21, v24
	v_exp_f32_e32 v21, v21
	s_waitcnt_depctr 0xfff
	v_ldexp_f32 v21, v21, v22
	s_delay_alu instid0(VALU_DEP_1) | instskip(SKIP_3) | instid1(VALU_DEP_2)
	v_cndmask_b32_e32 v21, 0, v21, vcc_lo
	v_cmp_le_f32_e32 vcc_lo, 0xc1a00000, v19
	v_cndmask_b32_e32 v19, 0, v20, vcc_lo
	v_cmp_nlt_f32_e32 vcc_lo, 0x42b17218, v17
	v_cvt_f16_f32_e32 v20, v19
	v_cndmask_b32_e32 v17, 0x7f800000, v21, vcc_lo
	s_delay_alu instid0(VALU_DEP_2) | instskip(NEXT) | instid1(VALU_DEP_2)
	v_pk_mul_f16 v0, v20, v0 op_sel_hi:[0,1]
	v_fmac_f32_e32 v17, v16, v19
	v_pk_mul_f16 v1, v20, v1 op_sel_hi:[0,1]
	v_pk_mul_f16 v2, v20, v2 op_sel_hi:[0,1]
	;; [unrolled: 1-line block ×4, first 2 shown]
	v_mov_b32_e32 v16, v17
	v_pk_mul_f16 v5, v20, v5 op_sel_hi:[0,1]
	v_pk_mul_f16 v6, v20, v6 op_sel_hi:[0,1]
	;; [unrolled: 1-line block ×11, first 2 shown]
.LBB0_56:                               ;   in Loop: Header=BB0_12 Depth=1
	s_or_b32 exec_lo, exec_lo, s3
	s_and_saveexec_b32 s3, s2
	s_cbranch_execz .LBB0_58
; %bb.57:                               ;   in Loop: Header=BB0_12 Depth=1
	v_add_nc_u32_e32 v17, 0, v153
	ds_store_2addr_b32 v17, v61, v16 offset0:32 offset1:33
.LBB0_58:                               ;   in Loop: Header=BB0_12 Depth=1
	s_or_b32 exec_lo, exec_lo, s3
	s_waitcnt lgkmcnt(0)
	s_barrier
	buffer_gl0_inv
	s_and_saveexec_b32 s3, s1
	s_delay_alu instid0(SALU_CYCLE_1)
	s_xor_b32 s3, exec_lo, s3
	s_cbranch_execz .LBB0_60
; %bb.59:                               ;   in Loop: Header=BB0_12 Depth=1
	s_barrier
	buffer_gl0_inv
                                        ; implicit-def: $vgpr60
.LBB0_60:                               ;   in Loop: Header=BB0_12 Depth=1
	s_and_not1_saveexec_b32 s3, s3
	s_cbranch_execz .LBB0_64
; %bb.61:                               ;   in Loop: Header=BB0_12 Depth=1
	v_add_nc_u32_e32 v20, 0, v154
	ds_load_b64 v[18:19], v20 offset:128
	s_waitcnt lgkmcnt(0)
	s_barrier
	buffer_gl0_inv
	ds_bpermute_b32 v16, v60, v18
	s_waitcnt lgkmcnt(0)
	v_dual_max_f32 v17, v18, v18 :: v_dual_max_f32 v16, v16, v16
	s_delay_alu instid0(VALU_DEP_1) | instskip(NEXT) | instid1(VALU_DEP_1)
	v_max_f32_e32 v16, v17, v16
	v_sub_f32_e32 v17, v18, v16
	s_delay_alu instid0(VALU_DEP_1) | instskip(SKIP_1) | instid1(VALU_DEP_2)
	v_mul_f32_e32 v18, 0x3fb8aa3b, v17
	v_cmp_ngt_f32_e32 vcc_lo, 0xc2ce8ed0, v17
	v_fma_f32 v21, 0x3fb8aa3b, v17, -v18
	v_rndne_f32_e32 v22, v18
	s_delay_alu instid0(VALU_DEP_1) | instskip(NEXT) | instid1(VALU_DEP_1)
	v_dual_fmac_f32 v21, 0x32a5705f, v17 :: v_dual_sub_f32 v18, v18, v22
	v_add_f32_e32 v18, v18, v21
	v_cvt_i32_f32_e32 v21, v22
	s_delay_alu instid0(VALU_DEP_2) | instskip(SKIP_2) | instid1(VALU_DEP_1)
	v_exp_f32_e32 v18, v18
	s_waitcnt_depctr 0xfff
	v_ldexp_f32 v18, v18, v21
	v_cndmask_b32_e32 v18, 0, v18, vcc_lo
	v_cmp_nlt_f32_e32 vcc_lo, 0x42b17218, v17
	s_delay_alu instid0(VALU_DEP_2) | instskip(NEXT) | instid1(VALU_DEP_1)
	v_cndmask_b32_e32 v17, 0x7f800000, v18, vcc_lo
	v_mul_f32_e32 v18, v19, v17
	ds_bpermute_b32 v18, v60, v18
	s_waitcnt lgkmcnt(0)
	v_fmac_f32_e32 v18, v19, v17
	ds_store_b64 v20, v[17:18] offset:128
	s_and_saveexec_b32 s4, s2
	s_cbranch_execz .LBB0_63
; %bb.62:                               ;   in Loop: Header=BB0_12 Depth=1
	v_mov_b32_e32 v17, v18
	global_store_b64 v[65:66], v[16:17], off
.LBB0_63:                               ;   in Loop: Header=BB0_12 Depth=1
	s_or_b32 exec_lo, exec_lo, s4
.LBB0_64:                               ;   in Loop: Header=BB0_12 Depth=1
	s_delay_alu instid0(SALU_CYCLE_1)
	s_or_b32 exec_lo, exec_lo, s3
	ds_store_2addr_b32 v155, v0, v1 offset1:2
	ds_store_2addr_b32 v155, v2, v3 offset0:4 offset1:6
	ds_store_2addr_b32 v155, v4, v5 offset0:8 offset1:10
	;; [unrolled: 1-line block ×7, first 2 shown]
	s_waitcnt lgkmcnt(0)
	s_waitcnt_vscnt null, 0x0
	s_barrier
	buffer_gl0_inv
	s_and_saveexec_b32 s5, s0
	s_cbranch_execz .LBB0_142
; %bb.65:                               ;   in Loop: Header=BB0_12 Depth=1
	v_add_nc_u32_e32 v1, s50, v216
	v_or_b32_e32 v0, s53, v92
	s_delay_alu instid0(VALU_DEP_1) | instskip(SKIP_1) | instid1(VALU_DEP_4)
	v_cmp_gt_i32_e32 vcc_lo, s14, v0
	v_mov_b32_e32 v0, 0x47
	v_cmp_gt_i32_e64 s3, s44, v1
	s_delay_alu instid0(VALU_DEP_1) | instskip(NEXT) | instid1(SALU_CYCLE_1)
	s_and_b32 s3, s3, vcc_lo
	s_and_saveexec_b32 s4, s3
	s_cbranch_execz .LBB0_67
; %bb.66:                               ;   in Loop: Header=BB0_12 Depth=1
	v_add_nc_u32_e32 v0, 0, v156
	v_mad_u64_u32 v[6:7], null, v1, s45, v[92:93]
	s_delay_alu instid0(VALU_DEP_2) | instskip(SKIP_3) | instid1(VALU_DEP_1)
	v_add_nc_u32_e32 v0, 0x80, v0
	ds_load_2addr_stride64_b32 v[2:3], v157 offset1:9
	ds_load_2addr_stride64_b32 v[4:5], v0 offset1:9
	v_lshl_add_u32 v0, v6, 5, v64
	v_ashrrev_i32_e32 v1, 31, v0
	s_delay_alu instid0(VALU_DEP_1) | instskip(SKIP_3) | instid1(VALU_DEP_2)
	v_lshlrev_b64 v[0:1], 3, v[0:1]
	s_waitcnt lgkmcnt(0)
	v_fma_mix_f32 v6, v4, v2, 0 op_sel_hi:[0,1,0]
	v_fma_mix_f32 v4, v4, v2, 0 op_sel:[0,1,0] op_sel_hi:[0,1,0]
	v_fma_mix_f32 v2, v5, v3, v6 op_sel_hi:[0,1,0]
	s_delay_alu instid0(VALU_DEP_2) | instskip(SKIP_1) | instid1(VALU_DEP_1)
	v_fma_mix_f32 v3, v5, v3, v4 op_sel:[0,1,0] op_sel_hi:[0,1,0]
	v_add_co_u32 v4, s3, s71, v0
	v_add_co_ci_u32_e64 v5, s3, s96, v1, s3
	v_mov_b32_e32 v0, 0
	global_store_b64 v[4:5], v[2:3], off
.LBB0_67:                               ;   in Loop: Header=BB0_12 Depth=1
	s_or_b32 exec_lo, exec_lo, s4
	s_mov_b32 s4, -1
	s_mov_b32 s6, exec_lo
	v_cmpx_gt_i32_e32 0x47, v0
; %bb.68:                               ;   in Loop: Header=BB0_12 Depth=1
	v_cmp_eq_u32_e64 s3, 0, v0
	s_delay_alu instid0(VALU_DEP_1)
	s_or_not1_b32 s4, s3, exec_lo
; %bb.69:                               ;   in Loop: Header=BB0_12 Depth=1
	s_or_b32 exec_lo, exec_lo, s6
	s_delay_alu instid0(SALU_CYCLE_1)
	s_and_b32 exec_lo, exec_lo, s4
	s_cbranch_execz .LBB0_142
; %bb.70:                               ;   in Loop: Header=BB0_12 Depth=1
	v_add_nc_u32_e32 v1, s50, v217
	v_or_b32_e32 v0, s53, v83
	s_delay_alu instid0(VALU_DEP_1) | instskip(SKIP_1) | instid1(VALU_DEP_4)
	v_cmp_gt_i32_e64 s4, s14, v0
	v_mov_b32_e32 v0, 0x47
	v_cmp_gt_i32_e64 s3, s44, v1
	s_delay_alu instid0(VALU_DEP_1) | instskip(NEXT) | instid1(SALU_CYCLE_1)
	s_and_b32 s3, s3, s4
	s_and_saveexec_b32 s4, s3
	s_cbranch_execz .LBB0_72
; %bb.71:                               ;   in Loop: Header=BB0_12 Depth=1
	v_add_nc_u32_e32 v0, 0, v158
	v_mad_u64_u32 v[6:7], null, v1, s45, v[83:84]
	s_delay_alu instid0(VALU_DEP_2) | instskip(SKIP_3) | instid1(VALU_DEP_1)
	v_add_nc_u32_e32 v0, 0x80, v0
	ds_load_2addr_stride64_b32 v[2:3], v159 offset1:9
	ds_load_2addr_stride64_b32 v[4:5], v0 offset1:9
	v_lshl_add_u32 v0, v6, 5, v64
	v_ashrrev_i32_e32 v1, 31, v0
	s_delay_alu instid0(VALU_DEP_1) | instskip(SKIP_3) | instid1(VALU_DEP_2)
	v_lshlrev_b64 v[0:1], 3, v[0:1]
	s_waitcnt lgkmcnt(0)
	v_fma_mix_f32 v6, v4, v2, 0 op_sel_hi:[0,1,0]
	v_fma_mix_f32 v4, v4, v2, 0 op_sel:[0,1,0] op_sel_hi:[0,1,0]
	v_fma_mix_f32 v2, v5, v3, v6 op_sel_hi:[0,1,0]
	s_delay_alu instid0(VALU_DEP_2) | instskip(SKIP_1) | instid1(VALU_DEP_1)
	v_fma_mix_f32 v3, v5, v3, v4 op_sel:[0,1,0] op_sel_hi:[0,1,0]
	v_add_co_u32 v4, s3, s71, v0
	v_add_co_ci_u32_e64 v5, s3, s96, v1, s3
	v_mov_b32_e32 v0, 0
	global_store_b64 v[4:5], v[2:3], off
.LBB0_72:                               ;   in Loop: Header=BB0_12 Depth=1
	s_or_b32 exec_lo, exec_lo, s4
	s_mov_b32 s4, -1
	s_mov_b32 s6, exec_lo
	v_cmpx_gt_i32_e32 0x47, v0
; %bb.73:                               ;   in Loop: Header=BB0_12 Depth=1
	v_cmp_eq_u32_e64 s3, 0, v0
	s_delay_alu instid0(VALU_DEP_1)
	s_or_not1_b32 s4, s3, exec_lo
; %bb.74:                               ;   in Loop: Header=BB0_12 Depth=1
	s_or_b32 exec_lo, exec_lo, s6
	s_delay_alu instid0(SALU_CYCLE_1)
	s_and_b32 exec_lo, exec_lo, s4
	s_cbranch_execz .LBB0_142
; %bb.75:                               ;   in Loop: Header=BB0_12 Depth=1
	v_dual_mov_b32 v0, 0x47 :: v_dual_add_nc_u32 v1, s50, v160
	s_delay_alu instid0(VALU_DEP_1) | instskip(NEXT) | instid1(VALU_DEP_1)
	v_cmp_gt_i32_e64 s3, s44, v1
	s_and_b32 s3, s3, vcc_lo
	s_delay_alu instid0(SALU_CYCLE_1)
	s_and_saveexec_b32 s4, s3
	s_cbranch_execz .LBB0_77
; %bb.76:                               ;   in Loop: Header=BB0_12 Depth=1
	v_add_nc_u32_e32 v0, 0, v161
	v_mad_u64_u32 v[6:7], null, v1, s45, v[92:93]
	s_delay_alu instid0(VALU_DEP_2) | instskip(SKIP_3) | instid1(VALU_DEP_1)
	v_add_nc_u32_e32 v0, 0x80, v0
	ds_load_2addr_stride64_b32 v[2:3], v162 offset1:9
	ds_load_2addr_stride64_b32 v[4:5], v0 offset1:9
	v_lshl_add_u32 v0, v6, 5, v64
	v_ashrrev_i32_e32 v1, 31, v0
	s_delay_alu instid0(VALU_DEP_1) | instskip(SKIP_3) | instid1(VALU_DEP_2)
	v_lshlrev_b64 v[0:1], 3, v[0:1]
	s_waitcnt lgkmcnt(0)
	v_fma_mix_f32 v6, v4, v2, 0 op_sel_hi:[0,1,0]
	v_fma_mix_f32 v4, v4, v2, 0 op_sel:[0,1,0] op_sel_hi:[0,1,0]
	v_fma_mix_f32 v2, v5, v3, v6 op_sel_hi:[0,1,0]
	s_delay_alu instid0(VALU_DEP_2) | instskip(SKIP_1) | instid1(VALU_DEP_1)
	v_fma_mix_f32 v3, v5, v3, v4 op_sel:[0,1,0] op_sel_hi:[0,1,0]
	v_add_co_u32 v4, s3, s71, v0
	v_add_co_ci_u32_e64 v5, s3, s96, v1, s3
	v_mov_b32_e32 v0, 0
	global_store_b64 v[4:5], v[2:3], off
.LBB0_77:                               ;   in Loop: Header=BB0_12 Depth=1
	s_or_b32 exec_lo, exec_lo, s4
	s_mov_b32 s4, -1
	s_mov_b32 s6, exec_lo
	v_cmpx_gt_i32_e32 0x47, v0
; %bb.78:                               ;   in Loop: Header=BB0_12 Depth=1
	v_cmp_eq_u32_e64 s3, 0, v0
	s_delay_alu instid0(VALU_DEP_1)
	s_or_not1_b32 s4, s3, exec_lo
; %bb.79:                               ;   in Loop: Header=BB0_12 Depth=1
	s_or_b32 exec_lo, exec_lo, s6
	s_delay_alu instid0(SALU_CYCLE_1)
	s_and_b32 exec_lo, exec_lo, s4
	s_cbranch_execz .LBB0_142
; %bb.80:                               ;   in Loop: Header=BB0_12 Depth=1
	v_add_nc_u32_e32 v1, s50, v218
	v_or_b32_e32 v0, s53, v84
	s_delay_alu instid0(VALU_DEP_1) | instskip(SKIP_1) | instid1(VALU_DEP_4)
	v_cmp_gt_i32_e64 s4, s14, v0
	v_mov_b32_e32 v0, 0x47
	v_cmp_gt_i32_e64 s3, s44, v1
	s_delay_alu instid0(VALU_DEP_1) | instskip(NEXT) | instid1(SALU_CYCLE_1)
	s_and_b32 s3, s3, s4
	s_and_saveexec_b32 s4, s3
	s_cbranch_execz .LBB0_82
; %bb.81:                               ;   in Loop: Header=BB0_12 Depth=1
	v_add_nc_u32_e32 v0, 0, v163
	v_mad_u64_u32 v[6:7], null, v1, s45, v[84:85]
	s_delay_alu instid0(VALU_DEP_2) | instskip(SKIP_3) | instid1(VALU_DEP_1)
	v_add_nc_u32_e32 v0, 0x80, v0
	ds_load_2addr_stride64_b32 v[2:3], v164 offset1:9
	ds_load_2addr_stride64_b32 v[4:5], v0 offset1:9
	v_lshl_add_u32 v0, v6, 5, v64
	v_ashrrev_i32_e32 v1, 31, v0
	s_delay_alu instid0(VALU_DEP_1) | instskip(SKIP_3) | instid1(VALU_DEP_2)
	v_lshlrev_b64 v[0:1], 3, v[0:1]
	s_waitcnt lgkmcnt(0)
	v_fma_mix_f32 v6, v4, v2, 0 op_sel_hi:[0,1,0]
	v_fma_mix_f32 v4, v4, v2, 0 op_sel:[0,1,0] op_sel_hi:[0,1,0]
	v_fma_mix_f32 v2, v5, v3, v6 op_sel_hi:[0,1,0]
	s_delay_alu instid0(VALU_DEP_2) | instskip(SKIP_1) | instid1(VALU_DEP_1)
	v_fma_mix_f32 v3, v5, v3, v4 op_sel:[0,1,0] op_sel_hi:[0,1,0]
	v_add_co_u32 v4, s3, s71, v0
	v_add_co_ci_u32_e64 v5, s3, s96, v1, s3
	v_mov_b32_e32 v0, 0
	global_store_b64 v[4:5], v[2:3], off
.LBB0_82:                               ;   in Loop: Header=BB0_12 Depth=1
	s_or_b32 exec_lo, exec_lo, s4
	s_mov_b32 s4, -1
	s_mov_b32 s6, exec_lo
	v_cmpx_gt_i32_e32 0x47, v0
; %bb.83:                               ;   in Loop: Header=BB0_12 Depth=1
	v_cmp_eq_u32_e64 s3, 0, v0
	s_delay_alu instid0(VALU_DEP_1)
	s_or_not1_b32 s4, s3, exec_lo
; %bb.84:                               ;   in Loop: Header=BB0_12 Depth=1
	s_or_b32 exec_lo, exec_lo, s6
	s_delay_alu instid0(SALU_CYCLE_1)
	s_and_b32 exec_lo, exec_lo, s4
	s_cbranch_execz .LBB0_142
; %bb.85:                               ;   in Loop: Header=BB0_12 Depth=1
	v_dual_mov_b32 v0, 0x47 :: v_dual_add_nc_u32 v1, s50, v165
	s_delay_alu instid0(VALU_DEP_1) | instskip(NEXT) | instid1(VALU_DEP_1)
	v_cmp_gt_i32_e64 s3, s44, v1
	s_and_b32 s3, s3, vcc_lo
	s_delay_alu instid0(SALU_CYCLE_1)
	s_and_saveexec_b32 s4, s3
	s_cbranch_execz .LBB0_87
; %bb.86:                               ;   in Loop: Header=BB0_12 Depth=1
	v_add_nc_u32_e32 v0, 0, v166
	v_mad_u64_u32 v[6:7], null, v1, s45, v[92:93]
	s_delay_alu instid0(VALU_DEP_2) | instskip(SKIP_3) | instid1(VALU_DEP_1)
	v_add_nc_u32_e32 v0, 0x80, v0
	ds_load_2addr_stride64_b32 v[2:3], v167 offset1:9
	ds_load_2addr_stride64_b32 v[4:5], v0 offset1:9
	v_lshl_add_u32 v0, v6, 5, v64
	v_ashrrev_i32_e32 v1, 31, v0
	s_delay_alu instid0(VALU_DEP_1) | instskip(SKIP_3) | instid1(VALU_DEP_2)
	v_lshlrev_b64 v[0:1], 3, v[0:1]
	s_waitcnt lgkmcnt(0)
	v_fma_mix_f32 v6, v4, v2, 0 op_sel_hi:[0,1,0]
	v_fma_mix_f32 v4, v4, v2, 0 op_sel:[0,1,0] op_sel_hi:[0,1,0]
	v_fma_mix_f32 v2, v5, v3, v6 op_sel_hi:[0,1,0]
	s_delay_alu instid0(VALU_DEP_2) | instskip(SKIP_1) | instid1(VALU_DEP_1)
	v_fma_mix_f32 v3, v5, v3, v4 op_sel:[0,1,0] op_sel_hi:[0,1,0]
	v_add_co_u32 v4, s3, s71, v0
	v_add_co_ci_u32_e64 v5, s3, s96, v1, s3
	v_mov_b32_e32 v0, 0
	global_store_b64 v[4:5], v[2:3], off
.LBB0_87:                               ;   in Loop: Header=BB0_12 Depth=1
	s_or_b32 exec_lo, exec_lo, s4
	s_mov_b32 s4, -1
	s_mov_b32 s6, exec_lo
	v_cmpx_gt_i32_e32 0x47, v0
; %bb.88:                               ;   in Loop: Header=BB0_12 Depth=1
	v_cmp_eq_u32_e64 s3, 0, v0
	s_delay_alu instid0(VALU_DEP_1)
	s_or_not1_b32 s4, s3, exec_lo
; %bb.89:                               ;   in Loop: Header=BB0_12 Depth=1
	s_or_b32 exec_lo, exec_lo, s6
	s_delay_alu instid0(SALU_CYCLE_1)
	s_and_b32 exec_lo, exec_lo, s4
	s_cbranch_execz .LBB0_142
; %bb.90:                               ;   in Loop: Header=BB0_12 Depth=1
	v_add_nc_u32_e32 v1, s50, v219
	v_or_b32_e32 v0, s53, v85
	s_delay_alu instid0(VALU_DEP_1) | instskip(SKIP_1) | instid1(VALU_DEP_4)
	v_cmp_gt_i32_e64 s4, s14, v0
	v_mov_b32_e32 v0, 0x47
	v_cmp_gt_i32_e64 s3, s44, v1
	s_delay_alu instid0(VALU_DEP_1) | instskip(NEXT) | instid1(SALU_CYCLE_1)
	s_and_b32 s3, s3, s4
	s_and_saveexec_b32 s4, s3
	s_cbranch_execz .LBB0_92
; %bb.91:                               ;   in Loop: Header=BB0_12 Depth=1
	v_add_nc_u32_e32 v0, 0, v168
	v_mad_u64_u32 v[6:7], null, v1, s45, v[85:86]
	s_delay_alu instid0(VALU_DEP_2) | instskip(SKIP_3) | instid1(VALU_DEP_1)
	v_add_nc_u32_e32 v0, 0x80, v0
	ds_load_2addr_stride64_b32 v[2:3], v169 offset1:9
	ds_load_2addr_stride64_b32 v[4:5], v0 offset1:9
	v_lshl_add_u32 v0, v6, 5, v64
	v_ashrrev_i32_e32 v1, 31, v0
	s_delay_alu instid0(VALU_DEP_1) | instskip(SKIP_3) | instid1(VALU_DEP_2)
	v_lshlrev_b64 v[0:1], 3, v[0:1]
	s_waitcnt lgkmcnt(0)
	v_fma_mix_f32 v6, v4, v2, 0 op_sel_hi:[0,1,0]
	v_fma_mix_f32 v4, v4, v2, 0 op_sel:[0,1,0] op_sel_hi:[0,1,0]
	v_fma_mix_f32 v2, v5, v3, v6 op_sel_hi:[0,1,0]
	s_delay_alu instid0(VALU_DEP_2) | instskip(SKIP_1) | instid1(VALU_DEP_1)
	v_fma_mix_f32 v3, v5, v3, v4 op_sel:[0,1,0] op_sel_hi:[0,1,0]
	v_add_co_u32 v4, s3, s71, v0
	v_add_co_ci_u32_e64 v5, s3, s96, v1, s3
	v_mov_b32_e32 v0, 0
	global_store_b64 v[4:5], v[2:3], off
.LBB0_92:                               ;   in Loop: Header=BB0_12 Depth=1
	s_or_b32 exec_lo, exec_lo, s4
	s_mov_b32 s4, -1
	s_mov_b32 s6, exec_lo
	v_cmpx_gt_i32_e32 0x47, v0
; %bb.93:                               ;   in Loop: Header=BB0_12 Depth=1
	v_cmp_eq_u32_e64 s3, 0, v0
	s_delay_alu instid0(VALU_DEP_1)
	s_or_not1_b32 s4, s3, exec_lo
; %bb.94:                               ;   in Loop: Header=BB0_12 Depth=1
	s_or_b32 exec_lo, exec_lo, s6
	s_delay_alu instid0(SALU_CYCLE_1)
	s_and_b32 exec_lo, exec_lo, s4
	s_cbranch_execz .LBB0_142
; %bb.95:                               ;   in Loop: Header=BB0_12 Depth=1
	v_dual_mov_b32 v0, 0x47 :: v_dual_add_nc_u32 v1, s50, v170
	s_delay_alu instid0(VALU_DEP_1) | instskip(NEXT) | instid1(VALU_DEP_1)
	v_cmp_gt_i32_e64 s3, s44, v1
	s_and_b32 s3, s3, vcc_lo
	s_delay_alu instid0(SALU_CYCLE_1)
	s_and_saveexec_b32 s4, s3
	s_cbranch_execz .LBB0_97
; %bb.96:                               ;   in Loop: Header=BB0_12 Depth=1
	s_clause 0x1
	scratch_load_b32 v0, off, off
	scratch_load_b32 v2, off, off offset:4
	v_mad_u64_u32 v[6:7], null, v1, s45, v[92:93]
	s_waitcnt vmcnt(1)
	v_add_nc_u32_e32 v0, 0, v0
	s_delay_alu instid0(VALU_DEP_1) | instskip(SKIP_4) | instid1(VALU_DEP_1)
	v_add_nc_u32_e32 v0, 0x80, v0
	s_waitcnt vmcnt(0)
	ds_load_2addr_stride64_b32 v[2:3], v2 offset1:9
	ds_load_2addr_stride64_b32 v[4:5], v0 offset1:9
	v_lshl_add_u32 v0, v6, 5, v64
	v_ashrrev_i32_e32 v1, 31, v0
	s_delay_alu instid0(VALU_DEP_1) | instskip(SKIP_3) | instid1(VALU_DEP_2)
	v_lshlrev_b64 v[0:1], 3, v[0:1]
	s_waitcnt lgkmcnt(0)
	v_fma_mix_f32 v6, v4, v2, 0 op_sel_hi:[0,1,0]
	v_fma_mix_f32 v4, v4, v2, 0 op_sel:[0,1,0] op_sel_hi:[0,1,0]
	v_fma_mix_f32 v2, v5, v3, v6 op_sel_hi:[0,1,0]
	s_delay_alu instid0(VALU_DEP_2) | instskip(SKIP_1) | instid1(VALU_DEP_1)
	v_fma_mix_f32 v3, v5, v3, v4 op_sel:[0,1,0] op_sel_hi:[0,1,0]
	v_add_co_u32 v4, s3, s71, v0
	v_add_co_ci_u32_e64 v5, s3, s96, v1, s3
	v_mov_b32_e32 v0, 0
	global_store_b64 v[4:5], v[2:3], off
.LBB0_97:                               ;   in Loop: Header=BB0_12 Depth=1
	s_or_b32 exec_lo, exec_lo, s4
	s_mov_b32 s4, -1
	s_mov_b32 s6, exec_lo
	v_cmpx_gt_i32_e32 0x47, v0
; %bb.98:                               ;   in Loop: Header=BB0_12 Depth=1
	v_cmp_eq_u32_e64 s3, 0, v0
	s_delay_alu instid0(VALU_DEP_1)
	s_or_not1_b32 s4, s3, exec_lo
; %bb.99:                               ;   in Loop: Header=BB0_12 Depth=1
	s_or_b32 exec_lo, exec_lo, s6
	s_delay_alu instid0(SALU_CYCLE_1)
	s_and_b32 exec_lo, exec_lo, s4
	s_cbranch_execz .LBB0_142
; %bb.100:                              ;   in Loop: Header=BB0_12 Depth=1
	scratch_load_b32 v0, off, off offset:8  ; 4-byte Folded Reload
	s_waitcnt vmcnt(0)
	v_add_nc_u32_e32 v1, s50, v0
	v_or_b32_e32 v0, s53, v86
	s_delay_alu instid0(VALU_DEP_1) | instskip(SKIP_1) | instid1(VALU_DEP_4)
	v_cmp_gt_i32_e64 s4, s14, v0
	v_mov_b32_e32 v0, 0x47
	v_cmp_gt_i32_e64 s3, s44, v1
	s_delay_alu instid0(VALU_DEP_1) | instskip(NEXT) | instid1(SALU_CYCLE_1)
	s_and_b32 s3, s3, s4
	s_and_saveexec_b32 s4, s3
	s_cbranch_execz .LBB0_102
; %bb.101:                              ;   in Loop: Header=BB0_12 Depth=1
	s_clause 0x1
	scratch_load_b32 v0, off, off offset:12
	scratch_load_b32 v2, off, off offset:16
	v_mad_u64_u32 v[6:7], null, v1, s45, v[86:87]
	s_waitcnt vmcnt(1)
	v_add_nc_u32_e32 v0, 0, v0
	s_delay_alu instid0(VALU_DEP_1) | instskip(SKIP_4) | instid1(VALU_DEP_1)
	v_add_nc_u32_e32 v0, 0x80, v0
	s_waitcnt vmcnt(0)
	ds_load_2addr_stride64_b32 v[2:3], v2 offset1:9
	ds_load_2addr_stride64_b32 v[4:5], v0 offset1:9
	v_lshl_add_u32 v0, v6, 5, v64
	v_ashrrev_i32_e32 v1, 31, v0
	s_delay_alu instid0(VALU_DEP_1) | instskip(SKIP_3) | instid1(VALU_DEP_2)
	v_lshlrev_b64 v[0:1], 3, v[0:1]
	s_waitcnt lgkmcnt(0)
	v_fma_mix_f32 v6, v4, v2, 0 op_sel_hi:[0,1,0]
	v_fma_mix_f32 v4, v4, v2, 0 op_sel:[0,1,0] op_sel_hi:[0,1,0]
	v_fma_mix_f32 v2, v5, v3, v6 op_sel_hi:[0,1,0]
	s_delay_alu instid0(VALU_DEP_2) | instskip(SKIP_1) | instid1(VALU_DEP_1)
	v_fma_mix_f32 v3, v5, v3, v4 op_sel:[0,1,0] op_sel_hi:[0,1,0]
	v_add_co_u32 v4, s3, s71, v0
	v_add_co_ci_u32_e64 v5, s3, s96, v1, s3
	v_mov_b32_e32 v0, 0
	global_store_b64 v[4:5], v[2:3], off
.LBB0_102:                              ;   in Loop: Header=BB0_12 Depth=1
	s_or_b32 exec_lo, exec_lo, s4
	s_mov_b32 s4, -1
	s_mov_b32 s6, exec_lo
	v_cmpx_gt_i32_e32 0x47, v0
; %bb.103:                              ;   in Loop: Header=BB0_12 Depth=1
	v_cmp_eq_u32_e64 s3, 0, v0
	s_delay_alu instid0(VALU_DEP_1)
	s_or_not1_b32 s4, s3, exec_lo
; %bb.104:                              ;   in Loop: Header=BB0_12 Depth=1
	s_or_b32 exec_lo, exec_lo, s6
	s_delay_alu instid0(SALU_CYCLE_1)
	s_and_b32 exec_lo, exec_lo, s4
	s_cbranch_execz .LBB0_142
; %bb.105:                              ;   in Loop: Header=BB0_12 Depth=1
	scratch_load_b32 v0, off, off offset:20 ; 4-byte Folded Reload
	s_waitcnt vmcnt(0)
	v_dual_mov_b32 v0, 0x47 :: v_dual_add_nc_u32 v1, s50, v0
	s_delay_alu instid0(VALU_DEP_1) | instskip(NEXT) | instid1(VALU_DEP_1)
	v_cmp_gt_i32_e64 s3, s44, v1
	s_and_b32 s3, s3, vcc_lo
	s_delay_alu instid0(SALU_CYCLE_1)
	s_and_saveexec_b32 s4, s3
	s_cbranch_execz .LBB0_107
; %bb.106:                              ;   in Loop: Header=BB0_12 Depth=1
	s_clause 0x1
	scratch_load_b32 v0, off, off offset:32
	scratch_load_b32 v2, off, off offset:36
	v_mad_u64_u32 v[6:7], null, v1, s45, v[92:93]
	s_waitcnt vmcnt(1)
	v_add_nc_u32_e32 v0, 0, v0
	s_delay_alu instid0(VALU_DEP_1) | instskip(SKIP_4) | instid1(VALU_DEP_1)
	v_add_nc_u32_e32 v0, 0x80, v0
	s_waitcnt vmcnt(0)
	ds_load_2addr_stride64_b32 v[2:3], v2 offset1:9
	ds_load_2addr_stride64_b32 v[4:5], v0 offset1:9
	v_lshl_add_u32 v0, v6, 5, v64
	v_ashrrev_i32_e32 v1, 31, v0
	s_delay_alu instid0(VALU_DEP_1) | instskip(SKIP_3) | instid1(VALU_DEP_2)
	v_lshlrev_b64 v[0:1], 3, v[0:1]
	s_waitcnt lgkmcnt(0)
	v_fma_mix_f32 v6, v4, v2, 0 op_sel_hi:[0,1,0]
	v_fma_mix_f32 v4, v4, v2, 0 op_sel:[0,1,0] op_sel_hi:[0,1,0]
	v_fma_mix_f32 v2, v5, v3, v6 op_sel_hi:[0,1,0]
	s_delay_alu instid0(VALU_DEP_2) | instskip(SKIP_1) | instid1(VALU_DEP_1)
	v_fma_mix_f32 v3, v5, v3, v4 op_sel:[0,1,0] op_sel_hi:[0,1,0]
	v_add_co_u32 v4, s3, s71, v0
	v_add_co_ci_u32_e64 v5, s3, s96, v1, s3
	v_mov_b32_e32 v0, 0
	global_store_b64 v[4:5], v[2:3], off
.LBB0_107:                              ;   in Loop: Header=BB0_12 Depth=1
	s_or_b32 exec_lo, exec_lo, s4
	s_mov_b32 s4, -1
	s_mov_b32 s6, exec_lo
	v_cmpx_gt_i32_e32 0x47, v0
; %bb.108:                              ;   in Loop: Header=BB0_12 Depth=1
	v_cmp_eq_u32_e64 s3, 0, v0
	s_delay_alu instid0(VALU_DEP_1)
	s_or_not1_b32 s4, s3, exec_lo
; %bb.109:                              ;   in Loop: Header=BB0_12 Depth=1
	s_or_b32 exec_lo, exec_lo, s6
	s_delay_alu instid0(SALU_CYCLE_1)
	s_and_b32 exec_lo, exec_lo, s4
	s_cbranch_execz .LBB0_142
; %bb.110:                              ;   in Loop: Header=BB0_12 Depth=1
	s_clause 0x1
	scratch_load_b32 v0, off, off offset:40
	scratch_load_b64 v[2:3], off, off offset:24
	s_waitcnt vmcnt(1)
	v_add_nc_u32_e32 v1, s50, v0
	s_waitcnt vmcnt(0)
	v_or_b32_e32 v0, s53, v2
	s_delay_alu instid0(VALU_DEP_1) | instskip(SKIP_2) | instid1(VALU_DEP_1)
	v_cmp_gt_i32_e64 s4, s14, v0
	v_mov_b32_e32 v0, 0x47
	v_cmp_gt_i32_e64 s3, s44, v1
	s_and_b32 s3, s3, s4
	s_delay_alu instid0(SALU_CYCLE_1)
	s_and_saveexec_b32 s4, s3
	s_cbranch_execz .LBB0_112
; %bb.111:                              ;   in Loop: Header=BB0_12 Depth=1
	s_clause 0x1
	scratch_load_b32 v0, off, off offset:44
	scratch_load_b32 v2, off, off offset:48
	s_waitcnt vmcnt(1)
	v_add_nc_u32_e32 v0, 0, v0
	s_delay_alu instid0(VALU_DEP_1)
	v_add_nc_u32_e32 v0, 0x80, v0
	s_waitcnt vmcnt(0)
	ds_load_2addr_stride64_b32 v[2:3], v2 offset1:9
	ds_load_2addr_stride64_b32 v[4:5], v0 offset1:9
	scratch_load_b64 v[8:9], off, off offset:24 ; 8-byte Folded Reload
	s_waitcnt vmcnt(0)
	v_mad_u64_u32 v[6:7], null, v1, s45, v[8:9]
	s_delay_alu instid0(VALU_DEP_1) | instskip(SKIP_3) | instid1(VALU_DEP_3)
	v_lshl_add_u32 v0, v6, 5, v64
	s_waitcnt lgkmcnt(0)
	v_fma_mix_f32 v6, v4, v2, 0 op_sel_hi:[0,1,0]
	v_fma_mix_f32 v4, v4, v2, 0 op_sel:[0,1,0] op_sel_hi:[0,1,0]
	v_ashrrev_i32_e32 v1, 31, v0
	s_delay_alu instid0(VALU_DEP_3) | instskip(NEXT) | instid1(VALU_DEP_3)
	v_fma_mix_f32 v2, v5, v3, v6 op_sel_hi:[0,1,0]
	v_fma_mix_f32 v3, v5, v3, v4 op_sel:[0,1,0] op_sel_hi:[0,1,0]
	s_delay_alu instid0(VALU_DEP_3) | instskip(NEXT) | instid1(VALU_DEP_1)
	v_lshlrev_b64 v[0:1], 3, v[0:1]
	v_add_co_u32 v4, s3, s71, v0
	s_delay_alu instid0(VALU_DEP_1)
	v_add_co_ci_u32_e64 v5, s3, s96, v1, s3
	v_mov_b32_e32 v0, 0
	global_store_b64 v[4:5], v[2:3], off
.LBB0_112:                              ;   in Loop: Header=BB0_12 Depth=1
	s_or_b32 exec_lo, exec_lo, s4
	s_mov_b32 s4, -1
	s_mov_b32 s6, exec_lo
	v_cmpx_gt_i32_e32 0x47, v0
; %bb.113:                              ;   in Loop: Header=BB0_12 Depth=1
	v_cmp_eq_u32_e64 s3, 0, v0
	s_delay_alu instid0(VALU_DEP_1)
	s_or_not1_b32 s4, s3, exec_lo
; %bb.114:                              ;   in Loop: Header=BB0_12 Depth=1
	s_or_b32 exec_lo, exec_lo, s6
	s_delay_alu instid0(SALU_CYCLE_1)
	s_and_b32 exec_lo, exec_lo, s4
	s_cbranch_execz .LBB0_142
; %bb.115:                              ;   in Loop: Header=BB0_12 Depth=1
	scratch_load_b32 v0, off, off offset:52 ; 4-byte Folded Reload
	s_waitcnt vmcnt(0)
	v_dual_mov_b32 v0, 0x47 :: v_dual_add_nc_u32 v1, s50, v0
	s_delay_alu instid0(VALU_DEP_1) | instskip(NEXT) | instid1(VALU_DEP_1)
	v_cmp_gt_i32_e64 s3, s44, v1
	s_and_b32 s3, s3, vcc_lo
	s_delay_alu instid0(SALU_CYCLE_1)
	s_and_saveexec_b32 s4, s3
	s_cbranch_execz .LBB0_117
; %bb.116:                              ;   in Loop: Header=BB0_12 Depth=1
	s_clause 0x1
	scratch_load_b32 v0, off, off offset:64
	scratch_load_b32 v2, off, off offset:68
	v_mad_u64_u32 v[6:7], null, v1, s45, v[92:93]
	s_waitcnt vmcnt(1)
	v_add_nc_u32_e32 v0, 0, v0
	s_delay_alu instid0(VALU_DEP_1) | instskip(SKIP_4) | instid1(VALU_DEP_1)
	v_add_nc_u32_e32 v0, 0x80, v0
	s_waitcnt vmcnt(0)
	ds_load_2addr_stride64_b32 v[2:3], v2 offset1:9
	ds_load_2addr_stride64_b32 v[4:5], v0 offset1:9
	v_lshl_add_u32 v0, v6, 5, v64
	v_ashrrev_i32_e32 v1, 31, v0
	s_delay_alu instid0(VALU_DEP_1) | instskip(SKIP_3) | instid1(VALU_DEP_2)
	v_lshlrev_b64 v[0:1], 3, v[0:1]
	s_waitcnt lgkmcnt(0)
	v_fma_mix_f32 v6, v4, v2, 0 op_sel_hi:[0,1,0]
	v_fma_mix_f32 v4, v4, v2, 0 op_sel:[0,1,0] op_sel_hi:[0,1,0]
	v_fma_mix_f32 v2, v5, v3, v6 op_sel_hi:[0,1,0]
	s_delay_alu instid0(VALU_DEP_2) | instskip(SKIP_1) | instid1(VALU_DEP_1)
	v_fma_mix_f32 v3, v5, v3, v4 op_sel:[0,1,0] op_sel_hi:[0,1,0]
	v_add_co_u32 v4, s3, s71, v0
	v_add_co_ci_u32_e64 v5, s3, s96, v1, s3
	v_mov_b32_e32 v0, 0
	global_store_b64 v[4:5], v[2:3], off
.LBB0_117:                              ;   in Loop: Header=BB0_12 Depth=1
	s_or_b32 exec_lo, exec_lo, s4
	s_mov_b32 s4, -1
	s_mov_b32 s6, exec_lo
	v_cmpx_gt_i32_e32 0x47, v0
; %bb.118:                              ;   in Loop: Header=BB0_12 Depth=1
	v_cmp_eq_u32_e64 s3, 0, v0
	s_delay_alu instid0(VALU_DEP_1)
	s_or_not1_b32 s4, s3, exec_lo
; %bb.119:                              ;   in Loop: Header=BB0_12 Depth=1
	s_or_b32 exec_lo, exec_lo, s6
	s_delay_alu instid0(SALU_CYCLE_1)
	s_and_b32 exec_lo, exec_lo, s4
	s_cbranch_execz .LBB0_142
; %bb.120:                              ;   in Loop: Header=BB0_12 Depth=1
	s_clause 0x1
	scratch_load_b32 v0, off, off offset:72
	scratch_load_b64 v[2:3], off, off offset:56
	s_waitcnt vmcnt(1)
	v_add_nc_u32_e32 v1, s50, v0
	s_waitcnt vmcnt(0)
	v_or_b32_e32 v0, s53, v2
	s_delay_alu instid0(VALU_DEP_1) | instskip(SKIP_2) | instid1(VALU_DEP_1)
	v_cmp_gt_i32_e64 s4, s14, v0
	v_mov_b32_e32 v0, 0x47
	v_cmp_gt_i32_e64 s3, s44, v1
	s_and_b32 s3, s3, s4
	s_delay_alu instid0(SALU_CYCLE_1)
	s_and_saveexec_b32 s4, s3
	s_cbranch_execz .LBB0_122
; %bb.121:                              ;   in Loop: Header=BB0_12 Depth=1
	s_clause 0x1
	scratch_load_b32 v0, off, off offset:76
	scratch_load_b32 v2, off, off offset:80
	s_waitcnt vmcnt(1)
	v_add_nc_u32_e32 v0, 0, v0
	s_delay_alu instid0(VALU_DEP_1)
	v_add_nc_u32_e32 v0, 0x80, v0
	s_waitcnt vmcnt(0)
	ds_load_2addr_stride64_b32 v[2:3], v2 offset1:9
	ds_load_2addr_stride64_b32 v[4:5], v0 offset1:9
	scratch_load_b64 v[8:9], off, off offset:56 ; 8-byte Folded Reload
	s_waitcnt vmcnt(0)
	v_mad_u64_u32 v[6:7], null, v1, s45, v[8:9]
	s_delay_alu instid0(VALU_DEP_1) | instskip(SKIP_3) | instid1(VALU_DEP_3)
	v_lshl_add_u32 v0, v6, 5, v64
	s_waitcnt lgkmcnt(0)
	v_fma_mix_f32 v6, v4, v2, 0 op_sel_hi:[0,1,0]
	v_fma_mix_f32 v4, v4, v2, 0 op_sel:[0,1,0] op_sel_hi:[0,1,0]
	v_ashrrev_i32_e32 v1, 31, v0
	s_delay_alu instid0(VALU_DEP_3) | instskip(NEXT) | instid1(VALU_DEP_3)
	v_fma_mix_f32 v2, v5, v3, v6 op_sel_hi:[0,1,0]
	v_fma_mix_f32 v3, v5, v3, v4 op_sel:[0,1,0] op_sel_hi:[0,1,0]
	s_delay_alu instid0(VALU_DEP_3) | instskip(NEXT) | instid1(VALU_DEP_1)
	v_lshlrev_b64 v[0:1], 3, v[0:1]
	v_add_co_u32 v4, s3, s71, v0
	s_delay_alu instid0(VALU_DEP_1)
	v_add_co_ci_u32_e64 v5, s3, s96, v1, s3
	v_mov_b32_e32 v0, 0
	global_store_b64 v[4:5], v[2:3], off
.LBB0_122:                              ;   in Loop: Header=BB0_12 Depth=1
	s_or_b32 exec_lo, exec_lo, s4
	s_mov_b32 s4, -1
	s_mov_b32 s6, exec_lo
	v_cmpx_gt_i32_e32 0x47, v0
; %bb.123:                              ;   in Loop: Header=BB0_12 Depth=1
	v_cmp_eq_u32_e64 s3, 0, v0
	s_delay_alu instid0(VALU_DEP_1)
	s_or_not1_b32 s4, s3, exec_lo
; %bb.124:                              ;   in Loop: Header=BB0_12 Depth=1
	s_or_b32 exec_lo, exec_lo, s6
	s_delay_alu instid0(SALU_CYCLE_1)
	s_and_b32 exec_lo, exec_lo, s4
	s_cbranch_execz .LBB0_142
; %bb.125:                              ;   in Loop: Header=BB0_12 Depth=1
	scratch_load_b32 v0, off, off offset:84 ; 4-byte Folded Reload
	s_waitcnt vmcnt(0)
	v_dual_mov_b32 v0, 0x47 :: v_dual_add_nc_u32 v1, s50, v0
	s_delay_alu instid0(VALU_DEP_1) | instskip(NEXT) | instid1(VALU_DEP_1)
	v_cmp_gt_i32_e64 s3, s44, v1
	s_and_b32 s3, s3, vcc_lo
	s_delay_alu instid0(SALU_CYCLE_1)
	s_and_saveexec_b32 s4, s3
	s_cbranch_execz .LBB0_127
; %bb.126:                              ;   in Loop: Header=BB0_12 Depth=1
	s_clause 0x1
	scratch_load_b32 v0, off, off offset:96
	scratch_load_b32 v2, off, off offset:100
	v_mad_u64_u32 v[6:7], null, v1, s45, v[92:93]
	s_waitcnt vmcnt(1)
	v_add_nc_u32_e32 v0, 0, v0
	s_delay_alu instid0(VALU_DEP_1) | instskip(SKIP_4) | instid1(VALU_DEP_1)
	v_add_nc_u32_e32 v0, 0x80, v0
	s_waitcnt vmcnt(0)
	ds_load_2addr_stride64_b32 v[2:3], v2 offset1:9
	ds_load_2addr_stride64_b32 v[4:5], v0 offset1:9
	v_lshl_add_u32 v0, v6, 5, v64
	v_ashrrev_i32_e32 v1, 31, v0
	s_delay_alu instid0(VALU_DEP_1) | instskip(SKIP_3) | instid1(VALU_DEP_2)
	v_lshlrev_b64 v[0:1], 3, v[0:1]
	s_waitcnt lgkmcnt(0)
	v_fma_mix_f32 v6, v4, v2, 0 op_sel_hi:[0,1,0]
	v_fma_mix_f32 v4, v4, v2, 0 op_sel:[0,1,0] op_sel_hi:[0,1,0]
	v_fma_mix_f32 v2, v5, v3, v6 op_sel_hi:[0,1,0]
	s_delay_alu instid0(VALU_DEP_2) | instskip(SKIP_1) | instid1(VALU_DEP_1)
	v_fma_mix_f32 v3, v5, v3, v4 op_sel:[0,1,0] op_sel_hi:[0,1,0]
	v_add_co_u32 v4, s3, s71, v0
	v_add_co_ci_u32_e64 v5, s3, s96, v1, s3
	v_mov_b32_e32 v0, 0
	global_store_b64 v[4:5], v[2:3], off
.LBB0_127:                              ;   in Loop: Header=BB0_12 Depth=1
	s_or_b32 exec_lo, exec_lo, s4
	s_mov_b32 s4, -1
	s_mov_b32 s6, exec_lo
	v_cmpx_gt_i32_e32 0x47, v0
; %bb.128:                              ;   in Loop: Header=BB0_12 Depth=1
	v_cmp_eq_u32_e64 s3, 0, v0
	s_delay_alu instid0(VALU_DEP_1)
	s_or_not1_b32 s4, s3, exec_lo
; %bb.129:                              ;   in Loop: Header=BB0_12 Depth=1
	s_or_b32 exec_lo, exec_lo, s6
	s_delay_alu instid0(SALU_CYCLE_1)
	s_and_b32 exec_lo, exec_lo, s4
	s_cbranch_execz .LBB0_142
; %bb.130:                              ;   in Loop: Header=BB0_12 Depth=1
	s_clause 0x1
	scratch_load_b32 v0, off, off offset:104
	scratch_load_b64 v[2:3], off, off offset:88
	s_waitcnt vmcnt(1)
	v_add_nc_u32_e32 v1, s50, v0
	s_waitcnt vmcnt(0)
	v_or_b32_e32 v0, s53, v2
	s_delay_alu instid0(VALU_DEP_1) | instskip(SKIP_2) | instid1(VALU_DEP_1)
	v_cmp_gt_i32_e64 s4, s14, v0
	v_mov_b32_e32 v0, 0x47
	v_cmp_gt_i32_e64 s3, s44, v1
	s_and_b32 s3, s3, s4
	s_delay_alu instid0(SALU_CYCLE_1)
	s_and_saveexec_b32 s4, s3
	s_cbranch_execz .LBB0_132
; %bb.131:                              ;   in Loop: Header=BB0_12 Depth=1
	s_clause 0x1
	scratch_load_b32 v0, off, off offset:108
	scratch_load_b32 v2, off, off offset:112
	s_waitcnt vmcnt(1)
	v_add_nc_u32_e32 v0, 0, v0
	s_delay_alu instid0(VALU_DEP_1)
	v_add_nc_u32_e32 v0, 0x80, v0
	s_waitcnt vmcnt(0)
	ds_load_2addr_stride64_b32 v[2:3], v2 offset1:9
	ds_load_2addr_stride64_b32 v[4:5], v0 offset1:9
	scratch_load_b64 v[8:9], off, off offset:88 ; 8-byte Folded Reload
	s_waitcnt vmcnt(0)
	v_mad_u64_u32 v[6:7], null, v1, s45, v[8:9]
	s_delay_alu instid0(VALU_DEP_1) | instskip(SKIP_3) | instid1(VALU_DEP_3)
	v_lshl_add_u32 v0, v6, 5, v64
	s_waitcnt lgkmcnt(0)
	v_fma_mix_f32 v6, v4, v2, 0 op_sel_hi:[0,1,0]
	v_fma_mix_f32 v4, v4, v2, 0 op_sel:[0,1,0] op_sel_hi:[0,1,0]
	v_ashrrev_i32_e32 v1, 31, v0
	s_delay_alu instid0(VALU_DEP_3) | instskip(NEXT) | instid1(VALU_DEP_3)
	v_fma_mix_f32 v2, v5, v3, v6 op_sel_hi:[0,1,0]
	v_fma_mix_f32 v3, v5, v3, v4 op_sel:[0,1,0] op_sel_hi:[0,1,0]
	s_delay_alu instid0(VALU_DEP_3) | instskip(NEXT) | instid1(VALU_DEP_1)
	v_lshlrev_b64 v[0:1], 3, v[0:1]
	v_add_co_u32 v4, s3, s71, v0
	s_delay_alu instid0(VALU_DEP_1)
	v_add_co_ci_u32_e64 v5, s3, s96, v1, s3
	v_mov_b32_e32 v0, 0
	global_store_b64 v[4:5], v[2:3], off
.LBB0_132:                              ;   in Loop: Header=BB0_12 Depth=1
	s_or_b32 exec_lo, exec_lo, s4
	s_mov_b32 s4, -1
	s_mov_b32 s6, exec_lo
	v_cmpx_gt_i32_e32 0x47, v0
; %bb.133:                              ;   in Loop: Header=BB0_12 Depth=1
	v_cmp_eq_u32_e64 s3, 0, v0
	s_delay_alu instid0(VALU_DEP_1)
	s_or_not1_b32 s4, s3, exec_lo
; %bb.134:                              ;   in Loop: Header=BB0_12 Depth=1
	s_or_b32 exec_lo, exec_lo, s6
	s_delay_alu instid0(SALU_CYCLE_1)
	s_and_b32 exec_lo, exec_lo, s4
	s_cbranch_execz .LBB0_142
; %bb.135:                              ;   in Loop: Header=BB0_12 Depth=1
	scratch_load_b32 v0, off, off offset:116 ; 4-byte Folded Reload
	s_waitcnt vmcnt(0)
	v_dual_mov_b32 v0, 0x47 :: v_dual_add_nc_u32 v1, s50, v0
	s_delay_alu instid0(VALU_DEP_1) | instskip(NEXT) | instid1(VALU_DEP_1)
	v_cmp_gt_i32_e64 s3, s44, v1
	s_and_b32 s4, s3, vcc_lo
	s_delay_alu instid0(SALU_CYCLE_1)
	s_and_saveexec_b32 s3, s4
	s_cbranch_execz .LBB0_137
; %bb.136:                              ;   in Loop: Header=BB0_12 Depth=1
	s_clause 0x1
	scratch_load_b32 v0, off, off offset:128
	scratch_load_b32 v2, off, off offset:132
	v_mad_u64_u32 v[6:7], null, v1, s45, v[92:93]
	s_waitcnt vmcnt(1)
	v_add_nc_u32_e32 v0, 0, v0
	s_delay_alu instid0(VALU_DEP_1) | instskip(SKIP_4) | instid1(VALU_DEP_1)
	v_add_nc_u32_e32 v0, 0x80, v0
	s_waitcnt vmcnt(0)
	ds_load_2addr_stride64_b32 v[2:3], v2 offset1:9
	ds_load_2addr_stride64_b32 v[4:5], v0 offset1:9
	v_lshl_add_u32 v0, v6, 5, v64
	v_ashrrev_i32_e32 v1, 31, v0
	s_delay_alu instid0(VALU_DEP_1) | instskip(SKIP_3) | instid1(VALU_DEP_2)
	v_lshlrev_b64 v[0:1], 3, v[0:1]
	s_waitcnt lgkmcnt(0)
	v_fma_mix_f32 v6, v4, v2, 0 op_sel_hi:[0,1,0]
	v_fma_mix_f32 v4, v4, v2, 0 op_sel:[0,1,0] op_sel_hi:[0,1,0]
	v_fma_mix_f32 v2, v5, v3, v6 op_sel_hi:[0,1,0]
	s_delay_alu instid0(VALU_DEP_2)
	v_fma_mix_f32 v3, v5, v3, v4 op_sel:[0,1,0] op_sel_hi:[0,1,0]
	v_add_co_u32 v4, vcc_lo, s71, v0
	v_add_co_ci_u32_e32 v5, vcc_lo, s96, v1, vcc_lo
	v_mov_b32_e32 v0, 0
	global_store_b64 v[4:5], v[2:3], off
.LBB0_137:                              ;   in Loop: Header=BB0_12 Depth=1
	s_or_b32 exec_lo, exec_lo, s3
	s_mov_b32 s3, -1
	s_mov_b32 s4, exec_lo
	v_cmpx_gt_i32_e32 0x47, v0
; %bb.138:                              ;   in Loop: Header=BB0_12 Depth=1
	v_cmp_eq_u32_e32 vcc_lo, 0, v0
	s_or_not1_b32 s3, vcc_lo, exec_lo
; %bb.139:                              ;   in Loop: Header=BB0_12 Depth=1
	s_or_b32 exec_lo, exec_lo, s4
	s_delay_alu instid0(SALU_CYCLE_1)
	s_and_b32 exec_lo, exec_lo, s3
	s_cbranch_execz .LBB0_142
; %bb.140:                              ;   in Loop: Header=BB0_12 Depth=1
	s_clause 0x1
	scratch_load_b32 v0, off, off offset:136
	scratch_load_b64 v[1:2], off, off offset:120
	s_waitcnt vmcnt(1)
	v_add_nc_u32_e32 v0, s50, v0
	s_waitcnt vmcnt(0)
	v_or_b32_e32 v1, s53, v1
	s_delay_alu instid0(VALU_DEP_2) | instskip(NEXT) | instid1(VALU_DEP_2)
	v_cmp_gt_i32_e32 vcc_lo, s44, v0
	v_cmp_gt_i32_e64 s3, s14, v1
	s_delay_alu instid0(VALU_DEP_1) | instskip(NEXT) | instid1(SALU_CYCLE_1)
	s_and_b32 s3, vcc_lo, s3
	s_and_b32 exec_lo, exec_lo, s3
	s_cbranch_execz .LBB0_142
; %bb.141:                              ;   in Loop: Header=BB0_12 Depth=1
	scratch_load_b32 v1, off, off offset:140 ; 4-byte Folded Reload
	s_waitcnt vmcnt(0)
	v_add_nc_u32_e32 v1, 0, v1
	s_delay_alu instid0(VALU_DEP_1)
	v_add_nc_u32_e32 v3, 0x80, v1
	scratch_load_b32 v1, off, off offset:144 ; 4-byte Folded Reload
	s_waitcnt vmcnt(0)
	ds_load_2addr_stride64_b32 v[1:2], v1 offset1:9
	ds_load_2addr_stride64_b32 v[3:4], v3 offset1:9
	scratch_load_b64 v[7:8], off, off offset:120 ; 8-byte Folded Reload
	s_waitcnt vmcnt(0)
	v_mad_u64_u32 v[5:6], null, v0, s45, v[7:8]
	s_waitcnt lgkmcnt(0)
	v_fma_mix_f32 v7, v3, v1, 0 op_sel_hi:[0,1,0]
	v_fma_mix_f32 v8, v3, v1, 0 op_sel:[0,1,0] op_sel_hi:[0,1,0]
	s_delay_alu instid0(VALU_DEP_2) | instskip(NEXT) | instid1(VALU_DEP_4)
	v_fma_mix_f32 v3, v4, v2, v7 op_sel_hi:[0,1,0]
	v_lshl_add_u32 v5, v5, 5, v64
	s_delay_alu instid0(VALU_DEP_3) | instskip(NEXT) | instid1(VALU_DEP_2)
	v_fma_mix_f32 v4, v4, v2, v8 op_sel:[0,1,0] op_sel_hi:[0,1,0]
	v_ashrrev_i32_e32 v6, 31, v5
	s_delay_alu instid0(VALU_DEP_1) | instskip(NEXT) | instid1(VALU_DEP_1)
	v_lshlrev_b64 v[0:1], 3, v[5:6]
	v_add_co_u32 v0, vcc_lo, s71, v0
	s_delay_alu instid0(VALU_DEP_2)
	v_add_co_ci_u32_e32 v1, vcc_lo, s96, v1, vcc_lo
	global_store_b64 v[0:1], v[3:4], off
.LBB0_142:                              ;   in Loop: Header=BB0_12 Depth=1
	s_or_b32 exec_lo, exec_lo, s5
	s_waitcnt_vscnt null, 0x0
	s_barrier
	s_branch .LBB0_11
.LBB0_143:                              ;   in Loop: Header=BB0_12 Depth=1
	s_lshl_b32 s101, s101, 3
	v_cmp_gt_i32_e32 vcc_lo, s14, v246
	v_add_nc_u32_e32 v0, s101, v141
	s_xor_b32 s4, vcc_lo, -1
	s_delay_alu instid0(VALU_DEP_1) | instskip(NEXT) | instid1(VALU_DEP_1)
	v_cmp_le_i32_e64 s3, s44, v0
	s_or_b32 s3, s3, s4
	s_delay_alu instid0(SALU_CYCLE_1) | instskip(NEXT) | instid1(SALU_CYCLE_1)
	s_and_saveexec_b32 s5, s3
	s_xor_b32 s3, exec_lo, s5
	s_cbranch_execz .LBB0_145
; %bb.144:                              ;   in Loop: Header=BB0_12 Depth=1
	ds_store_b32 v152, v199
                                        ; implicit-def: $vgpr0
.LBB0_145:                              ;   in Loop: Header=BB0_12 Depth=1
	s_and_not1_saveexec_b32 s3, s3
	s_cbranch_execz .LBB0_147
; %bb.146:                              ;   in Loop: Header=BB0_12 Depth=1
	v_mad_u64_u32 v[1:2], null, v0, s63, v[91:92]
	s_delay_alu instid0(VALU_DEP_1) | instskip(NEXT) | instid1(VALU_DEP_1)
	v_ashrrev_i32_e32 v2, 31, v1
	v_lshlrev_b64 v[0:1], 3, v[1:2]
	s_delay_alu instid0(VALU_DEP_1) | instskip(NEXT) | instid1(VALU_DEP_2)
	v_add_co_u32 v0, vcc_lo, s33, v0
	v_add_co_ci_u32_e32 v1, vcc_lo, s15, v1, vcc_lo
	global_load_b64 v[0:1], v[0:1], off
	s_waitcnt vmcnt(0)
	v_cvt_f16_f32_e32 v0, v0
	v_cvt_f16_f32_e32 v1, v1
	s_delay_alu instid0(VALU_DEP_1) | instskip(NEXT) | instid1(VALU_DEP_1)
	v_pack_b32_f16 v0, v0, v1
	v_pk_mul_f16 v0, v134, v0
	ds_store_b32 v152, v0
.LBB0_147:                              ;   in Loop: Header=BB0_12 Depth=1
	s_or_b32 exec_lo, exec_lo, s3
	v_add_nc_u32_e32 v0, s101, v209
	s_delay_alu instid0(VALU_DEP_1) | instskip(SKIP_1) | instid1(SALU_CYCLE_1)
	v_cmp_le_i32_e32 vcc_lo, s44, v0
	s_or_b32 s3, vcc_lo, s4
	s_and_saveexec_b32 s5, s3
	s_delay_alu instid0(SALU_CYCLE_1)
	s_xor_b32 s3, exec_lo, s5
	s_cbranch_execz .LBB0_149
; %bb.148:                              ;   in Loop: Header=BB0_12 Depth=1
	ds_store_b32 v152, v199 offset:576
                                        ; implicit-def: $vgpr0
.LBB0_149:                              ;   in Loop: Header=BB0_12 Depth=1
	s_and_not1_saveexec_b32 s3, s3
	s_cbranch_execz .LBB0_151
; %bb.150:                              ;   in Loop: Header=BB0_12 Depth=1
	v_mad_u64_u32 v[1:2], null, v0, s63, v[91:92]
	s_delay_alu instid0(VALU_DEP_1) | instskip(NEXT) | instid1(VALU_DEP_1)
	v_ashrrev_i32_e32 v2, 31, v1
	v_lshlrev_b64 v[0:1], 3, v[1:2]
	s_delay_alu instid0(VALU_DEP_1) | instskip(NEXT) | instid1(VALU_DEP_2)
	v_add_co_u32 v0, vcc_lo, s33, v0
	v_add_co_ci_u32_e32 v1, vcc_lo, s15, v1, vcc_lo
	global_load_b64 v[0:1], v[0:1], off
	s_waitcnt vmcnt(0)
	v_cvt_f16_f32_e32 v0, v0
	v_cvt_f16_f32_e32 v1, v1
	s_delay_alu instid0(VALU_DEP_1) | instskip(NEXT) | instid1(VALU_DEP_1)
	v_pack_b32_f16 v0, v0, v1
	v_pk_mul_f16 v0, v134, v0
	ds_store_b32 v152, v0 offset:576
.LBB0_151:                              ;   in Loop: Header=BB0_12 Depth=1
	s_or_b32 exec_lo, exec_lo, s3
	v_add_nc_u32_e32 v0, s101, v210
	s_delay_alu instid0(VALU_DEP_1) | instskip(SKIP_1) | instid1(SALU_CYCLE_1)
	v_cmp_le_i32_e32 vcc_lo, s44, v0
	s_or_b32 s3, vcc_lo, s4
	s_and_saveexec_b32 s5, s3
	s_delay_alu instid0(SALU_CYCLE_1)
	s_xor_b32 s3, exec_lo, s5
	s_cbranch_execz .LBB0_153
; %bb.152:                              ;   in Loop: Header=BB0_12 Depth=1
	ds_store_b32 v152, v199 offset:1152
                                        ; implicit-def: $vgpr0
.LBB0_153:                              ;   in Loop: Header=BB0_12 Depth=1
	s_and_not1_saveexec_b32 s3, s3
	s_cbranch_execz .LBB0_155
; %bb.154:                              ;   in Loop: Header=BB0_12 Depth=1
	v_mad_u64_u32 v[1:2], null, v0, s63, v[91:92]
	s_delay_alu instid0(VALU_DEP_1) | instskip(NEXT) | instid1(VALU_DEP_1)
	v_ashrrev_i32_e32 v2, 31, v1
	v_lshlrev_b64 v[0:1], 3, v[1:2]
	s_delay_alu instid0(VALU_DEP_1) | instskip(NEXT) | instid1(VALU_DEP_2)
	v_add_co_u32 v0, vcc_lo, s33, v0
	v_add_co_ci_u32_e32 v1, vcc_lo, s15, v1, vcc_lo
	global_load_b64 v[0:1], v[0:1], off
	s_waitcnt vmcnt(0)
	v_cvt_f16_f32_e32 v0, v0
	v_cvt_f16_f32_e32 v1, v1
	s_delay_alu instid0(VALU_DEP_1) | instskip(NEXT) | instid1(VALU_DEP_1)
	v_pack_b32_f16 v0, v0, v1
	v_pk_mul_f16 v0, v134, v0
	ds_store_b32 v152, v0 offset:1152
.LBB0_155:                              ;   in Loop: Header=BB0_12 Depth=1
	;; [unrolled: 32-line block ×7, first 2 shown]
	s_or_b32 exec_lo, exec_lo, s3
	v_add_nc_u32_e32 v0, v143, v144
	s_waitcnt lgkmcnt(0)
	s_waitcnt_vscnt null, 0x0
	s_barrier
	buffer_gl0_inv
	s_cmp_gt_i32 s10, 1
	ds_load_b128 v[24:27], v0
	ds_load_b128 v[28:31], v0 offset:16
	ds_load_b128 v[16:19], v0 offset:32
	;; [unrolled: 1-line block ×7, first 2 shown]
	s_waitcnt lgkmcnt(0)
	s_barrier
	buffer_gl0_inv
	s_cbranch_scc1 .LBB0_177
; %bb.176:                              ;   in Loop: Header=BB0_12 Depth=1
	v_dual_mov_b32 v249, 32 :: v_dual_add_nc_u32 v0, s101, v129
	v_add_nc_u32_e32 v1, s101, v132
	v_xor_b32_e32 v248, 16, v243
	s_mov_b32 s15, 0
	s_delay_alu instid0(VALU_DEP_3) | instskip(SKIP_2) | instid1(VALU_DEP_2)
	v_mul_hi_u32 v2, s12, v0
	s_mov_b32 s3, 0xfeffffff
	v_mul_hi_u32 v3, s12, v1
	v_add_nc_u32_e32 v2, v0, v2
	s_delay_alu instid0(VALU_DEP_2) | instskip(NEXT) | instid1(VALU_DEP_2)
	v_add_nc_u32_e32 v3, v1, v3
	v_lshrrev_b32_e32 v2, s13, v2
	s_delay_alu instid0(VALU_DEP_2) | instskip(NEXT) | instid1(VALU_DEP_2)
	v_lshrrev_b32_e32 v3, s13, v3
	v_mul_lo_u32 v2, v2, s44
	s_delay_alu instid0(VALU_DEP_2) | instskip(NEXT) | instid1(VALU_DEP_2)
	v_mul_lo_u32 v3, v3, s44
	v_sub_nc_u32_e32 v0, v0, v2
	s_delay_alu instid0(VALU_DEP_2) | instskip(NEXT) | instid1(VALU_DEP_2)
	v_sub_nc_u32_e32 v1, v1, v3
	v_mad_i64_i32 v[97:98], null, v0, s52, 0
	s_delay_alu instid0(VALU_DEP_2)
	v_mad_i64_i32 v[95:96], null, v1, s52, 0
	s_branch .LBB0_178
.LBB0_177:                              ;   in Loop: Header=BB0_12 Depth=1
	s_mov_b32 s15, -1
                                        ; implicit-def: $sgpr3
                                        ; implicit-def: $vgpr97_vgpr98
                                        ; implicit-def: $vgpr95_vgpr96
                                        ; implicit-def: $vgpr248
                                        ; implicit-def: $vgpr249
.LBB0_178:                              ;   in Loop: Header=BB0_12 Depth=1
	s_delay_alu instid0(SALU_CYCLE_1)
	v_dual_mov_b32 v15, s15 :: v_dual_mov_b32 v246, s15
	v_dual_mov_b32 v247, s3 :: v_dual_mov_b32 v14, s15
	;; [unrolled: 1-line block ×9, first 2 shown]
	s_and_not1_b32 vcc_lo, exec_lo, s15
	s_cbranch_vccnz .LBB0_181
; %bb.179:                              ;   in Loop: Header=BB0_12 Depth=1
	v_dual_mov_b32 v249, 32 :: v_dual_add_nc_u32 v0, s101, v129
	v_add_nc_u32_e32 v1, s101, v132
	s_add_i32 s15, s10, -1
	v_xor_b32_e32 v248, 16, v243
	s_delay_alu instid0(VALU_DEP_3)
	v_mul_hi_u32 v2, s12, v0
	s_add_u32 s3, vcc_hi, s68
	v_mul_hi_u32 v3, s12, v1
	s_addc_u32 s4, s64, s67
	v_add_co_u32 v250, vcc_lo, v227, s3
	v_add_co_ci_u32_e32 v251, vcc_lo, s4, v228, vcc_lo
	s_delay_alu instid0(VALU_DEP_4) | instskip(SKIP_3) | instid1(VALU_DEP_4)
	v_dual_mov_b32 v247, 0xfeffffff :: v_dual_add_nc_u32 v2, v0, v2
	v_cmp_gt_i32_e32 vcc_lo, 32, v248
	v_add_nc_u32_e32 v3, v1, v3
	v_readlane_b32 s6, v255, 5
	v_lshrrev_b32_e32 v2, s13, v2
	s_mov_b32 s33, s15
	v_cndmask_b32_e32 v4, v243, v248, vcc_lo
	v_lshrrev_b32_e32 v3, s13, v3
	v_add_co_u32 v252, vcc_lo, v229, s3
	v_mul_lo_u32 v2, v2, s44
	s_delay_alu instid0(VALU_DEP_4) | instskip(NEXT) | instid1(VALU_DEP_4)
	v_lshlrev_b32_e32 v254, 2, v4
	v_mul_lo_u32 v3, v3, s44
	v_add_co_ci_u32_e32 v253, vcc_lo, s4, v230, vcc_lo
	v_readlane_b32 s7, v255, 6
	v_sub_nc_u32_e32 v2, v0, v2
	s_delay_alu instid0(VALU_DEP_4) | instskip(NEXT) | instid1(VALU_DEP_2)
	v_sub_nc_u32_e32 v4, v1, v3
	v_mad_i64_i32 v[0:1], null, s6, v2, v[93:94]
	v_mad_i64_i32 v[97:98], null, v2, s52, 0
	s_delay_alu instid0(VALU_DEP_3) | instskip(SKIP_1) | instid1(VALU_DEP_4)
	v_mad_i64_i32 v[2:3], null, s6, v4, v[93:94]
	v_mad_i64_i32 v[95:96], null, v4, s52, 0
	v_add_co_u32 v93, vcc_lo, v225, v0
	v_add_co_ci_u32_e32 v94, vcc_lo, v226, v1, vcc_lo
	s_delay_alu instid0(VALU_DEP_4)
	v_add_co_u32 v99, vcc_lo, v225, v2
	v_add_co_ci_u32_e32 v100, vcc_lo, v226, v3, vcc_lo
	v_add_co_u32 v192, vcc_lo, v231, s3
	v_add_co_ci_u32_e32 v194, vcc_lo, s4, v232, vcc_lo
	v_add_co_u32 v195, vcc_lo, v233, s3
	s_add_u32 s3, s11, s103
	v_add_co_ci_u32_e32 v193, vcc_lo, s4, v234, vcc_lo
	s_addc_u32 s4, s102, s104
	v_add_co_u32 v189, vcc_lo, v235, s3
	v_add_co_ci_u32_e32 v190, vcc_lo, s4, v236, vcc_lo
	v_add_co_u32 v191, vcc_lo, v237, s3
	v_add_co_ci_u32_e32 v187, vcc_lo, s4, v238, vcc_lo
	v_add_co_u32 v188, vcc_lo, v239, s3
	v_mov_b32_e32 v0, 0
	v_add_co_ci_u32_e32 v184, vcc_lo, s4, v240, vcc_lo
	v_add_co_u32 v185, vcc_lo, v241, s3
	s_delay_alu instid0(VALU_DEP_3)
	v_mov_b32_e32 v1, v0
	v_add_co_ci_u32_e32 v186, vcc_lo, s4, v242, vcc_lo
	v_dual_mov_b32 v246, 0 :: v_dual_mov_b32 v3, v0
	v_mov_b32_e32 v2, v0
	v_mov_b32_e32 v4, v0
	;; [unrolled: 1-line block ×13, first 2 shown]
.LBB0_180:                              ;   Parent Loop BB0_12 Depth=1
                                        ; =>  This Inner Loop Header: Depth=2
	global_load_b32 v49, v[93:94], off
	global_load_b32 v50, v[99:100], off
	v_add_nc_u32_e32 v48, v146, v200
	v_dual_mov_b32 v108, s43 :: v_dual_add_nc_u32 v87, v148, v145
	v_mov_b32_e32 v107, s42
	s_delay_alu instid0(VALU_DEP_3)
	v_dual_mov_b32 v105, s40 :: v_dual_add_nc_u32 v48, 0x2400, v48
	v_dual_mov_b32 v106, s41 :: v_dual_mov_b32 v103, s38
	v_dual_mov_b32 v104, s39 :: v_dual_mov_b32 v101, s36
	v_mov_b32_e32 v102, s37
	v_cmp_eq_u32_e64 s3, 0, v201
	v_cmp_eq_u32_e64 s4, 0, v142
	;; [unrolled: 1-line block ×3, first 2 shown]
	v_add_nc_u32_e32 v175, 0x800, v150
	s_add_i32 s33, s33, -1
	s_delay_alu instid0(SALU_CYCLE_1)
	s_cmp_lg_u32 s33, 0
	s_waitcnt vmcnt(0)
	ds_store_2addr_b32 v48, v49, v50 offset1:144
	v_add_co_u32 v48, vcc_lo, v189, v196
	v_add_co_ci_u32_e32 v49, vcc_lo, 0, v190, vcc_lo
	global_load_b128 v[48:51], v[48:49], off
	s_waitcnt vmcnt(0)
	ds_store_b128 v147, v[48:51]
	v_add_co_u32 v48, vcc_lo, v191, v196
	v_add_co_ci_u32_e32 v49, vcc_lo, 0, v187, vcc_lo
	v_add_co_u32 v191, s10, v191, s74
	global_load_b128 v[48:51], v[48:49], off
	s_waitcnt vmcnt(0)
	ds_store_b128 v202, v[48:51]
	v_add_co_u32 v48, vcc_lo, v188, v196
	v_add_co_ci_u32_e32 v49, vcc_lo, 0, v184, vcc_lo
	v_add_co_u32 v188, s11, v188, s74
	global_load_b128 v[48:51], v[48:49], off
	s_waitcnt vmcnt(0)
	ds_store_b128 v203, v[48:51]
	v_add_co_u32 v48, vcc_lo, v185, v196
	v_add_co_ci_u32_e32 v49, vcc_lo, 0, v186, vcc_lo
	global_load_b128 v[48:51], v[48:49], off
	s_waitcnt vmcnt(0)
	ds_store_b128 v204, v[48:51]
	s_waitcnt lgkmcnt(0)
	s_barrier
	buffer_gl0_inv
	ds_load_b128 v[48:51], v87
	ds_load_b128 v[52:55], v87 offset:16
	ds_load_b128 v[56:59], v87 offset:4608
	;; [unrolled: 1-line block ×3, first 2 shown]
	s_waitcnt lgkmcnt(2)
	v_wmma_f32_16x16x16_f16 v[109:116], v[48:55], v[24:31], v[101:108]
	ds_load_b128 v[48:51], v87 offset:32
	ds_load_b128 v[52:55], v87 offset:48
	s_waitcnt lgkmcnt(2)
	v_wmma_f32_16x16x16_f16 v[117:124], v[56:63], v[24:31], v[101:108]
	s_waitcnt lgkmcnt(0)
	v_wmma_f32_16x16x16_f16 v[109:116], v[48:55], v[16:23], v[109:116]
	ds_load_b128 v[48:51], v87 offset:4640
	ds_load_b128 v[52:55], v87 offset:4656
	s_waitcnt lgkmcnt(0)
	v_wmma_f32_16x16x16_f16 v[117:124], v[48:55], v[16:23], v[117:124]
	ds_load_b128 v[48:51], v87 offset:64
	ds_load_b128 v[52:55], v87 offset:80
	;; [unrolled: 4-line block ×5, first 2 shown]
	s_waitcnt lgkmcnt(0)
	s_barrier
	buffer_gl0_inv
	v_wmma_f32_16x16x16_f16 v[117:124], v[48:55], v[40:47], v[117:124]
	ds_load_u16 v48, v149 offset:9216
	ds_load_u16 v49, v149 offset:9220
	;; [unrolled: 1-line block ×8, first 2 shown]
	s_waitcnt lgkmcnt(7)
	v_cvt_f32_f16_e32 v48, v48
	s_waitcnt lgkmcnt(6)
	v_cvt_f32_f16_e32 v49, v49
	;; [unrolled: 2-line block ×5, first 2 shown]
	v_dual_add_f32 v63, v109, v48 :: v_dual_add_f32 v62, v110, v49
	v_add_f32_e32 v61, v111, v50
	ds_load_u16 v48, v205 offset:64
	ds_load_u16 v49, v205 offset:68
	v_dual_add_f32 v60, v112, v51 :: v_dual_add_f32 v59, v113, v52
	s_waitcnt lgkmcnt(4)
	v_cvt_f32_f16_e32 v53, v53
	s_waitcnt lgkmcnt(3)
	v_cvt_f32_f16_e32 v54, v54
	;; [unrolled: 2-line block ×3, first 2 shown]
	s_delay_alu instid0(VALU_DEP_2)
	v_dual_add_f32 v58, v114, v53 :: v_dual_add_f32 v57, v115, v54
	s_waitcnt lgkmcnt(1)
	v_cvt_f32_f16_e32 v48, v48
	s_waitcnt lgkmcnt(0)
	v_cvt_f32_f16_e32 v50, v49
	ds_load_u16 v49, v205 offset:72
	v_add_f32_e32 v56, v116, v55
	s_waitcnt lgkmcnt(0)
	v_cvt_f32_f16_e32 v51, v49
	ds_load_u16 v49, v205 offset:76
	s_waitcnt lgkmcnt(0)
	v_cvt_f32_f16_e32 v52, v49
	ds_load_u16 v49, v205 offset:80
	s_waitcnt lgkmcnt(0)
	v_cvt_f32_f16_e32 v53, v49
	ds_load_u16 v49, v205 offset:84
	s_waitcnt lgkmcnt(0)
	v_cvt_f32_f16_e32 v54, v49
	ds_load_u16 v49, v205 offset:88
	s_waitcnt lgkmcnt(0)
	v_cvt_f32_f16_e32 v55, v49
	ds_load_u16 v49, v205 offset:92
	s_waitcnt lgkmcnt(0)
	v_cvt_f32_f16_e32 v87, v49
	v_dual_add_f32 v49, v117, v48 :: v_dual_add_f32 v48, v118, v50
	v_dual_add_f32 v50, v119, v51 :: v_dual_add_f32 v51, v120, v52
	;; [unrolled: 1-line block ×3, first 2 shown]
	v_add_f32_e32 v54, v123, v55
	v_add_f32_e32 v55, v124, v87
	v_add_co_u32 v87, vcc_lo, v250, v196
	v_add_co_ci_u32_e32 v88, vcc_lo, 0, v251, vcc_lo
	global_load_b128 v[87:90], v[87:88], off
	s_waitcnt vmcnt(0)
	ds_store_b128 v147, v[87:90]
	v_add_co_u32 v87, vcc_lo, v252, v196
	v_add_co_ci_u32_e32 v88, vcc_lo, 0, v253, vcc_lo
	global_load_b128 v[87:90], v[87:88], off
	s_waitcnt vmcnt(0)
	ds_store_b128 v202, v[87:90]
	;; [unrolled: 5-line block ×3, first 2 shown]
	v_add_co_u32 v87, vcc_lo, v195, v196
	v_add_co_ci_u32_e32 v88, vcc_lo, 0, v193, vcc_lo
	v_cmp_eq_u32_e32 vcc_lo, 1, v201
	global_load_b128 v[87:90], v[87:88], off
	s_waitcnt vmcnt(0)
	ds_store_b128 v204, v[87:90]
	v_add_f32_e32 v89, 0x40051340, v62
	v_dual_mov_b32 v87, v247 :: v_dual_add_f32 v88, 0x40051340, v63
	v_add_f32_e32 v90, 0x40051340, v60
	s_waitcnt lgkmcnt(0)
	s_barrier
	buffer_gl0_inv
	v_max3_f32 v88, v87, v88, v89
	v_add_f32_e32 v89, 0x40051340, v61
	s_delay_alu instid0(VALU_DEP_1) | instskip(SKIP_1) | instid1(VALU_DEP_1)
	v_max3_f32 v88, v88, v89, v90
	v_dual_add_f32 v89, 0x40051340, v59 :: v_dual_add_f32 v90, 0x40051340, v58
	v_max3_f32 v88, v88, v89, v90
	v_dual_add_f32 v89, 0x40051340, v57 :: v_dual_add_f32 v90, 0x40051340, v56
	s_delay_alu instid0(VALU_DEP_1) | instskip(SKIP_1) | instid1(VALU_DEP_1)
	v_max3_f32 v88, v88, v89, v90
	v_dual_add_f32 v89, 0x40051340, v49 :: v_dual_add_f32 v90, 0x40051340, v48
	v_max3_f32 v88, v88, v89, v90
	v_dual_add_f32 v89, 0x40051340, v50 :: v_dual_add_f32 v90, 0x40051340, v51
	;; [unrolled: 5-line block ×3, first 2 shown]
	s_delay_alu instid0(VALU_DEP_1) | instskip(SKIP_3) | instid1(VALU_DEP_1)
	v_max3_f32 v88, v88, v89, v90
	ds_bpermute_b32 v89, v254, v88
	s_waitcnt lgkmcnt(0)
	v_max_f32_e32 v89, v89, v89
	v_max_f32_e32 v247, v88, v89
	s_delay_alu instid0(VALU_DEP_1) | instskip(SKIP_1) | instid1(VALU_DEP_2)
	v_sub_f32_e32 v63, v63, v247
	v_sub_f32_e32 v62, v62, v247
	v_mul_f32_e32 v88, 0x3fb8aa3b, v63
	v_cmp_ngt_f32_e64 s6, 0xc2ce8ed0, v63
	v_cmp_nlt_f32_e64 s7, 0x42b17218, v63
	s_delay_alu instid0(VALU_DEP_4) | instskip(SKIP_2) | instid1(VALU_DEP_1)
	v_cmp_ngt_f32_e64 s8, 0xc2ce8ed0, v62
	v_cmp_nlt_f32_e64 s9, 0x42b17218, v62
	v_fma_f32 v89, 0x3fb8aa3b, v63, -v88
	v_fmac_f32_e32 v89, 0x32a5705f, v63
	v_mul_f32_e32 v63, 0x3fb8aa3b, v62
	s_delay_alu instid0(VALU_DEP_1) | instskip(NEXT) | instid1(VALU_DEP_1)
	v_fma_f32 v90, 0x3fb8aa3b, v62, -v63
	v_fmac_f32_e32 v90, 0x32a5705f, v62
	v_rndne_f32_e32 v62, v88
	v_sub_f32_e32 v61, v61, v247
	v_sub_f32_e32 v59, v59, v247
	;; [unrolled: 1-line block ×3, first 2 shown]
	s_delay_alu instid0(VALU_DEP_4)
	v_dual_sub_f32 v57, v57, v247 :: v_dual_sub_f32 v88, v88, v62
	v_cvt_i32_f32_e32 v62, v62
	v_sub_f32_e32 v56, v56, v247
	v_sub_f32_e32 v49, v49, v247
	;; [unrolled: 1-line block ×3, first 2 shown]
	v_add_f32_e32 v88, v88, v89
	v_rndne_f32_e32 v89, v63
	v_sub_f32_e32 v51, v51, v247
	v_sub_f32_e32 v53, v53, v247
	;; [unrolled: 1-line block ×3, first 2 shown]
	v_exp_f32_e32 v88, v88
	v_dual_sub_f32 v63, v63, v89 :: v_dual_sub_f32 v48, v48, v247
	v_sub_f32_e32 v50, v50, v247
	s_delay_alu instid0(VALU_DEP_2) | instskip(SKIP_4) | instid1(VALU_DEP_2)
	v_dual_sub_f32 v54, v54, v247 :: v_dual_add_f32 v63, v63, v90
	s_waitcnt_depctr 0xfff
	v_ldexp_f32 v62, v88, v62
	v_exp_f32_e32 v63, v63
	v_cvt_i32_f32_e32 v88, v89
	v_cndmask_b32_e64 v62, 0, v62, s6
	v_cmp_ngt_f32_e64 s6, 0xc2ce8ed0, v61
	s_delay_alu instid0(VALU_DEP_2)
	v_cndmask_b32_e64 v90, 0x7f800000, v62, s7
	s_waitcnt_depctr 0xfff
	v_ldexp_f32 v63, v63, v88
	v_cmp_nlt_f32_e64 s7, 0x42b17218, v61
	ds_bpermute_b32 v62, v254, v90
	v_cndmask_b32_e64 v63, 0, v63, s8
	s_delay_alu instid0(VALU_DEP_1)
	v_cndmask_b32_e64 v181, 0x7f800000, v63, s9
	v_cmp_nlt_f32_e64 s9, 0x42b17218, v48
	ds_bpermute_b32 v88, v254, v181
	s_waitcnt lgkmcnt(1)
	v_cndmask_b32_e32 v63, v90, v62, vcc_lo
	v_cndmask_b32_e64 v62, v90, v62, s3
	s_delay_alu instid0(VALU_DEP_2) | instskip(NEXT) | instid1(VALU_DEP_2)
	v_cndmask_b32_e64 v101, v63, v181, s5
	v_cndmask_b32_e64 v89, v62, v181, s4
	v_cvt_f16_f32_e32 v62, v62
	v_cvt_f16_f32_e32 v63, v63
	s_waitcnt lgkmcnt(0)
	s_delay_alu instid0(VALU_DEP_3) | instskip(SKIP_1) | instid1(VALU_DEP_3)
	v_cndmask_b32_e64 v89, v89, v88, s3
	v_cndmask_b32_e32 v88, v101, v88, vcc_lo
	v_pack_b32_f16 v101, v62, v63
	v_mul_f32_e32 v62, 0x3fb8aa3b, v61
	s_delay_alu instid0(VALU_DEP_4) | instskip(NEXT) | instid1(VALU_DEP_4)
	v_cvt_f16_f32_e32 v102, v89
	v_cvt_f16_f32_e32 v103, v88
	s_delay_alu instid0(VALU_DEP_3) | instskip(NEXT) | instid1(VALU_DEP_2)
	v_fma_f32 v63, 0x3fb8aa3b, v61, -v62
	v_pack_b32_f16 v102, v102, v103
	s_delay_alu instid0(VALU_DEP_2) | instskip(SKIP_1) | instid1(VALU_DEP_1)
	v_fmac_f32_e32 v63, 0x32a5705f, v61
	v_rndne_f32_e32 v61, v62
	v_sub_f32_e32 v62, v62, v61
	v_cvt_i32_f32_e32 v61, v61
	s_delay_alu instid0(VALU_DEP_2) | instskip(NEXT) | instid1(VALU_DEP_1)
	v_add_f32_e32 v62, v62, v63
	v_exp_f32_e32 v62, v62
	s_waitcnt_depctr 0xfff
	v_ldexp_f32 v61, v62, v61
	s_delay_alu instid0(VALU_DEP_1) | instskip(SKIP_1) | instid1(VALU_DEP_2)
	v_cndmask_b32_e64 v61, 0, v61, s6
	v_cmp_ngt_f32_e64 s6, 0xc2ce8ed0, v60
	v_cndmask_b32_e64 v223, 0x7f800000, v61, s7
	v_cmp_nlt_f32_e64 s7, 0x42b17218, v60
	ds_bpermute_b32 v63, v254, v223
	v_cndmask_b32_e64 v61, v89, v223, s4
	v_cndmask_b32_e64 v62, v88, v223, s5
	s_waitcnt lgkmcnt(0)
	s_delay_alu instid0(VALU_DEP_2) | instskip(NEXT) | instid1(VALU_DEP_2)
	v_cndmask_b32_e64 v61, v61, v63, s3
	v_cndmask_b32_e32 v62, v62, v63, vcc_lo
	s_delay_alu instid0(VALU_DEP_2) | instskip(NEXT) | instid1(VALU_DEP_2)
	v_cvt_f16_f32_e32 v63, v61
	v_cvt_f16_f32_e32 v88, v62
	s_delay_alu instid0(VALU_DEP_1) | instskip(SKIP_1) | instid1(VALU_DEP_1)
	v_pack_b32_f16 v103, v63, v88
	v_mul_f32_e32 v63, 0x3fb8aa3b, v60
	v_fma_f32 v88, 0x3fb8aa3b, v60, -v63
	s_delay_alu instid0(VALU_DEP_1) | instskip(SKIP_1) | instid1(VALU_DEP_1)
	v_fmac_f32_e32 v88, 0x32a5705f, v60
	v_rndne_f32_e32 v60, v63
	v_sub_f32_e32 v63, v63, v60
	v_cvt_i32_f32_e32 v60, v60
	s_delay_alu instid0(VALU_DEP_2) | instskip(NEXT) | instid1(VALU_DEP_1)
	v_add_f32_e32 v63, v63, v88
	v_exp_f32_e32 v63, v63
	s_waitcnt_depctr 0xfff
	v_ldexp_f32 v60, v63, v60
	s_delay_alu instid0(VALU_DEP_1) | instskip(SKIP_1) | instid1(VALU_DEP_2)
	v_cndmask_b32_e64 v60, 0, v60, s6
	v_cmp_ngt_f32_e64 s6, 0xc2ce8ed0, v59
	v_cndmask_b32_e64 v224, 0x7f800000, v60, s7
	v_cmp_nlt_f32_e64 s7, 0x42b17218, v59
	s_delay_alu instid0(VALU_DEP_2)
	v_cndmask_b32_e64 v60, v61, v224, s4
	v_cndmask_b32_e64 v61, v62, v224, s5
	ds_bpermute_b32 v62, v254, v224
	s_waitcnt lgkmcnt(0)
	v_cndmask_b32_e64 v60, v60, v62, s3
	v_cndmask_b32_e32 v61, v61, v62, vcc_lo
	s_delay_alu instid0(VALU_DEP_2) | instskip(NEXT) | instid1(VALU_DEP_2)
	v_cvt_f16_f32_e32 v62, v60
	v_cvt_f16_f32_e32 v63, v61
	s_delay_alu instid0(VALU_DEP_1) | instskip(SKIP_1) | instid1(VALU_DEP_1)
	v_pack_b32_f16 v104, v62, v63
	v_mul_f32_e32 v62, 0x3fb8aa3b, v59
	v_fma_f32 v63, 0x3fb8aa3b, v59, -v62
	s_delay_alu instid0(VALU_DEP_1) | instskip(SKIP_1) | instid1(VALU_DEP_1)
	v_fmac_f32_e32 v63, 0x32a5705f, v59
	v_rndne_f32_e32 v59, v62
	v_sub_f32_e32 v62, v62, v59
	v_cvt_i32_f32_e32 v59, v59
	s_delay_alu instid0(VALU_DEP_2) | instskip(NEXT) | instid1(VALU_DEP_1)
	v_dual_add_f32 v62, v62, v63 :: v_dual_add_nc_u32 v63, 0x400, v150
	v_exp_f32_e32 v62, v62
	s_waitcnt_depctr 0xfff
	v_ldexp_f32 v59, v62, v59
	s_delay_alu instid0(VALU_DEP_1) | instskip(SKIP_1) | instid1(VALU_DEP_2)
	v_cndmask_b32_e64 v59, 0, v59, s6
	v_cmp_ngt_f32_e64 s6, 0xc2ce8ed0, v58
	v_cndmask_b32_e64 v182, 0x7f800000, v59, s7
	v_cmp_nlt_f32_e64 s7, 0x42b17218, v58
	s_delay_alu instid0(VALU_DEP_2)
	v_cndmask_b32_e64 v59, v60, v182, s4
	v_cndmask_b32_e64 v60, v61, v182, s5
	ds_bpermute_b32 v61, v254, v182
	s_waitcnt lgkmcnt(0)
	v_cndmask_b32_e64 v59, v59, v61, s3
	v_cndmask_b32_e32 v60, v60, v61, vcc_lo
	s_delay_alu instid0(VALU_DEP_2) | instskip(NEXT) | instid1(VALU_DEP_2)
	v_cvt_f16_f32_e32 v61, v59
	v_cvt_f16_f32_e32 v62, v60
	s_delay_alu instid0(VALU_DEP_1) | instskip(SKIP_1) | instid1(VALU_DEP_1)
	v_pack_b32_f16 v105, v61, v62
	v_mul_f32_e32 v61, 0x3fb8aa3b, v58
	v_fma_f32 v62, 0x3fb8aa3b, v58, -v61
	s_delay_alu instid0(VALU_DEP_1) | instskip(SKIP_1) | instid1(VALU_DEP_1)
	v_fmac_f32_e32 v62, 0x32a5705f, v58
	v_rndne_f32_e32 v58, v61
	v_sub_f32_e32 v61, v61, v58
	v_cvt_i32_f32_e32 v58, v58
	s_delay_alu instid0(VALU_DEP_2) | instskip(NEXT) | instid1(VALU_DEP_1)
	v_add_f32_e32 v61, v61, v62
	v_exp_f32_e32 v61, v61
	s_waitcnt_depctr 0xfff
	v_ldexp_f32 v58, v61, v58
	s_delay_alu instid0(VALU_DEP_1) | instskip(SKIP_1) | instid1(VALU_DEP_2)
	v_cndmask_b32_e64 v58, 0, v58, s6
	v_cmp_ngt_f32_e64 s6, 0xc2ce8ed0, v57
	v_cndmask_b32_e64 v89, 0x7f800000, v58, s7
	v_cmp_nlt_f32_e64 s7, 0x42b17218, v57
	s_delay_alu instid0(VALU_DEP_2)
	v_cndmask_b32_e64 v58, v59, v89, s4
	v_cndmask_b32_e64 v59, v60, v89, s5
	ds_bpermute_b32 v60, v254, v89
	s_waitcnt lgkmcnt(0)
	v_cndmask_b32_e64 v58, v58, v60, s3
	v_cndmask_b32_e32 v59, v59, v60, vcc_lo
	s_delay_alu instid0(VALU_DEP_2) | instskip(NEXT) | instid1(VALU_DEP_2)
	v_cvt_f16_f32_e32 v60, v58
	v_cvt_f16_f32_e32 v61, v59
	s_delay_alu instid0(VALU_DEP_1) | instskip(SKIP_1) | instid1(VALU_DEP_1)
	v_pack_b32_f16 v106, v60, v61
	v_mul_f32_e32 v60, 0x3fb8aa3b, v57
	v_fma_f32 v61, 0x3fb8aa3b, v57, -v60
	s_delay_alu instid0(VALU_DEP_1) | instskip(SKIP_1) | instid1(VALU_DEP_1)
	v_fmac_f32_e32 v61, 0x32a5705f, v57
	v_rndne_f32_e32 v57, v60
	v_sub_f32_e32 v60, v60, v57
	v_cvt_i32_f32_e32 v57, v57
	s_delay_alu instid0(VALU_DEP_2) | instskip(NEXT) | instid1(VALU_DEP_1)
	v_add_f32_e32 v60, v60, v61
	v_exp_f32_e32 v60, v60
	s_waitcnt_depctr 0xfff
	v_ldexp_f32 v57, v60, v57
	s_delay_alu instid0(VALU_DEP_1) | instskip(SKIP_1) | instid1(VALU_DEP_2)
	v_cndmask_b32_e64 v57, 0, v57, s6
	v_cmp_ngt_f32_e64 s6, 0xc2ce8ed0, v56
	v_cndmask_b32_e64 v222, 0x7f800000, v57, s7
	v_cmp_nlt_f32_e64 s7, 0x42b17218, v56
	s_delay_alu instid0(VALU_DEP_2)
	v_cndmask_b32_e64 v57, v58, v222, s4
	v_cndmask_b32_e64 v58, v59, v222, s5
	ds_bpermute_b32 v59, v254, v222
	s_waitcnt lgkmcnt(0)
	v_cndmask_b32_e32 v58, v58, v59, vcc_lo
	v_cndmask_b32_e64 v57, v57, v59, s3
	s_delay_alu instid0(VALU_DEP_2) | instskip(NEXT) | instid1(VALU_DEP_2)
	v_cvt_f16_f32_e32 v60, v58
	v_cvt_f16_f32_e32 v59, v57
	s_delay_alu instid0(VALU_DEP_1) | instskip(SKIP_1) | instid1(VALU_DEP_1)
	v_pack_b32_f16 v107, v59, v60
	v_mul_f32_e32 v59, 0x3fb8aa3b, v56
	v_fma_f32 v60, 0x3fb8aa3b, v56, -v59
	s_delay_alu instid0(VALU_DEP_1) | instskip(SKIP_1) | instid1(VALU_DEP_1)
	v_fmac_f32_e32 v60, 0x32a5705f, v56
	v_rndne_f32_e32 v56, v59
	v_sub_f32_e32 v59, v59, v56
	v_cvt_i32_f32_e32 v56, v56
	s_delay_alu instid0(VALU_DEP_2) | instskip(NEXT) | instid1(VALU_DEP_1)
	v_add_f32_e32 v59, v59, v60
	v_exp_f32_e32 v59, v59
	s_waitcnt_depctr 0xfff
	v_ldexp_f32 v56, v59, v56
	s_delay_alu instid0(VALU_DEP_1) | instskip(NEXT) | instid1(VALU_DEP_1)
	v_cndmask_b32_e64 v56, 0, v56, s6
	v_cndmask_b32_e64 v178, 0x7f800000, v56, s7
	v_sub_f32_e32 v55, v55, v247
	s_delay_alu instid0(VALU_DEP_2)
	v_cndmask_b32_e64 v56, v57, v178, s4
	v_cndmask_b32_e64 v57, v58, v178, s5
	ds_bpermute_b32 v58, v254, v178
	s_waitcnt lgkmcnt(0)
	v_cndmask_b32_e64 v56, v56, v58, s3
	v_cndmask_b32_e32 v57, v57, v58, vcc_lo
	s_delay_alu instid0(VALU_DEP_2) | instskip(NEXT) | instid1(VALU_DEP_2)
	v_cvt_f16_f32_e32 v56, v56
	v_cvt_f16_f32_e32 v57, v57
	s_delay_alu instid0(VALU_DEP_1)
	v_pack_b32_f16 v108, v56, v57
	v_sub_f32_e32 v56, v87, v247
	ds_load_2addr_b32 v[87:88], v150 offset1:16
	ds_load_2addr_b32 v[109:110], v150 offset0:36 offset1:52
	ds_load_2addr_b32 v[111:112], v150 offset0:72 offset1:88
	;; [unrolled: 1-line block ×8, first 2 shown]
	v_mul_f32_e32 v57, 0x3fb8aa3b, v56
	v_cmp_ngt_f32_e64 s6, 0xc2ce8ed0, v56
	v_cmp_nlt_f32_e64 s7, 0x42b17218, v56
	v_cmp_le_f32_e64 s8, 0xc1a00000, v56
	ds_load_2addr_b32 v[125:126], v63 offset0:104 offset1:120
	ds_load_2addr_b32 v[127:128], v63 offset0:140 offset1:156
	v_fma_f32 v58, 0x3fb8aa3b, v56, -v57
	ds_load_2addr_b32 v[171:172], v63 offset0:176 offset1:212
	ds_load_2addr_b32 v[173:174], v63 offset0:228 offset1:248
	;; [unrolled: 1-line block ×3, first 2 shown]
	ds_load_b32 v180, v150 offset:2224
	v_fmac_f32_e32 v58, 0x32a5705f, v56
	v_rndne_f32_e32 v56, v57
	s_delay_alu instid0(VALU_DEP_1)
	v_sub_f32_e32 v57, v57, v56
	v_cvt_i32_f32_e32 v56, v56
	s_waitcnt lgkmcnt(8)
	v_perm_b32 v59, v120, v118, 0x5040100
	s_waitcnt lgkmcnt(6)
	v_perm_b32 v60, v123, v122, 0x5040100
	v_add_f32_e32 v57, v57, v58
	v_perm_b32 v58, v116, v115, 0x5040100
	s_waitcnt lgkmcnt(4)
	v_perm_b32 v61, v127, v125, 0x5040100
	s_delay_alu instid0(VALU_DEP_3)
	v_exp_f32_e32 v57, v57
	s_waitcnt lgkmcnt(3)
	v_perm_b32 v62, v172, v171, 0x5040100
	s_waitcnt lgkmcnt(1)
	v_perm_b32 v63, v176, v174, 0x5040100
	s_waitcnt_depctr 0xfff
	v_ldexp_f32 v56, v57, v56
	v_perm_b32 v57, v113, v111, 0x5040100
	s_delay_alu instid0(VALU_DEP_2) | instskip(SKIP_1) | instid1(VALU_DEP_2)
	v_cndmask_b32_e64 v56, 0, v56, s6
	v_cmp_ngt_f32_e64 s6, 0xc2ce8ed0, v49
	v_cndmask_b32_e64 v56, 0x7f800000, v56, s7
	v_cmp_nlt_f32_e64 s7, 0x42b17218, v49
	s_delay_alu instid0(VALU_DEP_2) | instskip(SKIP_2) | instid1(VALU_DEP_3)
	v_cndmask_b32_e64 v179, 0, v56, s8
	v_perm_b32 v56, v109, v87, 0x5040100
	v_cmp_ngt_f32_e64 s8, 0xc2ce8ed0, v48
	v_cvt_f16_f32_e64 v177, v179
	s_delay_alu instid0(VALU_DEP_1)
	v_pk_mul_f16 v0, v177, v0 op_sel_hi:[0,1]
	v_pk_mul_f16 v1, v177, v1 op_sel_hi:[0,1]
	v_pk_mul_f16 v2, v177, v2 op_sel_hi:[0,1]
	v_pk_mul_f16 v3, v177, v3 op_sel_hi:[0,1]
	v_pk_mul_f16 v4, v177, v4 op_sel_hi:[0,1]
	v_pk_mul_f16 v5, v177, v5 op_sel_hi:[0,1]
	v_pk_mul_f16 v6, v177, v6 op_sel_hi:[0,1]
	v_pk_mul_f16 v7, v177, v7 op_sel_hi:[0,1]
	v_pk_mul_f16 v8, v177, v8 op_sel_hi:[0,1]
	v_pk_mul_f16 v9, v177, v9 op_sel_hi:[0,1]
	v_pk_mul_f16 v10, v177, v10 op_sel_hi:[0,1]
	v_pk_mul_f16 v11, v177, v11 op_sel_hi:[0,1]
	v_wmma_f16_16x16x16_f16 v[0:7], v[56:63], v[101:108], v[0:7]
	v_add_nc_u32_e32 v58, 0x200, v207
	v_pk_mul_f16 v12, v177, v12 op_sel_hi:[0,1]
	v_pk_mul_f16 v13, v177, v13 op_sel_hi:[0,1]
	;; [unrolled: 1-line block ×4, first 2 shown]
	ds_load_2addr_b32 v[220:221], v58 offset0:16 offset1:160
	ds_load_b32 v177, v207 offset:1728
	v_perm_b32 v56, v110, v88, 0x5040100
	v_perm_b32 v57, v114, v112, 0x5040100
	;; [unrolled: 1-line block ×4, first 2 shown]
	s_waitcnt lgkmcnt(2)
	v_perm_b32 v63, v180, v175, 0x5040100
	s_waitcnt lgkmcnt(1)
	v_perm_b32 v58, v117, v220, 0x5040100
	v_perm_b32 v60, v124, v221, 0x5040100
	s_waitcnt lgkmcnt(0)
	v_perm_b32 v62, v173, v177, 0x5040100
	s_delay_alu instid0(VALU_DEP_1)
	v_wmma_f16_16x16x16_f16 v[8:15], v[56:63], v[101:108], v[8:15]
	v_perm_b32 v58, v116, v115, 0x7060302
	v_perm_b32 v62, v172, v171, 0x7060302
	;; [unrolled: 1-line block ×8, first 2 shown]
	s_delay_alu instid0(VALU_DEP_1)
	v_wmma_f16_16x16x16_f16 v[0:7], v[56:63], v[101:108], v[0:7] op_sel:[0,0,1]
	v_perm_b32 v56, v110, v88, 0x7060302
	v_perm_b32 v57, v114, v112, 0x7060302
	;; [unrolled: 1-line block ×8, first 2 shown]
	s_delay_alu instid0(VALU_DEP_1) | instskip(SKIP_2) | instid1(VALU_DEP_2)
	v_wmma_f16_16x16x16_f16 v[8:15], v[56:63], v[101:108], v[8:15] op_sel:[0,0,1]
	v_mul_f32_e32 v56, 0x3fb8aa3b, v49
	v_add_nc_u32_e32 v62, 0x1800, v150
	v_fma_f32 v57, 0x3fb8aa3b, v49, -v56
	s_delay_alu instid0(VALU_DEP_1) | instskip(SKIP_1) | instid1(VALU_DEP_1)
	v_fmac_f32_e32 v57, 0x32a5705f, v49
	v_mul_f32_e32 v49, 0x3fb8aa3b, v48
	v_fma_f32 v58, 0x3fb8aa3b, v48, -v49
	s_delay_alu instid0(VALU_DEP_1) | instskip(SKIP_1) | instid1(VALU_DEP_1)
	v_fmac_f32_e32 v58, 0x32a5705f, v48
	v_rndne_f32_e32 v48, v56
	v_sub_f32_e32 v56, v56, v48
	v_cvt_i32_f32_e32 v48, v48
	s_delay_alu instid0(VALU_DEP_2) | instskip(SKIP_1) | instid1(VALU_DEP_2)
	v_add_f32_e32 v56, v56, v57
	v_rndne_f32_e32 v57, v49
	v_exp_f32_e32 v56, v56
	s_delay_alu instid0(VALU_DEP_1) | instskip(NEXT) | instid1(VALU_DEP_1)
	v_sub_f32_e32 v49, v49, v57
	v_add_f32_e32 v49, v49, v58
	s_waitcnt_depctr 0xfff
	v_ldexp_f32 v48, v56, v48
	v_exp_f32_e32 v49, v49
	v_cvt_i32_f32_e32 v56, v57
	s_delay_alu instid0(VALU_DEP_2) | instskip(SKIP_1) | instid1(VALU_DEP_2)
	v_cndmask_b32_e64 v48, 0, v48, s6
	v_cmp_ngt_f32_e64 s6, 0xc2ce8ed0, v50
	v_cndmask_b32_e64 v180, 0x7f800000, v48, s7
	s_waitcnt_depctr 0xfff
	v_ldexp_f32 v49, v49, v56
	v_cmp_nlt_f32_e64 s7, 0x42b17218, v50
	ds_bpermute_b32 v48, v254, v180
	v_cndmask_b32_e64 v49, 0, v49, s8
	v_add_co_u32 v195, s8, v195, s72
	s_delay_alu instid0(VALU_DEP_2)
	v_cndmask_b32_e64 v88, 0x7f800000, v49, s9
	v_add_co_u32 v189, s9, v189, s74
	ds_bpermute_b32 v56, v254, v88
	s_waitcnt lgkmcnt(1)
	v_cndmask_b32_e32 v49, v180, v48, vcc_lo
	v_cndmask_b32_e64 v48, v180, v48, s3
	s_delay_alu instid0(VALU_DEP_2) | instskip(NEXT) | instid1(VALU_DEP_2)
	v_cndmask_b32_e64 v58, v49, v88, s5
	v_cndmask_b32_e64 v57, v48, v88, s4
	v_cvt_f16_f32_e32 v48, v48
	v_cvt_f16_f32_e32 v49, v49
	s_waitcnt lgkmcnt(0)
	s_delay_alu instid0(VALU_DEP_3) | instskip(SKIP_1) | instid1(VALU_DEP_3)
	v_cndmask_b32_e64 v57, v57, v56, s3
	v_cndmask_b32_e32 v56, v58, v56, vcc_lo
	v_pack_b32_f16 v48, v48, v49
	s_delay_alu instid0(VALU_DEP_3) | instskip(NEXT) | instid1(VALU_DEP_3)
	v_cvt_f16_f32_e32 v58, v57
	v_cvt_f16_f32_e32 v59, v56
	s_delay_alu instid0(VALU_DEP_1) | instskip(SKIP_1) | instid1(VALU_DEP_1)
	v_pack_b32_f16 v49, v58, v59
	v_mul_f32_e32 v58, 0x3fb8aa3b, v50
	v_fma_f32 v59, 0x3fb8aa3b, v50, -v58
	s_delay_alu instid0(VALU_DEP_1) | instskip(SKIP_1) | instid1(VALU_DEP_1)
	v_fmac_f32_e32 v59, 0x32a5705f, v50
	v_rndne_f32_e32 v50, v58
	v_sub_f32_e32 v58, v58, v50
	v_cvt_i32_f32_e32 v50, v50
	s_delay_alu instid0(VALU_DEP_2) | instskip(NEXT) | instid1(VALU_DEP_1)
	v_add_f32_e32 v58, v58, v59
	v_exp_f32_e32 v58, v58
	s_waitcnt_depctr 0xfff
	v_ldexp_f32 v50, v58, v50
	s_delay_alu instid0(VALU_DEP_1) | instskip(SKIP_1) | instid1(VALU_DEP_2)
	v_cndmask_b32_e64 v50, 0, v50, s6
	v_cmp_ngt_f32_e64 s6, 0xc2ce8ed0, v51
	v_cndmask_b32_e64 v176, 0x7f800000, v50, s7
	v_cmp_nlt_f32_e64 s7, 0x42b17218, v51
	s_delay_alu instid0(VALU_DEP_2) | instskip(SKIP_3) | instid1(VALU_DEP_1)
	v_cndmask_b32_e64 v50, v57, v176, s4
	ds_bpermute_b32 v57, v254, v176
	v_cndmask_b32_e64 v56, v56, v176, s5
	s_waitcnt lgkmcnt(0)
	v_cndmask_b32_e32 v56, v56, v57, vcc_lo
	v_cndmask_b32_e64 v58, v50, v57, s3
	s_delay_alu instid0(VALU_DEP_2) | instskip(NEXT) | instid1(VALU_DEP_2)
	v_cvt_f16_f32_e32 v57, v56
	v_cvt_f16_f32_e32 v50, v58
	s_delay_alu instid0(VALU_DEP_1) | instskip(SKIP_1) | instid1(VALU_DEP_1)
	v_pack_b32_f16 v50, v50, v57
	v_mul_f32_e32 v57, 0x3fb8aa3b, v51
	v_fma_f32 v59, 0x3fb8aa3b, v51, -v57
	s_delay_alu instid0(VALU_DEP_1) | instskip(SKIP_1) | instid1(VALU_DEP_1)
	v_fmac_f32_e32 v59, 0x32a5705f, v51
	v_rndne_f32_e32 v51, v57
	v_sub_f32_e32 v57, v57, v51
	v_cvt_i32_f32_e32 v51, v51
	s_delay_alu instid0(VALU_DEP_2) | instskip(NEXT) | instid1(VALU_DEP_1)
	v_add_f32_e32 v57, v57, v59
	v_exp_f32_e32 v57, v57
	s_waitcnt_depctr 0xfff
	v_ldexp_f32 v51, v57, v51
	s_delay_alu instid0(VALU_DEP_1) | instskip(SKIP_1) | instid1(VALU_DEP_2)
	v_cndmask_b32_e64 v51, 0, v51, s6
	v_cmp_ngt_f32_e64 s6, 0xc2ce8ed0, v52
	v_cndmask_b32_e64 v177, 0x7f800000, v51, s7
	v_cmp_nlt_f32_e64 s7, 0x42b17218, v52
	ds_bpermute_b32 v57, v254, v177
	v_cndmask_b32_e64 v51, v58, v177, s4
	v_cndmask_b32_e64 v56, v56, v177, s5
	s_waitcnt lgkmcnt(0)
	s_delay_alu instid0(VALU_DEP_2) | instskip(NEXT) | instid1(VALU_DEP_2)
	v_cndmask_b32_e64 v58, v51, v57, s3
	v_cndmask_b32_e32 v56, v56, v57, vcc_lo
	s_delay_alu instid0(VALU_DEP_2) | instskip(NEXT) | instid1(VALU_DEP_2)
	v_cvt_f16_f32_e32 v51, v58
	v_cvt_f16_f32_e32 v57, v56
	s_delay_alu instid0(VALU_DEP_1) | instskip(SKIP_1) | instid1(VALU_DEP_1)
	v_pack_b32_f16 v51, v51, v57
	v_mul_f32_e32 v57, 0x3fb8aa3b, v52
	v_fma_f32 v59, 0x3fb8aa3b, v52, -v57
	s_delay_alu instid0(VALU_DEP_1) | instskip(SKIP_1) | instid1(VALU_DEP_1)
	v_fmac_f32_e32 v59, 0x32a5705f, v52
	v_rndne_f32_e32 v52, v57
	v_sub_f32_e32 v57, v57, v52
	v_cvt_i32_f32_e32 v52, v52
	s_delay_alu instid0(VALU_DEP_2) | instskip(NEXT) | instid1(VALU_DEP_1)
	v_add_f32_e32 v57, v57, v59
	v_exp_f32_e32 v57, v57
	s_waitcnt_depctr 0xfff
	v_ldexp_f32 v52, v57, v52
	s_delay_alu instid0(VALU_DEP_1) | instskip(SKIP_1) | instid1(VALU_DEP_2)
	v_cndmask_b32_e64 v52, 0, v52, s6
	v_cmp_ngt_f32_e64 s6, 0xc2ce8ed0, v53
	v_cndmask_b32_e64 v221, 0x7f800000, v52, s7
	v_cmp_nlt_f32_e64 s7, 0x42b17218, v53
	v_add_nc_u32_e32 v61, 0x1600, v150
	ds_bpermute_b32 v57, v254, v221
	v_cndmask_b32_e64 v52, v58, v221, s4
	v_cndmask_b32_e64 v56, v56, v221, s5
	s_waitcnt lgkmcnt(0)
	s_delay_alu instid0(VALU_DEP_2) | instskip(NEXT) | instid1(VALU_DEP_2)
	v_cndmask_b32_e64 v58, v52, v57, s3
	v_cndmask_b32_e32 v56, v56, v57, vcc_lo
	s_delay_alu instid0(VALU_DEP_2) | instskip(NEXT) | instid1(VALU_DEP_2)
	v_cvt_f16_f32_e32 v52, v58
	v_cvt_f16_f32_e32 v57, v56
	s_delay_alu instid0(VALU_DEP_1) | instskip(SKIP_1) | instid1(VALU_DEP_1)
	v_pack_b32_f16 v52, v52, v57
	v_mul_f32_e32 v57, 0x3fb8aa3b, v53
	v_fma_f32 v59, 0x3fb8aa3b, v53, -v57
	s_delay_alu instid0(VALU_DEP_1) | instskip(SKIP_1) | instid1(VALU_DEP_1)
	v_fmac_f32_e32 v59, 0x32a5705f, v53
	v_rndne_f32_e32 v53, v57
	v_sub_f32_e32 v57, v57, v53
	v_cvt_i32_f32_e32 v53, v53
	s_delay_alu instid0(VALU_DEP_2) | instskip(NEXT) | instid1(VALU_DEP_1)
	v_add_f32_e32 v57, v57, v59
	v_exp_f32_e32 v57, v57
	s_waitcnt_depctr 0xfff
	v_ldexp_f32 v53, v57, v53
	s_delay_alu instid0(VALU_DEP_1) | instskip(SKIP_1) | instid1(VALU_DEP_2)
	v_cndmask_b32_e64 v53, 0, v53, s6
	v_cmp_ngt_f32_e64 s6, 0xc2ce8ed0, v54
	v_cndmask_b32_e64 v87, 0x7f800000, v53, s7
	v_cmp_nlt_f32_e64 s7, 0x42b17218, v54
	ds_bpermute_b32 v57, v254, v87
	v_cndmask_b32_e64 v53, v58, v87, s4
	v_cndmask_b32_e64 v56, v56, v87, s5
	s_waitcnt lgkmcnt(0)
	s_delay_alu instid0(VALU_DEP_2) | instskip(NEXT) | instid1(VALU_DEP_2)
	v_cndmask_b32_e64 v58, v53, v57, s3
	v_cndmask_b32_e32 v56, v56, v57, vcc_lo
	s_delay_alu instid0(VALU_DEP_2) | instskip(NEXT) | instid1(VALU_DEP_2)
	v_cvt_f16_f32_e32 v53, v58
	v_cvt_f16_f32_e32 v57, v56
	s_delay_alu instid0(VALU_DEP_1) | instskip(SKIP_1) | instid1(VALU_DEP_1)
	v_pack_b32_f16 v53, v53, v57
	v_mul_f32_e32 v57, 0x3fb8aa3b, v54
	v_fma_f32 v59, 0x3fb8aa3b, v54, -v57
	s_delay_alu instid0(VALU_DEP_1) | instskip(SKIP_1) | instid1(VALU_DEP_1)
	v_fmac_f32_e32 v59, 0x32a5705f, v54
	v_rndne_f32_e32 v54, v57
	v_sub_f32_e32 v57, v57, v54
	v_cvt_i32_f32_e32 v54, v54
	s_delay_alu instid0(VALU_DEP_2) | instskip(NEXT) | instid1(VALU_DEP_1)
	v_add_f32_e32 v57, v57, v59
	v_exp_f32_e32 v57, v57
	s_waitcnt_depctr 0xfff
	v_ldexp_f32 v54, v57, v54
	s_delay_alu instid0(VALU_DEP_1) | instskip(SKIP_1) | instid1(VALU_DEP_2)
	v_cndmask_b32_e64 v54, 0, v54, s6
	v_cmp_ngt_f32_e64 s6, 0xc2ce8ed0, v55
	v_cndmask_b32_e64 v173, 0x7f800000, v54, s7
	v_cmp_nlt_f32_e64 s7, 0x42b17218, v55
	ds_bpermute_b32 v57, v254, v173
	v_cndmask_b32_e64 v54, v58, v173, s4
	v_cndmask_b32_e64 v56, v56, v173, s5
	s_waitcnt lgkmcnt(0)
	s_delay_alu instid0(VALU_DEP_2) | instskip(NEXT) | instid1(VALU_DEP_2)
	v_cndmask_b32_e64 v58, v54, v57, s3
	v_cndmask_b32_e32 v56, v56, v57, vcc_lo
	s_delay_alu instid0(VALU_DEP_2) | instskip(NEXT) | instid1(VALU_DEP_2)
	v_cvt_f16_f32_e32 v54, v58
	v_cvt_f16_f32_e32 v57, v56
	s_delay_alu instid0(VALU_DEP_1) | instskip(SKIP_1) | instid1(VALU_DEP_1)
	v_pack_b32_f16 v54, v54, v57
	v_mul_f32_e32 v57, 0x3fb8aa3b, v55
	v_fma_f32 v59, 0x3fb8aa3b, v55, -v57
	s_delay_alu instid0(VALU_DEP_1) | instskip(SKIP_1) | instid1(VALU_DEP_1)
	v_fmac_f32_e32 v59, 0x32a5705f, v55
	v_rndne_f32_e32 v55, v57
	v_sub_f32_e32 v57, v57, v55
	v_cvt_i32_f32_e32 v55, v55
	s_delay_alu instid0(VALU_DEP_2) | instskip(SKIP_1) | instid1(VALU_DEP_2)
	v_add_f32_e32 v57, v57, v59
	v_add_nc_u32_e32 v59, 0x1400, v150
	v_exp_f32_e32 v57, v57
	s_waitcnt_depctr 0xfff
	v_ldexp_f32 v55, v57, v55
	s_delay_alu instid0(VALU_DEP_1) | instskip(SKIP_1) | instid1(VALU_DEP_2)
	v_cndmask_b32_e64 v55, 0, v55, s6
	v_add_co_u32 v252, s6, v252, s72
	v_cndmask_b32_e64 v174, 0x7f800000, v55, s7
	v_add_co_u32 v192, s7, v192, s72
	ds_bpermute_b32 v57, v254, v174
	v_cndmask_b32_e64 v55, v58, v174, s4
	v_cndmask_b32_e64 v56, v56, v174, s5
	v_add_nc_u32_e32 v58, 0x200, v206
	v_add_co_u32 v99, s4, 0x80, v99
	v_add_co_u32 v250, s5, v250, s72
	s_waitcnt lgkmcnt(0)
	v_cndmask_b32_e64 v55, v55, v57, s3
	v_cndmask_b32_e32 v56, v56, v57, vcc_lo
	v_add_co_u32 v93, s3, 0x80, v93
	v_add_co_u32 v185, vcc_lo, v185, s74
	s_delay_alu instid0(VALU_DEP_4) | instskip(NEXT) | instid1(VALU_DEP_4)
	v_cvt_f16_f32_e32 v55, v55
	v_cvt_f16_f32_e32 v56, v56
	v_add_co_ci_u32_e64 v94, s3, 0, v94, s3
	v_add_co_ci_u32_e64 v100, s3, 0, v100, s4
	s_delay_alu instid0(VALU_DEP_3)
	v_pack_b32_f16 v55, v55, v56
	v_add_nc_u32_e32 v56, 0x1000, v150
	ds_load_2addr_b32 v[101:102], v56 offset0:128 offset1:164
	ds_load_2addr_b32 v[103:104], v56 offset0:200 offset1:236
	;; [unrolled: 1-line block ×6, first 2 shown]
	ds_load_b32 v175, v206 offset:1728
	ds_load_2addr_b32 v[117:118], v62 offset0:84 offset1:120
	ds_load_b32 v171, v150 offset:6768
	v_add_co_ci_u32_e64 v251, s3, s73, v251, s5
	v_add_co_ci_u32_e64 v253, s3, s73, v253, s6
	;; [unrolled: 1-line block ×7, first 2 shown]
	s_waitcnt lgkmcnt(8)
	v_perm_b32 v56, v102, v101, 0x5040100
	s_waitcnt lgkmcnt(7)
	v_perm_b32 v57, v104, v103, 0x5040100
	;; [unrolled: 2-line block ×4, first 2 shown]
	v_perm_b32 v60, v112, v106, 0x5040100
	s_waitcnt lgkmcnt(3)
	v_perm_b32 v61, v110, v109, 0x5040100
	s_waitcnt lgkmcnt(1)
	;; [unrolled: 2-line block ×3, first 2 shown]
	v_perm_b32 v63, v171, v118, 0x5040100
	v_add_co_ci_u32_e32 v186, vcc_lo, s75, v186, vcc_lo
	s_delay_alu instid0(VALU_DEP_2)
	v_wmma_f16_16x16x16_f16 v[0:7], v[56:63], v[48:55], v[0:7]
	v_add_nc_u32_e32 v56, 0x1000, v207
	v_add_nc_u32_e32 v58, 0x200, v151
	v_add_nc_u32_e32 v59, 0x1400, v207
	v_add_nc_u32_e32 v61, 0x1600, v207
	v_add_nc_u32_e32 v62, 0x1800, v207
	ds_load_2addr_b32 v[113:114], v56 offset0:128 offset1:164
	ds_load_2addr_b32 v[115:116], v56 offset0:200 offset1:236
	;; [unrolled: 1-line block ×6, first 2 shown]
	ds_load_b32 v172, v151 offset:1728
	ds_load_2addr_b32 v[127:128], v62 offset0:84 offset1:120
	ds_load_b32 v220, v207 offset:6768
	s_waitcnt lgkmcnt(0)
	s_barrier
	buffer_gl0_inv
	v_perm_b32 v56, v114, v113, 0x5040100
	v_perm_b32 v57, v116, v115, 0x5040100
	;; [unrolled: 1-line block ×8, first 2 shown]
	s_delay_alu instid0(VALU_DEP_1)
	v_wmma_f16_16x16x16_f16 v[8:15], v[56:63], v[48:55], v[8:15]
	v_perm_b32 v58, v107, v105, 0x7060302
	v_perm_b32 v59, v111, v108, 0x7060302
	;; [unrolled: 1-line block ×8, first 2 shown]
	s_delay_alu instid0(VALU_DEP_1)
	v_wmma_f16_16x16x16_f16 v[0:7], v[56:63], v[48:55], v[0:7] op_sel:[0,0,1]
	v_perm_b32 v58, v121, v119, 0x7060302
	v_perm_b32 v59, v125, v122, 0x7060302
	;; [unrolled: 1-line block ×8, first 2 shown]
	s_delay_alu instid0(VALU_DEP_1) | instskip(SKIP_2) | instid1(VALU_DEP_1)
	v_wmma_f16_16x16x16_f16 v[8:15], v[56:63], v[48:55], v[8:15] op_sel:[0,0,1]
	v_mov_b32_e32 v49, v246
	v_add_f32_e32 v48, v90, v181
	v_add_f32_e32 v48, v223, v48
	s_delay_alu instid0(VALU_DEP_1) | instskip(NEXT) | instid1(VALU_DEP_1)
	v_add_f32_e32 v48, v224, v48
	v_add_f32_e32 v48, v182, v48
	s_delay_alu instid0(VALU_DEP_1) | instskip(NEXT) | instid1(VALU_DEP_1)
	;; [unrolled: 3-line block ×7, first 2 shown]
	v_add_f32_e32 v246, v174, v48
	v_fmac_f32_e32 v246, v49, v179
	s_cbranch_scc1 .LBB0_180
.LBB0_181:                              ;   in Loop: Header=BB0_12 Depth=1
	s_lshl_b32 s68, s15, 6
	v_lshlrev_b32_e32 v49, 1, v198
	s_lshl_b64 s[4:5], s[68:69], 1
	s_mul_i32 s3, s47, s68
	v_add_co_u32 v48, vcc_lo, v245, s4
	v_add_co_ci_u32_e32 v50, vcc_lo, s5, v244, vcc_lo
	s_mul_hi_u32 s5, s46, s68
	s_delay_alu instid0(VALU_DEP_2) | instskip(SKIP_1) | instid1(VALU_DEP_3)
	v_add_co_u32 v52, vcc_lo, v48, v49
	v_lshlrev_b64 v[48:49], 1, v[97:98]
	v_add_co_ci_u32_e32 v53, vcc_lo, 0, v50, vcc_lo
	v_lshlrev_b64 v[50:51], 1, v[95:96]
	v_mov_b32_e32 v100, s43
	s_mul_i32 s4, s46, s68
	s_delay_alu instid0(VALU_DEP_4) | instskip(SKIP_1) | instid1(VALU_DEP_4)
	v_add_co_u32 v48, vcc_lo, v52, v48
	v_add_co_ci_u32_e32 v49, vcc_lo, v53, v49, vcc_lo
	v_add_co_u32 v50, vcc_lo, v52, v50
	v_add_co_ci_u32_e32 v51, vcc_lo, v53, v51, vcc_lo
	s_clause 0x1
	global_load_b32 v48, v[48:49], off
	global_load_b32 v49, v[50:51], off
	v_dual_mov_b32 v99, s42 :: v_dual_add_nc_u32 v50, v146, v200
	s_add_i32 s5, s5, s3
	v_mov_b32_e32 v97, s40
	s_lshl_b64 s[4:5], s[4:5], 2
	s_delay_alu instid0(VALU_DEP_2)
	v_add_nc_u32_e32 v50, 0x2400, v50
	s_add_u32 s3, s99, s4
	s_addc_u32 s4, s100, s5
	v_dual_mov_b32 v98, s41 :: v_dual_add_nc_u32 v87, v148, v145
	v_dual_mov_b32 v96, s39 :: v_dual_mov_b32 v95, s38
	v_dual_mov_b32 v94, s37 :: v_dual_mov_b32 v93, s36
	s_mul_hi_u32 s5, s34, s68
	s_waitcnt vmcnt(0)
	ds_store_2addr_b32 v50, v48, v49 offset1:144
	v_add_co_u32 v48, vcc_lo, s3, v75
	v_add_co_ci_u32_e32 v49, vcc_lo, s4, v76, vcc_lo
	s_delay_alu instid0(VALU_DEP_2) | instskip(NEXT) | instid1(VALU_DEP_2)
	v_add_co_u32 v48, vcc_lo, v48, v197
	v_add_co_ci_u32_e32 v49, vcc_lo, 0, v49, vcc_lo
	v_add_co_u32 v50, vcc_lo, s3, v77
	v_add_co_ci_u32_e32 v51, vcc_lo, s4, v78, vcc_lo
	s_delay_alu instid0(VALU_DEP_2) | instskip(NEXT) | instid1(VALU_DEP_2)
	v_add_co_u32 v52, vcc_lo, v50, v197
	v_add_co_ci_u32_e32 v53, vcc_lo, 0, v51, vcc_lo
	s_clause 0x1
	global_load_b128 v[48:51], v[48:49], off
	global_load_b128 v[52:55], v[52:53], off
	s_waitcnt vmcnt(1)
	ds_store_b128 v147, v[48:51]
	s_waitcnt vmcnt(0)
	ds_store_b128 v202, v[52:55]
	v_add_co_u32 v48, vcc_lo, s3, v79
	v_add_co_ci_u32_e32 v49, vcc_lo, s4, v80, vcc_lo
	s_delay_alu instid0(VALU_DEP_2) | instskip(NEXT) | instid1(VALU_DEP_2)
	v_add_co_u32 v48, vcc_lo, v48, v197
	v_add_co_ci_u32_e32 v49, vcc_lo, 0, v49, vcc_lo
	v_add_co_u32 v50, vcc_lo, s3, v81
	v_add_co_ci_u32_e32 v51, vcc_lo, s4, v82, vcc_lo
	s_mul_i32 s3, s35, s68
	s_delay_alu instid0(VALU_DEP_2) | instskip(NEXT) | instid1(VALU_DEP_2)
	v_add_co_u32 v52, vcc_lo, v50, v197
	v_add_co_ci_u32_e32 v53, vcc_lo, 0, v51, vcc_lo
	s_clause 0x1
	global_load_b128 v[48:51], v[48:49], off
	global_load_b128 v[52:55], v[52:53], off
	v_cmp_lt_i32_e32 vcc_lo, v248, v249
	s_mul_i32 s4, s34, s68
	s_add_i32 s5, s5, s3
	s_waitcnt vmcnt(1)
	ds_store_b128 v203, v[48:51]
	s_waitcnt vmcnt(0)
	ds_store_b128 v204, v[52:55]
	s_waitcnt lgkmcnt(0)
	s_barrier
	buffer_gl0_inv
	ds_load_b128 v[48:51], v87
	ds_load_b128 v[52:55], v87 offset:16
	ds_load_b128 v[56:59], v87 offset:4608
	;; [unrolled: 1-line block ×3, first 2 shown]
	s_lshl_b64 s[4:5], s[4:5], 2
	s_delay_alu instid0(SALU_CYCLE_1)
	s_add_u32 s3, s97, s4
	s_addc_u32 s4, s98, s5
	v_cmp_eq_u32_e64 s5, 1, v142
	s_cmp_lg_u64 s[76:77], 0
	s_waitcnt lgkmcnt(2)
	v_wmma_f32_16x16x16_f16 v[101:108], v[48:55], v[24:31], v[93:100]
	s_waitcnt lgkmcnt(0)
	v_wmma_f32_16x16x16_f16 v[48:55], v[56:63], v[24:31], v[93:100]
	ds_load_b128 v[24:27], v87 offset:32
	ds_load_b128 v[28:31], v87 offset:48
	v_add_nc_u32_e32 v58, 0x800, v150
	s_waitcnt lgkmcnt(0)
	v_wmma_f32_16x16x16_f16 v[101:108], v[24:31], v[16:23], v[101:108]
	ds_load_b128 v[24:27], v87 offset:4640
	ds_load_b128 v[28:31], v87 offset:4656
	s_waitcnt lgkmcnt(0)
	v_wmma_f32_16x16x16_f16 v[48:55], v[24:31], v[16:23], v[48:55]
	ds_load_b128 v[16:19], v87 offset:64
	ds_load_b128 v[20:23], v87 offset:80
	s_waitcnt lgkmcnt(0)
	v_wmma_f32_16x16x16_f16 v[101:108], v[16:23], v[32:39], v[101:108]
	ds_load_b128 v[16:19], v87 offset:4672
	ds_load_b128 v[20:23], v87 offset:4688
	s_waitcnt lgkmcnt(0)
	v_wmma_f32_16x16x16_f16 v[48:55], v[16:23], v[32:39], v[48:55]
	ds_load_b128 v[16:19], v87 offset:96
	ds_load_b128 v[20:23], v87 offset:112
	s_waitcnt lgkmcnt(0)
	v_wmma_f32_16x16x16_f16 v[101:108], v[16:23], v[40:47], v[101:108]
	ds_load_b128 v[16:19], v87 offset:4704
	ds_load_b128 v[20:23], v87 offset:4720
	s_waitcnt lgkmcnt(0)
	s_barrier
	buffer_gl0_inv
	v_wmma_f32_16x16x16_f16 v[48:55], v[16:23], v[40:47], v[48:55]
	ds_load_u16 v16, v149 offset:9216
	ds_load_u16 v17, v149 offset:9220
	;; [unrolled: 1-line block ×16, first 2 shown]
	s_waitcnt lgkmcnt(15)
	v_cvt_f32_f16_e32 v16, v16
	s_waitcnt lgkmcnt(14)
	v_cvt_f32_f16_e32 v17, v17
	;; [unrolled: 2-line block ×5, first 2 shown]
	v_dual_add_f32 v16, v101, v16 :: v_dual_add_f32 v17, v102, v17
	s_waitcnt lgkmcnt(6)
	v_cvt_f32_f16_e32 v25, v25
	v_cvt_f32_f16_e32 v20, v20
	;; [unrolled: 1-line block ×3, first 2 shown]
	v_dual_add_f32 v18, v103, v18 :: v_dual_add_f32 v19, v104, v19
	s_waitcnt lgkmcnt(5)
	v_cvt_f32_f16_e32 v26, v26
	v_dual_add_f32 v99, v48, v24 :: v_dual_add_f32 v100, v49, v25
	v_dual_add_f32 v24, 0x40051340, v16 :: v_dual_add_f32 v25, 0x40051340, v17
	v_cvt_f32_f16_e32 v22, v22
	v_cvt_f32_f16_e32 v23, v23
	v_dual_add_f32 v20, v105, v20 :: v_dual_add_f32 v21, v106, v21
	s_waitcnt lgkmcnt(4)
	v_cvt_f32_f16_e32 v27, v27
	v_add_f32_e32 v98, v50, v26
	v_max3_f32 v24, v247, v24, v25
	v_dual_add_f32 v25, 0x40051340, v18 :: v_dual_add_f32 v26, 0x40051340, v19
	v_dual_add_f32 v22, v107, v22 :: v_dual_add_f32 v23, v108, v23
	s_waitcnt lgkmcnt(3)
	v_cvt_f32_f16_e32 v28, v28
	s_waitcnt lgkmcnt(2)
	v_cvt_f32_f16_e32 v29, v29
	v_max3_f32 v24, v24, v25, v26
	v_dual_add_f32 v25, 0x40051340, v20 :: v_dual_add_f32 v26, 0x40051340, v21
	v_add_f32_e32 v97, v51, v27
	s_waitcnt lgkmcnt(1)
	v_cvt_f32_f16_e32 v30, v30
	s_waitcnt lgkmcnt(0)
	v_cvt_f32_f16_e32 v31, v31
	v_dual_add_f32 v96, v52, v28 :: v_dual_add_f32 v95, v53, v29
	v_max3_f32 v24, v24, v25, v26
	v_dual_add_f32 v25, 0x40051340, v22 :: v_dual_add_f32 v26, 0x40051340, v23
	s_delay_alu instid0(VALU_DEP_4) | instskip(NEXT) | instid1(VALU_DEP_2)
	v_dual_add_f32 v94, v54, v30 :: v_dual_add_f32 v93, v55, v31
	v_max3_f32 v24, v24, v25, v26
	v_dual_add_f32 v25, 0x40051340, v99 :: v_dual_add_f32 v26, 0x40051340, v100
	s_delay_alu instid0(VALU_DEP_1) | instskip(SKIP_1) | instid1(VALU_DEP_1)
	v_max3_f32 v24, v24, v25, v26
	v_dual_add_f32 v25, 0x40051340, v98 :: v_dual_add_f32 v26, 0x40051340, v97
	v_max3_f32 v24, v24, v25, v26
	v_dual_add_f32 v25, 0x40051340, v96 :: v_dual_add_f32 v26, 0x40051340, v95
	s_delay_alu instid0(VALU_DEP_1) | instskip(SKIP_1) | instid1(VALU_DEP_1)
	v_max3_f32 v24, v24, v25, v26
	v_dual_add_f32 v25, 0x40051340, v94 :: v_dual_add_f32 v26, 0x40051340, v93
	v_max3_f32 v24, v24, v25, v26
	v_cndmask_b32_e32 v25, v243, v248, vcc_lo
	s_delay_alu instid0(VALU_DEP_1) | instskip(SKIP_3) | instid1(VALU_DEP_1)
	v_lshlrev_b32_e32 v62, 2, v25
	ds_bpermute_b32 v25, v62, v24
	s_waitcnt lgkmcnt(0)
	v_max_f32_e32 v25, v25, v25
	v_max_f32_e32 v63, v24, v25
	s_delay_alu instid0(VALU_DEP_1) | instskip(NEXT) | instid1(VALU_DEP_1)
	v_sub_f32_e32 v24, v247, v63
	v_mul_f32_e32 v25, 0x3fb8aa3b, v24
	v_cmp_ngt_f32_e32 vcc_lo, 0xc2ce8ed0, v24
	s_delay_alu instid0(VALU_DEP_2) | instskip(SKIP_1) | instid1(VALU_DEP_1)
	v_fma_f32 v26, 0x3fb8aa3b, v24, -v25
	v_rndne_f32_e32 v27, v25
	v_dual_fmac_f32 v26, 0x32a5705f, v24 :: v_dual_sub_f32 v25, v25, v27
	v_sub_f32_e32 v16, v16, v63
	v_sub_f32_e32 v18, v18, v63
	;; [unrolled: 1-line block ×3, first 2 shown]
	s_delay_alu instid0(VALU_DEP_4) | instskip(SKIP_1) | instid1(VALU_DEP_4)
	v_dual_sub_f32 v20, v20, v63 :: v_dual_add_f32 v25, v25, v26
	v_cvt_i32_f32_e32 v26, v27
	v_cmp_ngt_f32_e64 s6, 0xc2ce8ed0, v18
	v_sub_f32_e32 v23, v23, v63
	v_sub_f32_e32 v22, v22, v63
	v_exp_f32_e32 v25, v25
	s_waitcnt_depctr 0xfff
	v_ldexp_f32 v25, v25, v26
	s_delay_alu instid0(VALU_DEP_1) | instskip(SKIP_1) | instid1(VALU_DEP_2)
	v_cndmask_b32_e32 v25, 0, v25, vcc_lo
	v_cmp_nlt_f32_e32 vcc_lo, 0x42b17218, v24
	v_cndmask_b32_e32 v25, 0x7f800000, v25, vcc_lo
	v_cmp_le_f32_e32 vcc_lo, 0xc1a00000, v24
	s_delay_alu instid0(VALU_DEP_2) | instskip(NEXT) | instid1(VALU_DEP_1)
	v_cndmask_b32_e32 v101, 0, v25, vcc_lo
	v_cvt_f16_f32_e32 v24, v101
	s_delay_alu instid0(VALU_DEP_1)
	v_pk_mul_f16 v0, v24, v0 op_sel_hi:[0,1]
	v_pk_mul_f16 v1, v24, v1 op_sel_hi:[0,1]
	;; [unrolled: 1-line block ×16, first 2 shown]
	v_add_co_u32 v24, vcc_lo, s3, v67
	v_add_co_ci_u32_e32 v25, vcc_lo, s4, v68, vcc_lo
	s_delay_alu instid0(VALU_DEP_2) | instskip(NEXT) | instid1(VALU_DEP_2)
	v_add_co_u32 v24, vcc_lo, v24, v197
	v_add_co_ci_u32_e32 v25, vcc_lo, 0, v25, vcc_lo
	v_add_co_u32 v26, vcc_lo, s3, v69
	v_add_co_ci_u32_e32 v27, vcc_lo, s4, v70, vcc_lo
	s_delay_alu instid0(VALU_DEP_2) | instskip(NEXT) | instid1(VALU_DEP_2)
	v_add_co_u32 v28, vcc_lo, v26, v197
	v_add_co_ci_u32_e32 v29, vcc_lo, 0, v27, vcc_lo
	s_clause 0x1
	global_load_b128 v[24:27], v[24:25], off
	global_load_b128 v[28:31], v[28:29], off
	s_waitcnt vmcnt(1)
	ds_store_b128 v147, v[24:27]
	s_waitcnt vmcnt(0)
	ds_store_b128 v202, v[28:31]
	v_add_co_u32 v24, vcc_lo, s3, v71
	v_add_co_ci_u32_e32 v25, vcc_lo, s4, v72, vcc_lo
	s_delay_alu instid0(VALU_DEP_2) | instskip(NEXT) | instid1(VALU_DEP_2)
	v_add_co_u32 v24, vcc_lo, v24, v197
	v_add_co_ci_u32_e32 v25, vcc_lo, 0, v25, vcc_lo
	v_add_co_u32 v26, vcc_lo, s3, v73
	v_add_co_ci_u32_e32 v27, vcc_lo, s4, v74, vcc_lo
	v_cmp_ngt_f32_e64 s3, 0xc2ce8ed0, v16
	s_delay_alu instid0(VALU_DEP_3) | instskip(NEXT) | instid1(VALU_DEP_3)
	v_add_co_u32 v28, vcc_lo, v26, v197
	v_add_co_ci_u32_e32 v29, vcc_lo, 0, v27, vcc_lo
	s_clause 0x1
	global_load_b128 v[24:27], v[24:25], off
	global_load_b128 v[28:31], v[28:29], off
	s_waitcnt vmcnt(1)
	ds_store_b128 v203, v[24:27]
	s_waitcnt vmcnt(0)
	ds_store_b128 v204, v[28:31]
	v_mul_f32_e32 v24, 0x3fb8aa3b, v17
	v_cmp_eq_u32_e64 s4, 0, v142
	v_add_nc_u32_e32 v31, 0x400, v150
	s_waitcnt lgkmcnt(0)
	s_barrier
	v_fma_f32 v25, 0x3fb8aa3b, v17, -v24
	v_rndne_f32_e32 v26, v24
	buffer_gl0_inv
	ds_load_2addr_b32 v[32:33], v150 offset1:16
	ds_load_2addr_b32 v[34:35], v150 offset0:36 offset1:52
	ds_load_2addr_b32 v[36:37], v150 offset0:72 offset1:88
	ds_load_2addr_b32 v[38:39], v150 offset0:108 offset1:124
	ds_load_2addr_b32 v[44:45], v150 offset0:144 offset1:180
	v_dual_fmac_f32 v25, 0x32a5705f, v17 :: v_dual_sub_f32 v24, v24, v26
	v_cvt_i32_f32_e32 v26, v26
	ds_load_2addr_b32 v[40:41], v150 offset0:196 offset1:216
	ds_load_2addr_b32 v[42:43], v150 offset0:232 offset1:252
	;; [unrolled: 1-line block ×6, first 2 shown]
	v_dual_add_f32 v24, v24, v25 :: v_dual_mul_f32 v25, 0x3fb8aa3b, v16
	v_cmp_ngt_f32_e32 vcc_lo, 0xc2ce8ed0, v17
	ds_load_2addr_b32 v[54:55], v31 offset0:176 offset1:212
	ds_load_2addr_b32 v[56:57], v31 offset0:228 offset1:248
	;; [unrolled: 1-line block ×3, first 2 shown]
	v_exp_f32_e32 v24, v24
	v_fma_f32 v27, 0x3fb8aa3b, v16, -v25
	v_rndne_f32_e32 v28, v25
	s_delay_alu instid0(VALU_DEP_1)
	v_sub_f32_e32 v25, v25, v28
	s_waitcnt_depctr 0xfff
	v_ldexp_f32 v24, v24, v26
	v_cvt_i32_f32_e32 v26, v28
	s_waitcnt lgkmcnt(3)
	v_perm_b32 v29, v52, v50, 0x5040100
	s_delay_alu instid0(VALU_DEP_3)
	v_cndmask_b32_e32 v24, 0, v24, vcc_lo
	v_cmp_nlt_f32_e32 vcc_lo, 0x42b17218, v17
	s_waitcnt lgkmcnt(2)
	v_perm_b32 v30, v55, v54, 0x5040100
	s_waitcnt lgkmcnt(0)
	v_perm_b32 v31, v59, v57, 0x5040100
	v_cndmask_b32_e32 v103, 0x7f800000, v24, vcc_lo
	v_cmp_eq_u32_e32 vcc_lo, 1, v201
	v_fmac_f32_e32 v27, 0x32a5705f, v16
	v_sub_f32_e32 v19, v19, v63
	v_sub_f32_e32 v21, v21, v63
	ds_bpermute_b32 v24, v62, v103
	v_add_f32_e32 v25, v25, v27
	s_delay_alu instid0(VALU_DEP_1) | instskip(SKIP_2) | instid1(VALU_DEP_1)
	v_exp_f32_e32 v25, v25
	s_waitcnt_depctr 0xfff
	v_ldexp_f32 v25, v25, v26
	v_cndmask_b32_e64 v17, 0, v25, s3
	v_cmp_nlt_f32_e64 s3, 0x42b17218, v16
	s_delay_alu instid0(VALU_DEP_1)
	v_cndmask_b32_e64 v102, 0x7f800000, v17, s3
	v_cmp_eq_u32_e64 s3, 0, v201
	ds_bpermute_b32 v16, v62, v102
	s_waitcnt lgkmcnt(0)
	v_cndmask_b32_e32 v17, v102, v16, vcc_lo
	v_cndmask_b32_e64 v16, v102, v16, s3
	s_delay_alu instid0(VALU_DEP_2) | instskip(NEXT) | instid1(VALU_DEP_2)
	v_cndmask_b32_e64 v26, v17, v103, s5
	v_cndmask_b32_e64 v25, v16, v103, s4
	v_cvt_f16_f32_e32 v16, v16
	v_cvt_f16_f32_e32 v17, v17
	s_delay_alu instid0(VALU_DEP_3) | instskip(SKIP_1) | instid1(VALU_DEP_3)
	v_cndmask_b32_e64 v25, v25, v24, s3
	v_cndmask_b32_e32 v24, v26, v24, vcc_lo
	v_pack_b32_f16 v16, v16, v17
	s_delay_alu instid0(VALU_DEP_3) | instskip(NEXT) | instid1(VALU_DEP_3)
	v_cvt_f16_f32_e32 v26, v25
	v_cvt_f16_f32_e32 v27, v24
	s_delay_alu instid0(VALU_DEP_1) | instskip(SKIP_1) | instid1(VALU_DEP_1)
	v_pack_b32_f16 v17, v26, v27
	v_mul_f32_e32 v26, 0x3fb8aa3b, v18
	v_fma_f32 v27, 0x3fb8aa3b, v18, -v26
	v_rndne_f32_e32 v28, v26
	s_delay_alu instid0(VALU_DEP_1) | instskip(NEXT) | instid1(VALU_DEP_1)
	v_dual_fmac_f32 v27, 0x32a5705f, v18 :: v_dual_sub_f32 v26, v26, v28
	v_add_f32_e32 v26, v26, v27
	v_cvt_i32_f32_e32 v27, v28
	s_delay_alu instid0(VALU_DEP_2) | instskip(SKIP_2) | instid1(VALU_DEP_1)
	v_exp_f32_e32 v26, v26
	s_waitcnt_depctr 0xfff
	v_ldexp_f32 v26, v26, v27
	v_cndmask_b32_e64 v26, 0, v26, s6
	v_cmp_nlt_f32_e64 s6, 0x42b17218, v18
	s_delay_alu instid0(VALU_DEP_1) | instskip(SKIP_1) | instid1(VALU_DEP_2)
	v_cndmask_b32_e64 v104, 0x7f800000, v26, s6
	v_cmp_ngt_f32_e64 s6, 0xc2ce8ed0, v19
	v_cndmask_b32_e64 v18, v25, v104, s4
	ds_bpermute_b32 v25, v62, v104
	v_cndmask_b32_e64 v24, v24, v104, s5
	s_waitcnt lgkmcnt(0)
	v_cndmask_b32_e64 v26, v18, v25, s3
	s_delay_alu instid0(VALU_DEP_2) | instskip(NEXT) | instid1(VALU_DEP_2)
	v_cndmask_b32_e32 v24, v24, v25, vcc_lo
	v_cvt_f16_f32_e32 v18, v26
	s_delay_alu instid0(VALU_DEP_2) | instskip(NEXT) | instid1(VALU_DEP_1)
	v_cvt_f16_f32_e32 v25, v24
	v_pack_b32_f16 v18, v18, v25
	v_mul_f32_e32 v25, 0x3fb8aa3b, v19
	s_delay_alu instid0(VALU_DEP_1) | instskip(SKIP_1) | instid1(VALU_DEP_2)
	v_fma_f32 v27, 0x3fb8aa3b, v19, -v25
	v_rndne_f32_e32 v28, v25
	v_fmac_f32_e32 v27, 0x32a5705f, v19
	s_delay_alu instid0(VALU_DEP_2) | instskip(NEXT) | instid1(VALU_DEP_1)
	v_sub_f32_e32 v25, v25, v28
	v_add_f32_e32 v25, v25, v27
	v_cvt_i32_f32_e32 v27, v28
	s_delay_alu instid0(VALU_DEP_2) | instskip(SKIP_2) | instid1(VALU_DEP_1)
	v_exp_f32_e32 v25, v25
	s_waitcnt_depctr 0xfff
	v_ldexp_f32 v25, v25, v27
	v_cndmask_b32_e64 v25, 0, v25, s6
	v_cmp_nlt_f32_e64 s6, 0x42b17218, v19
	s_delay_alu instid0(VALU_DEP_1)
	v_cndmask_b32_e64 v105, 0x7f800000, v25, s6
	v_cmp_ngt_f32_e64 s6, 0xc2ce8ed0, v20
	ds_bpermute_b32 v25, v62, v105
	v_cndmask_b32_e64 v19, v26, v105, s4
	v_cndmask_b32_e64 v24, v24, v105, s5
	s_waitcnt lgkmcnt(0)
	s_delay_alu instid0(VALU_DEP_2) | instskip(NEXT) | instid1(VALU_DEP_2)
	v_cndmask_b32_e64 v26, v19, v25, s3
	v_cndmask_b32_e32 v24, v24, v25, vcc_lo
	s_delay_alu instid0(VALU_DEP_2) | instskip(NEXT) | instid1(VALU_DEP_2)
	v_cvt_f16_f32_e32 v19, v26
	v_cvt_f16_f32_e32 v25, v24
	s_delay_alu instid0(VALU_DEP_1) | instskip(SKIP_1) | instid1(VALU_DEP_1)
	v_pack_b32_f16 v19, v19, v25
	v_mul_f32_e32 v25, 0x3fb8aa3b, v20
	v_fma_f32 v27, 0x3fb8aa3b, v20, -v25
	v_rndne_f32_e32 v28, v25
	s_delay_alu instid0(VALU_DEP_2) | instskip(NEXT) | instid1(VALU_DEP_2)
	v_fmac_f32_e32 v27, 0x32a5705f, v20
	v_sub_f32_e32 v25, v25, v28
	s_delay_alu instid0(VALU_DEP_1) | instskip(SKIP_1) | instid1(VALU_DEP_2)
	v_add_f32_e32 v25, v25, v27
	v_cvt_i32_f32_e32 v27, v28
	v_exp_f32_e32 v25, v25
	s_waitcnt_depctr 0xfff
	v_ldexp_f32 v25, v25, v27
	s_delay_alu instid0(VALU_DEP_1) | instskip(SKIP_1) | instid1(VALU_DEP_1)
	v_cndmask_b32_e64 v25, 0, v25, s6
	v_cmp_nlt_f32_e64 s6, 0x42b17218, v20
	v_cndmask_b32_e64 v106, 0x7f800000, v25, s6
	v_cmp_ngt_f32_e64 s6, 0xc2ce8ed0, v21
	ds_bpermute_b32 v25, v62, v106
	v_cndmask_b32_e64 v20, v26, v106, s4
	v_cndmask_b32_e64 v24, v24, v106, s5
	s_waitcnt lgkmcnt(0)
	s_delay_alu instid0(VALU_DEP_2) | instskip(NEXT) | instid1(VALU_DEP_2)
	v_cndmask_b32_e64 v26, v20, v25, s3
	v_cndmask_b32_e32 v24, v24, v25, vcc_lo
	s_delay_alu instid0(VALU_DEP_2) | instskip(NEXT) | instid1(VALU_DEP_2)
	v_cvt_f16_f32_e32 v20, v26
	v_cvt_f16_f32_e32 v25, v24
	s_delay_alu instid0(VALU_DEP_1) | instskip(SKIP_1) | instid1(VALU_DEP_1)
	v_pack_b32_f16 v20, v20, v25
	v_mul_f32_e32 v25, 0x3fb8aa3b, v21
	v_fma_f32 v27, 0x3fb8aa3b, v21, -v25
	v_rndne_f32_e32 v28, v25
	s_delay_alu instid0(VALU_DEP_2) | instskip(NEXT) | instid1(VALU_DEP_2)
	v_fmac_f32_e32 v27, 0x32a5705f, v21
	v_sub_f32_e32 v25, v25, v28
	s_delay_alu instid0(VALU_DEP_1) | instskip(SKIP_1) | instid1(VALU_DEP_2)
	v_add_f32_e32 v25, v25, v27
	v_cvt_i32_f32_e32 v27, v28
	v_exp_f32_e32 v25, v25
	s_waitcnt_depctr 0xfff
	v_ldexp_f32 v25, v25, v27
	s_delay_alu instid0(VALU_DEP_1) | instskip(SKIP_1) | instid1(VALU_DEP_1)
	v_cndmask_b32_e64 v25, 0, v25, s6
	v_cmp_nlt_f32_e64 s6, 0x42b17218, v21
	v_cndmask_b32_e64 v107, 0x7f800000, v25, s6
	v_cmp_ngt_f32_e64 s6, 0xc2ce8ed0, v22
	ds_bpermute_b32 v25, v62, v107
	v_cndmask_b32_e64 v21, v26, v107, s4
	v_cndmask_b32_e64 v24, v24, v107, s5
	s_waitcnt lgkmcnt(0)
	s_delay_alu instid0(VALU_DEP_2) | instskip(NEXT) | instid1(VALU_DEP_2)
	v_cndmask_b32_e64 v26, v21, v25, s3
	v_cndmask_b32_e32 v24, v24, v25, vcc_lo
	s_delay_alu instid0(VALU_DEP_2) | instskip(NEXT) | instid1(VALU_DEP_2)
	v_cvt_f16_f32_e32 v21, v26
	v_cvt_f16_f32_e32 v25, v24
	s_delay_alu instid0(VALU_DEP_1) | instskip(SKIP_1) | instid1(VALU_DEP_1)
	v_pack_b32_f16 v21, v21, v25
	v_mul_f32_e32 v25, 0x3fb8aa3b, v22
	v_fma_f32 v27, 0x3fb8aa3b, v22, -v25
	v_rndne_f32_e32 v28, v25
	s_delay_alu instid0(VALU_DEP_2) | instskip(NEXT) | instid1(VALU_DEP_2)
	v_fmac_f32_e32 v27, 0x32a5705f, v22
	v_sub_f32_e32 v25, v25, v28
	s_delay_alu instid0(VALU_DEP_1) | instskip(SKIP_1) | instid1(VALU_DEP_2)
	v_add_f32_e32 v25, v25, v27
	v_cvt_i32_f32_e32 v27, v28
	v_exp_f32_e32 v25, v25
	s_waitcnt_depctr 0xfff
	v_ldexp_f32 v25, v25, v27
	s_delay_alu instid0(VALU_DEP_1) | instskip(SKIP_1) | instid1(VALU_DEP_1)
	v_cndmask_b32_e64 v25, 0, v25, s6
	v_cmp_nlt_f32_e64 s6, 0x42b17218, v22
	v_cndmask_b32_e64 v108, 0x7f800000, v25, s6
	v_cmp_ngt_f32_e64 s6, 0xc2ce8ed0, v23
	ds_bpermute_b32 v25, v62, v108
	v_cndmask_b32_e64 v22, v26, v108, s4
	v_cndmask_b32_e64 v24, v24, v108, s5
	s_waitcnt lgkmcnt(0)
	s_delay_alu instid0(VALU_DEP_2) | instskip(NEXT) | instid1(VALU_DEP_2)
	v_cndmask_b32_e64 v26, v22, v25, s3
	v_cndmask_b32_e32 v24, v24, v25, vcc_lo
	s_delay_alu instid0(VALU_DEP_2) | instskip(NEXT) | instid1(VALU_DEP_2)
	v_cvt_f16_f32_e32 v22, v26
	v_cvt_f16_f32_e32 v25, v24
	s_delay_alu instid0(VALU_DEP_1) | instskip(SKIP_1) | instid1(VALU_DEP_1)
	v_pack_b32_f16 v22, v22, v25
	v_mul_f32_e32 v25, 0x3fb8aa3b, v23
	v_fma_f32 v27, 0x3fb8aa3b, v23, -v25
	v_rndne_f32_e32 v28, v25
	s_delay_alu instid0(VALU_DEP_2) | instskip(NEXT) | instid1(VALU_DEP_2)
	v_fmac_f32_e32 v27, 0x32a5705f, v23
	v_sub_f32_e32 v25, v25, v28
	s_delay_alu instid0(VALU_DEP_1) | instskip(SKIP_2) | instid1(VALU_DEP_3)
	v_add_f32_e32 v25, v25, v27
	v_cvt_i32_f32_e32 v27, v28
	v_perm_b32 v28, v46, v49, 0x5040100
	v_exp_f32_e32 v25, v25
	s_waitcnt_depctr 0xfff
	v_ldexp_f32 v25, v25, v27
	v_perm_b32 v27, v43, v41, 0x5040100
	s_delay_alu instid0(VALU_DEP_2) | instskip(SKIP_1) | instid1(VALU_DEP_1)
	v_cndmask_b32_e64 v25, 0, v25, s6
	v_cmp_nlt_f32_e64 s6, 0x42b17218, v23
	v_cndmask_b32_e64 v109, 0x7f800000, v25, s6
	ds_bpermute_b32 v25, v62, v109
	v_cndmask_b32_e64 v23, v26, v109, s4
	v_cndmask_b32_e64 v24, v24, v109, s5
	v_perm_b32 v26, v45, v44, 0x5040100
	s_waitcnt lgkmcnt(0)
	s_delay_alu instid0(VALU_DEP_3) | instskip(NEXT) | instid1(VALU_DEP_3)
	v_cndmask_b32_e64 v23, v23, v25, s3
	v_cndmask_b32_e32 v24, v24, v25, vcc_lo
	v_perm_b32 v25, v38, v36, 0x5040100
	s_delay_alu instid0(VALU_DEP_3) | instskip(NEXT) | instid1(VALU_DEP_3)
	v_cvt_f16_f32_e32 v23, v23
	v_cvt_f16_f32_e32 v24, v24
	s_delay_alu instid0(VALU_DEP_1) | instskip(SKIP_1) | instid1(VALU_DEP_1)
	v_pack_b32_f16 v23, v23, v24
	v_perm_b32 v24, v34, v32, 0x5040100
	v_wmma_f16_16x16x16_f16 v[0:7], v[24:31], v[16:23], v[0:7]
	v_add_nc_u32_e32 v26, 0x200, v207
	v_perm_b32 v24, v35, v33, 0x5040100
	v_perm_b32 v25, v39, v37, 0x5040100
	;; [unrolled: 1-line block ×4, first 2 shown]
	ds_load_2addr_b32 v[60:61], v26 offset0:16 offset1:160
	ds_load_b32 v87, v207 offset:1728
	ds_load_b32 v88, v207 offset:6768
	;; [unrolled: 1-line block ×5, first 2 shown]
	s_waitcnt lgkmcnt(4)
	v_perm_b32 v30, v56, v87, 0x5040100
	v_perm_b32 v26, v40, v60, 0x5040100
	v_perm_b32 v28, v47, v61, 0x5040100
	s_waitcnt lgkmcnt(1)
	v_perm_b32 v31, v90, v58, 0x5040100
	s_delay_alu instid0(VALU_DEP_1)
	v_wmma_f16_16x16x16_f16 v[8:15], v[24:31], v[16:23], v[8:15]
	v_perm_b32 v26, v45, v44, 0x7060302
	v_perm_b32 v30, v55, v54, 0x7060302
	;; [unrolled: 1-line block ×8, first 2 shown]
	s_delay_alu instid0(VALU_DEP_1)
	v_wmma_f16_16x16x16_f16 v[0:7], v[24:31], v[16:23], v[0:7] op_sel:[0,0,1]
	v_perm_b32 v24, v35, v33, 0x7060302
	v_perm_b32 v25, v39, v37, 0x7060302
	;; [unrolled: 1-line block ×8, first 2 shown]
	s_delay_alu instid0(VALU_DEP_1) | instskip(SKIP_2) | instid1(VALU_DEP_2)
	v_wmma_f16_16x16x16_f16 v[8:15], v[24:31], v[16:23], v[8:15] op_sel:[0,0,1]
	v_sub_f32_e32 v16, v100, v63
	v_add_nc_u32_e32 v30, 0x1800, v150
	v_mul_f32_e32 v17, 0x3fb8aa3b, v16
	v_cmp_ngt_f32_e64 s6, 0xc2ce8ed0, v16
	s_delay_alu instid0(VALU_DEP_2) | instskip(SKIP_1) | instid1(VALU_DEP_1)
	v_fma_f32 v18, 0x3fb8aa3b, v16, -v17
	v_rndne_f32_e32 v19, v17
	v_dual_fmac_f32 v18, 0x32a5705f, v16 :: v_dual_sub_f32 v17, v17, v19
	v_cvt_i32_f32_e32 v19, v19
	s_delay_alu instid0(VALU_DEP_2) | instskip(NEXT) | instid1(VALU_DEP_1)
	v_dual_add_f32 v17, v17, v18 :: v_dual_sub_f32 v18, v99, v63
	v_exp_f32_e32 v17, v17
	s_delay_alu instid0(VALU_DEP_1) | instskip(SKIP_1) | instid1(VALU_DEP_2)
	v_mul_f32_e32 v20, 0x3fb8aa3b, v18
	v_cmp_ngt_f32_e64 s7, 0xc2ce8ed0, v18
	v_fma_f32 v21, 0x3fb8aa3b, v18, -v20
	v_rndne_f32_e32 v22, v20
	s_waitcnt_depctr 0xfff
	v_ldexp_f32 v17, v17, v19
	v_fmac_f32_e32 v21, 0x32a5705f, v18
	v_sub_f32_e32 v20, v20, v22
	s_delay_alu instid0(VALU_DEP_3) | instskip(SKIP_1) | instid1(VALU_DEP_3)
	v_cndmask_b32_e64 v17, 0, v17, s6
	v_cmp_nlt_f32_e64 s6, 0x42b17218, v16
	v_add_f32_e32 v20, v20, v21
	s_delay_alu instid0(VALU_DEP_2) | instskip(NEXT) | instid1(VALU_DEP_2)
	v_cndmask_b32_e64 v47, 0x7f800000, v17, s6
	v_exp_f32_e32 v19, v20
	v_cvt_i32_f32_e32 v20, v22
	s_waitcnt_depctr 0xfff
	v_ldexp_f32 v19, v19, v20
	s_delay_alu instid0(VALU_DEP_1)
	v_cndmask_b32_e64 v16, 0, v19, s7
	v_cmp_nlt_f32_e64 s7, 0x42b17218, v18
	ds_bpermute_b32 v18, v62, v47
	v_cndmask_b32_e64 v46, 0x7f800000, v16, s7
	ds_bpermute_b32 v16, v62, v46
	s_waitcnt lgkmcnt(0)
	v_cndmask_b32_e32 v17, v46, v16, vcc_lo
	v_cndmask_b32_e64 v16, v46, v16, s3
	s_delay_alu instid0(VALU_DEP_2) | instskip(NEXT) | instid1(VALU_DEP_2)
	v_cndmask_b32_e64 v20, v17, v47, s5
	v_cndmask_b32_e64 v19, v16, v47, s4
	v_cvt_f16_f32_e32 v16, v16
	v_cvt_f16_f32_e32 v17, v17
	s_delay_alu instid0(VALU_DEP_3) | instskip(SKIP_1) | instid1(VALU_DEP_3)
	v_cndmask_b32_e64 v19, v19, v18, s3
	v_cndmask_b32_e32 v18, v20, v18, vcc_lo
	v_pack_b32_f16 v16, v16, v17
	s_delay_alu instid0(VALU_DEP_3) | instskip(NEXT) | instid1(VALU_DEP_3)
	v_cvt_f16_f32_e32 v20, v19
	v_cvt_f16_f32_e32 v21, v18
	s_delay_alu instid0(VALU_DEP_1) | instskip(SKIP_1) | instid1(VALU_DEP_1)
	v_pack_b32_f16 v17, v20, v21
	v_sub_f32_e32 v20, v98, v63
	v_mul_f32_e32 v21, 0x3fb8aa3b, v20
	v_cmp_ngt_f32_e64 s6, 0xc2ce8ed0, v20
	s_delay_alu instid0(VALU_DEP_2) | instskip(SKIP_1) | instid1(VALU_DEP_1)
	v_fma_f32 v22, 0x3fb8aa3b, v20, -v21
	v_rndne_f32_e32 v23, v21
	v_dual_fmac_f32 v22, 0x32a5705f, v20 :: v_dual_sub_f32 v21, v21, v23
	s_delay_alu instid0(VALU_DEP_1) | instskip(SKIP_1) | instid1(VALU_DEP_2)
	v_add_f32_e32 v21, v21, v22
	v_cvt_i32_f32_e32 v22, v23
	v_exp_f32_e32 v21, v21
	s_waitcnt_depctr 0xfff
	v_ldexp_f32 v21, v21, v22
	s_delay_alu instid0(VALU_DEP_1) | instskip(SKIP_1) | instid1(VALU_DEP_1)
	v_cndmask_b32_e64 v21, 0, v21, s6
	v_cmp_nlt_f32_e64 s6, 0x42b17218, v20
	v_cndmask_b32_e64 v48, 0x7f800000, v21, s6
	ds_bpermute_b32 v20, v62, v48
	v_cndmask_b32_e64 v19, v19, v48, s4
	v_cndmask_b32_e64 v18, v18, v48, s5
	s_waitcnt lgkmcnt(0)
	s_delay_alu instid0(VALU_DEP_2) | instskip(NEXT) | instid1(VALU_DEP_2)
	v_cndmask_b32_e64 v19, v19, v20, s3
	v_cndmask_b32_e32 v20, v18, v20, vcc_lo
	s_delay_alu instid0(VALU_DEP_2) | instskip(NEXT) | instid1(VALU_DEP_2)
	v_cvt_f16_f32_e32 v18, v19
	v_cvt_f16_f32_e32 v21, v20
	s_delay_alu instid0(VALU_DEP_1) | instskip(SKIP_1) | instid1(VALU_DEP_1)
	v_pack_b32_f16 v18, v18, v21
	v_sub_f32_e32 v21, v97, v63
	v_mul_f32_e32 v22, 0x3fb8aa3b, v21
	v_cmp_ngt_f32_e64 s6, 0xc2ce8ed0, v21
	s_delay_alu instid0(VALU_DEP_2) | instskip(SKIP_1) | instid1(VALU_DEP_1)
	v_fma_f32 v23, 0x3fb8aa3b, v21, -v22
	v_rndne_f32_e32 v24, v22
	v_dual_fmac_f32 v23, 0x32a5705f, v21 :: v_dual_sub_f32 v22, v22, v24
	s_delay_alu instid0(VALU_DEP_1) | instskip(SKIP_1) | instid1(VALU_DEP_2)
	v_add_f32_e32 v22, v22, v23
	v_cvt_i32_f32_e32 v23, v24
	v_exp_f32_e32 v22, v22
	s_waitcnt_depctr 0xfff
	v_ldexp_f32 v22, v22, v23
	s_delay_alu instid0(VALU_DEP_1) | instskip(SKIP_1) | instid1(VALU_DEP_1)
	v_cndmask_b32_e64 v22, 0, v22, s6
	v_cmp_nlt_f32_e64 s6, 0x42b17218, v21
	v_cndmask_b32_e64 v49, 0x7f800000, v22, s6
	v_add_nc_u32_e32 v29, 0x1600, v150
	ds_bpermute_b32 v21, v62, v49
	v_cndmask_b32_e64 v19, v19, v49, s4
	v_cndmask_b32_e64 v20, v20, v49, s5
	s_waitcnt lgkmcnt(0)
	s_delay_alu instid0(VALU_DEP_2) | instskip(NEXT) | instid1(VALU_DEP_2)
	v_cndmask_b32_e64 v22, v19, v21, s3
	v_cndmask_b32_e32 v20, v20, v21, vcc_lo
	s_delay_alu instid0(VALU_DEP_2) | instskip(NEXT) | instid1(VALU_DEP_2)
	v_cvt_f16_f32_e32 v19, v22
	v_cvt_f16_f32_e32 v21, v20
	s_delay_alu instid0(VALU_DEP_1) | instskip(SKIP_1) | instid1(VALU_DEP_1)
	v_pack_b32_f16 v19, v19, v21
	v_sub_f32_e32 v21, v96, v63
	v_mul_f32_e32 v23, 0x3fb8aa3b, v21
	v_cmp_ngt_f32_e64 s6, 0xc2ce8ed0, v21
	s_delay_alu instid0(VALU_DEP_2) | instskip(SKIP_1) | instid1(VALU_DEP_2)
	v_fma_f32 v24, 0x3fb8aa3b, v21, -v23
	v_rndne_f32_e32 v25, v23
	v_fmac_f32_e32 v24, 0x32a5705f, v21
	s_delay_alu instid0(VALU_DEP_2) | instskip(NEXT) | instid1(VALU_DEP_1)
	v_sub_f32_e32 v23, v23, v25
	v_add_f32_e32 v23, v23, v24
	v_cvt_i32_f32_e32 v24, v25
	s_delay_alu instid0(VALU_DEP_2) | instskip(SKIP_2) | instid1(VALU_DEP_1)
	v_exp_f32_e32 v23, v23
	s_waitcnt_depctr 0xfff
	v_ldexp_f32 v23, v23, v24
	v_cndmask_b32_e64 v23, 0, v23, s6
	v_cmp_nlt_f32_e64 s6, 0x42b17218, v21
	s_delay_alu instid0(VALU_DEP_1) | instskip(NEXT) | instid1(VALU_DEP_1)
	v_cndmask_b32_e64 v50, 0x7f800000, v23, s6
	v_cndmask_b32_e64 v21, v22, v50, s4
	ds_bpermute_b32 v22, v62, v50
	v_cndmask_b32_e64 v20, v20, v50, s5
	s_waitcnt lgkmcnt(0)
	v_cndmask_b32_e64 v21, v21, v22, s3
	s_delay_alu instid0(VALU_DEP_2) | instskip(NEXT) | instid1(VALU_DEP_2)
	v_cndmask_b32_e32 v22, v20, v22, vcc_lo
	v_cvt_f16_f32_e32 v20, v21
	s_delay_alu instid0(VALU_DEP_2) | instskip(NEXT) | instid1(VALU_DEP_1)
	v_cvt_f16_f32_e32 v23, v22
	v_pack_b32_f16 v20, v20, v23
	v_sub_f32_e32 v23, v95, v63
	s_delay_alu instid0(VALU_DEP_1) | instskip(SKIP_1) | instid1(VALU_DEP_2)
	v_mul_f32_e32 v24, 0x3fb8aa3b, v23
	v_cmp_ngt_f32_e64 s6, 0xc2ce8ed0, v23
	v_fma_f32 v25, 0x3fb8aa3b, v23, -v24
	v_rndne_f32_e32 v26, v24
	s_delay_alu instid0(VALU_DEP_1) | instskip(NEXT) | instid1(VALU_DEP_1)
	v_dual_fmac_f32 v25, 0x32a5705f, v23 :: v_dual_sub_f32 v24, v24, v26
	v_add_f32_e32 v24, v24, v25
	v_cvt_i32_f32_e32 v25, v26
	s_delay_alu instid0(VALU_DEP_2) | instskip(SKIP_2) | instid1(VALU_DEP_1)
	v_exp_f32_e32 v24, v24
	s_waitcnt_depctr 0xfff
	v_ldexp_f32 v24, v24, v25
	v_cndmask_b32_e64 v24, 0, v24, s6
	v_cmp_nlt_f32_e64 s6, 0x42b17218, v23
	s_delay_alu instid0(VALU_DEP_1) | instskip(SKIP_4) | instid1(VALU_DEP_2)
	v_cndmask_b32_e64 v51, 0x7f800000, v24, s6
	ds_bpermute_b32 v23, v62, v51
	v_cndmask_b32_e64 v21, v21, v51, s4
	v_cndmask_b32_e64 v22, v22, v51, s5
	s_waitcnt lgkmcnt(0)
	v_cndmask_b32_e64 v24, v21, v23, s3
	s_delay_alu instid0(VALU_DEP_2) | instskip(NEXT) | instid1(VALU_DEP_2)
	v_cndmask_b32_e32 v22, v22, v23, vcc_lo
	v_cvt_f16_f32_e32 v21, v24
	s_delay_alu instid0(VALU_DEP_2) | instskip(NEXT) | instid1(VALU_DEP_1)
	v_cvt_f16_f32_e32 v23, v22
	v_pack_b32_f16 v21, v21, v23
	v_sub_f32_e32 v23, v94, v63
	s_delay_alu instid0(VALU_DEP_1) | instskip(SKIP_1) | instid1(VALU_DEP_2)
	v_mul_f32_e32 v25, 0x3fb8aa3b, v23
	v_cmp_ngt_f32_e64 s6, 0xc2ce8ed0, v23
	v_fma_f32 v26, 0x3fb8aa3b, v23, -v25
	v_rndne_f32_e32 v27, v25
	s_delay_alu instid0(VALU_DEP_2) | instskip(NEXT) | instid1(VALU_DEP_2)
	v_fmac_f32_e32 v26, 0x32a5705f, v23
	v_sub_f32_e32 v25, v25, v27
	s_delay_alu instid0(VALU_DEP_1) | instskip(SKIP_1) | instid1(VALU_DEP_2)
	v_add_f32_e32 v25, v25, v26
	v_cvt_i32_f32_e32 v26, v27
	v_exp_f32_e32 v25, v25
	s_waitcnt_depctr 0xfff
	v_ldexp_f32 v25, v25, v26
	s_delay_alu instid0(VALU_DEP_1) | instskip(SKIP_1) | instid1(VALU_DEP_1)
	v_cndmask_b32_e64 v25, 0, v25, s6
	v_cmp_nlt_f32_e64 s6, 0x42b17218, v23
	v_cndmask_b32_e64 v52, 0x7f800000, v25, s6
	s_delay_alu instid0(VALU_DEP_1) | instskip(SKIP_4) | instid1(VALU_DEP_2)
	v_cndmask_b32_e64 v23, v24, v52, s4
	ds_bpermute_b32 v24, v62, v52
	v_cndmask_b32_e64 v22, v22, v52, s5
	s_waitcnt lgkmcnt(0)
	v_cndmask_b32_e64 v23, v23, v24, s3
	v_cndmask_b32_e32 v24, v22, v24, vcc_lo
	s_delay_alu instid0(VALU_DEP_2) | instskip(NEXT) | instid1(VALU_DEP_2)
	v_cvt_f16_f32_e32 v22, v23
	v_cvt_f16_f32_e32 v25, v24
	s_delay_alu instid0(VALU_DEP_1) | instskip(SKIP_1) | instid1(VALU_DEP_1)
	v_pack_b32_f16 v22, v22, v25
	v_sub_f32_e32 v25, v93, v63
	v_mul_f32_e32 v26, 0x3fb8aa3b, v25
	v_cmp_ngt_f32_e64 s6, 0xc2ce8ed0, v25
	s_delay_alu instid0(VALU_DEP_2) | instskip(SKIP_1) | instid1(VALU_DEP_1)
	v_fma_f32 v27, 0x3fb8aa3b, v25, -v26
	v_rndne_f32_e32 v28, v26
	v_dual_fmac_f32 v27, 0x32a5705f, v25 :: v_dual_sub_f32 v26, v26, v28
	s_delay_alu instid0(VALU_DEP_1) | instskip(SKIP_1) | instid1(VALU_DEP_2)
	v_add_f32_e32 v26, v26, v27
	v_cvt_i32_f32_e32 v27, v28
	v_exp_f32_e32 v26, v26
	s_waitcnt_depctr 0xfff
	v_ldexp_f32 v26, v26, v27
	v_add_nc_u32_e32 v27, 0x1400, v150
	s_delay_alu instid0(VALU_DEP_2) | instskip(SKIP_1) | instid1(VALU_DEP_1)
	v_cndmask_b32_e64 v26, 0, v26, s6
	v_cmp_nlt_f32_e64 s6, 0x42b17218, v25
	v_cndmask_b32_e64 v53, 0x7f800000, v26, s6
	v_add_nc_u32_e32 v26, 0x200, v206
	ds_bpermute_b32 v25, v62, v53
	v_cndmask_b32_e64 v23, v23, v53, s4
	v_cndmask_b32_e64 v24, v24, v53, s5
	s_waitcnt lgkmcnt(0)
	s_delay_alu instid0(VALU_DEP_2) | instskip(NEXT) | instid1(VALU_DEP_2)
	v_cndmask_b32_e64 v23, v23, v25, s3
	v_cndmask_b32_e32 v24, v24, v25, vcc_lo
	s_cselect_b32 s3, -1, 0
	s_delay_alu instid0(SALU_CYCLE_1) | instskip(NEXT) | instid1(VALU_DEP_2)
	s_and_b32 s4, s0, s3
	v_cvt_f16_f32_e32 v23, v23
	s_delay_alu instid0(VALU_DEP_2) | instskip(NEXT) | instid1(VALU_DEP_1)
	v_cvt_f16_f32_e32 v24, v24
	v_pack_b32_f16 v23, v23, v24
	v_add_nc_u32_e32 v24, 0x1000, v150
	ds_load_2addr_b32 v[32:33], v24 offset0:128 offset1:164
	ds_load_2addr_b32 v[34:35], v24 offset0:200 offset1:236
	;; [unrolled: 1-line block ×7, first 2 shown]
	s_waitcnt lgkmcnt(6)
	v_perm_b32 v24, v33, v32, 0x5040100
	s_waitcnt lgkmcnt(5)
	v_perm_b32 v25, v35, v34, 0x5040100
	;; [unrolled: 2-line block ×4, first 2 shown]
	v_perm_b32 v28, v41, v37, 0x5040100
	s_waitcnt lgkmcnt(1)
	v_perm_b32 v29, v43, v42, 0x5040100
	s_waitcnt lgkmcnt(0)
	v_perm_b32 v30, v44, v89, 0x5040100
	v_perm_b32 v31, v110, v45, 0x5040100
	s_delay_alu instid0(VALU_DEP_1)
	v_wmma_f16_16x16x16_f16 v[0:7], v[24:31], v[16:23], v[0:7]
	v_perm_b32 v26, v38, v36, 0x7060302
	v_perm_b32 v27, v40, v39, 0x7060302
	;; [unrolled: 1-line block ×8, first 2 shown]
	s_delay_alu instid0(VALU_DEP_1)
	v_wmma_f16_16x16x16_f16 v[0:7], v[24:31], v[16:23], v[0:7] op_sel:[0,0,1]
	v_add_nc_u32_e32 v24, 0x1000, v207
	v_add_nc_u32_e32 v26, 0x200, v151
	v_add_nc_u32_e32 v27, 0x1400, v207
	v_add_nc_u32_e32 v29, 0x1600, v207
	v_add_nc_u32_e32 v30, 0x1800, v207
	ds_load_2addr_b32 v[32:33], v24 offset0:128 offset1:164
	ds_load_2addr_b32 v[34:35], v24 offset0:200 offset1:236
	;; [unrolled: 1-line block ×6, first 2 shown]
	ds_load_b32 v54, v151 offset:1728
	ds_load_2addr_b32 v[44:45], v30 offset0:84 offset1:120
	s_waitcnt lgkmcnt(0)
	s_barrier
	buffer_gl0_inv
	v_perm_b32 v24, v33, v32, 0x5040100
	v_perm_b32 v25, v35, v34, 0x5040100
	;; [unrolled: 1-line block ×8, first 2 shown]
	s_delay_alu instid0(VALU_DEP_1)
	v_wmma_f16_16x16x16_f16 v[8:15], v[24:31], v[16:23], v[8:15]
	v_perm_b32 v26, v38, v36, 0x7060302
	v_perm_b32 v27, v40, v39, 0x7060302
	;; [unrolled: 1-line block ×8, first 2 shown]
	s_delay_alu instid0(VALU_DEP_1) | instskip(SKIP_1) | instid1(VALU_DEP_1)
	v_wmma_f16_16x16x16_f16 v[8:15], v[24:31], v[16:23], v[8:15] op_sel:[0,0,1]
	v_add_f32_e32 v16, v102, v103
	v_add_f32_e32 v16, v104, v16
	s_delay_alu instid0(VALU_DEP_1) | instskip(NEXT) | instid1(VALU_DEP_1)
	v_add_f32_e32 v16, v105, v16
	v_add_f32_e32 v16, v106, v16
	s_delay_alu instid0(VALU_DEP_1) | instskip(NEXT) | instid1(VALU_DEP_1)
	;; [unrolled: 3-line block ×7, first 2 shown]
	v_add_f32_e32 v16, v53, v16
	v_fmac_f32_e32 v16, v246, v101
	ds_bpermute_b32 v17, v62, v16
	s_waitcnt lgkmcnt(0)
	v_add_f32_e32 v16, v16, v17
	s_and_saveexec_b32 s3, s4
	s_cbranch_execz .LBB0_183
; %bb.182:                              ;   in Loop: Header=BB0_12 Depth=1
	v_dual_max_f32 v18, v63, v63 :: v_dual_lshlrev_b32 v17, 2, v208
	global_load_b32 v17, v17, s[76:77]
	s_waitcnt vmcnt(0)
	v_max_f32_e32 v19, v17, v17
	s_delay_alu instid0(VALU_DEP_1) | instskip(NEXT) | instid1(VALU_DEP_1)
	v_max_f32_e32 v18, v18, v19
	v_sub_f32_e32 v17, v17, v18
	s_delay_alu instid0(VALU_DEP_1) | instskip(SKIP_2) | instid1(VALU_DEP_3)
	v_mul_f32_e32 v23, 0x3fb8aa3b, v17
	v_sub_f32_e32 v19, v63, v18
	v_mov_b32_e32 v63, v18
	v_rndne_f32_e32 v25, v23
	s_delay_alu instid0(VALU_DEP_3) | instskip(NEXT) | instid1(VALU_DEP_1)
	v_mul_f32_e32 v20, 0x3fb8aa3b, v19
	v_fma_f32 v21, 0x3fb8aa3b, v19, -v20
	v_rndne_f32_e32 v22, v20
	s_delay_alu instid0(VALU_DEP_1) | instskip(SKIP_1) | instid1(VALU_DEP_2)
	v_dual_fmac_f32 v21, 0x32a5705f, v19 :: v_dual_sub_f32 v20, v20, v22
	v_cvt_i32_f32_e32 v22, v22
	v_add_f32_e32 v20, v20, v21
	v_cmp_ngt_f32_e32 vcc_lo, 0xc2ce8ed0, v19
	v_sub_f32_e32 v21, v23, v25
	s_delay_alu instid0(VALU_DEP_3) | instskip(SKIP_3) | instid1(VALU_DEP_2)
	v_exp_f32_e32 v20, v20
	s_waitcnt_depctr 0xfff
	v_ldexp_f32 v20, v20, v22
	v_cvt_i32_f32_e32 v22, v25
	v_cndmask_b32_e32 v20, 0, v20, vcc_lo
	v_fma_f32 v24, 0x3fb8aa3b, v17, -v23
	v_cmp_nlt_f32_e32 vcc_lo, 0x42b17218, v19
	s_delay_alu instid0(VALU_DEP_2) | instskip(NEXT) | instid1(VALU_DEP_4)
	v_fmac_f32_e32 v24, 0x32a5705f, v17
	v_cndmask_b32_e32 v20, 0x7f800000, v20, vcc_lo
	v_cmp_ngt_f32_e32 vcc_lo, 0xc2ce8ed0, v17
	s_delay_alu instid0(VALU_DEP_3) | instskip(NEXT) | instid1(VALU_DEP_1)
	v_add_f32_e32 v21, v21, v24
	v_exp_f32_e32 v21, v21
	s_waitcnt_depctr 0xfff
	v_ldexp_f32 v21, v21, v22
	s_delay_alu instid0(VALU_DEP_1) | instskip(SKIP_3) | instid1(VALU_DEP_2)
	v_cndmask_b32_e32 v21, 0, v21, vcc_lo
	v_cmp_le_f32_e32 vcc_lo, 0xc1a00000, v19
	v_cndmask_b32_e32 v19, 0, v20, vcc_lo
	v_cmp_nlt_f32_e32 vcc_lo, 0x42b17218, v17
	v_cvt_f16_f32_e32 v20, v19
	v_cndmask_b32_e32 v17, 0x7f800000, v21, vcc_lo
	s_delay_alu instid0(VALU_DEP_2) | instskip(NEXT) | instid1(VALU_DEP_2)
	v_pk_mul_f16 v0, v20, v0 op_sel_hi:[0,1]
	v_fmac_f32_e32 v17, v16, v19
	v_pk_mul_f16 v1, v20, v1 op_sel_hi:[0,1]
	v_pk_mul_f16 v2, v20, v2 op_sel_hi:[0,1]
	;; [unrolled: 1-line block ×4, first 2 shown]
	v_mov_b32_e32 v16, v17
	v_pk_mul_f16 v5, v20, v5 op_sel_hi:[0,1]
	v_pk_mul_f16 v6, v20, v6 op_sel_hi:[0,1]
	;; [unrolled: 1-line block ×11, first 2 shown]
.LBB0_183:                              ;   in Loop: Header=BB0_12 Depth=1
	s_or_b32 exec_lo, exec_lo, s3
	s_and_saveexec_b32 s3, s2
	s_cbranch_execz .LBB0_185
; %bb.184:                              ;   in Loop: Header=BB0_12 Depth=1
	v_add_nc_u32_e32 v17, 0, v153
	ds_store_2addr_b32 v17, v63, v16 offset0:32 offset1:33
.LBB0_185:                              ;   in Loop: Header=BB0_12 Depth=1
	s_or_b32 exec_lo, exec_lo, s3
	s_waitcnt lgkmcnt(0)
	s_barrier
	buffer_gl0_inv
	s_and_saveexec_b32 s3, s1
	s_delay_alu instid0(SALU_CYCLE_1)
	s_xor_b32 s3, exec_lo, s3
	s_cbranch_execz .LBB0_187
; %bb.186:                              ;   in Loop: Header=BB0_12 Depth=1
	s_barrier
	buffer_gl0_inv
                                        ; implicit-def: $vgpr62
.LBB0_187:                              ;   in Loop: Header=BB0_12 Depth=1
	s_and_not1_saveexec_b32 s3, s3
	s_cbranch_execz .LBB0_189
; %bb.188:                              ;   in Loop: Header=BB0_12 Depth=1
	v_add_nc_u32_e32 v20, 0, v154
	ds_load_b64 v[16:17], v20 offset:128
	s_waitcnt lgkmcnt(0)
	s_barrier
	buffer_gl0_inv
	v_max_f32_e32 v19, v16, v16
	ds_bpermute_b32 v18, v62, v16
	s_waitcnt lgkmcnt(0)
	v_max_f32_e32 v18, v18, v18
	s_delay_alu instid0(VALU_DEP_1) | instskip(NEXT) | instid1(VALU_DEP_1)
	v_max_f32_e32 v18, v19, v18
	v_sub_f32_e32 v16, v16, v18
	s_delay_alu instid0(VALU_DEP_1) | instskip(SKIP_1) | instid1(VALU_DEP_2)
	v_mul_f32_e32 v18, 0x3fb8aa3b, v16
	v_cmp_ngt_f32_e32 vcc_lo, 0xc2ce8ed0, v16
	v_fma_f32 v19, 0x3fb8aa3b, v16, -v18
	v_rndne_f32_e32 v21, v18
	s_delay_alu instid0(VALU_DEP_1) | instskip(NEXT) | instid1(VALU_DEP_1)
	v_dual_fmac_f32 v19, 0x32a5705f, v16 :: v_dual_sub_f32 v18, v18, v21
	v_add_f32_e32 v18, v18, v19
	v_cvt_i32_f32_e32 v19, v21
	s_delay_alu instid0(VALU_DEP_2) | instskip(SKIP_2) | instid1(VALU_DEP_1)
	v_exp_f32_e32 v18, v18
	s_waitcnt_depctr 0xfff
	v_ldexp_f32 v18, v18, v19
	v_cndmask_b32_e32 v18, 0, v18, vcc_lo
	v_cmp_nlt_f32_e32 vcc_lo, 0x42b17218, v16
	s_delay_alu instid0(VALU_DEP_2) | instskip(NEXT) | instid1(VALU_DEP_1)
	v_cndmask_b32_e32 v18, 0x7f800000, v18, vcc_lo
	v_mul_f32_e32 v16, v17, v18
	ds_bpermute_b32 v19, v62, v16
	s_waitcnt lgkmcnt(0)
	v_fmac_f32_e32 v19, v17, v18
	ds_store_b64 v20, v[18:19] offset:128
.LBB0_189:                              ;   in Loop: Header=BB0_12 Depth=1
	s_or_b32 exec_lo, exec_lo, s3
	ds_store_2addr_b32 v155, v0, v1 offset1:2
	ds_store_2addr_b32 v155, v2, v3 offset0:4 offset1:6
	ds_store_2addr_b32 v155, v4, v5 offset0:8 offset1:10
	ds_store_2addr_b32 v155, v6, v7 offset0:12 offset1:14
	ds_store_2addr_b32 v155, v8, v9 offset0:16 offset1:18
	ds_store_2addr_b32 v155, v10, v11 offset0:20 offset1:22
	ds_store_2addr_b32 v155, v12, v13 offset0:24 offset1:26
	ds_store_2addr_b32 v155, v14, v15 offset0:28 offset1:30
	s_waitcnt lgkmcnt(0)
	s_barrier
	buffer_gl0_inv
	s_and_saveexec_b32 s5, s0
	s_cbranch_execz .LBB0_10
; %bb.190:                              ;   in Loop: Header=BB0_12 Depth=1
	v_add_nc_u32_e32 v0, s101, v216
	v_or_b32_e32 v1, s53, v92
	s_delay_alu instid0(VALU_DEP_1) | instskip(SKIP_1) | instid1(VALU_DEP_4)
	v_cmp_gt_i32_e64 s3, s14, v1
	v_mov_b32_e32 v1, 0x47
	v_cmp_gt_i32_e32 vcc_lo, s44, v0
	s_delay_alu instid0(VALU_DEP_3) | instskip(NEXT) | instid1(SALU_CYCLE_1)
	s_and_b32 s4, vcc_lo, s3
	s_and_saveexec_b32 s6, s4
	s_cbranch_execz .LBB0_192
; %bb.191:                              ;   in Loop: Header=BB0_12 Depth=1
	v_add_nc_u32_e32 v5, 0, v156
	ds_load_2addr_stride64_b32 v[1:2], v157 offset1:9
	ds_load_2addr_b32 v[3:4], v5 offset0:32 offset1:33
	ds_load_b32 v5, v5 offset:2432
	s_waitcnt lgkmcnt(1)
	v_fma_mix_f32 v6, v3, v1, 0 op_sel_hi:[0,1,0]
	v_fma_mix_f32 v1, v3, v1, 0 op_sel:[0,1,0] op_sel_hi:[0,1,0]
	s_waitcnt lgkmcnt(0)
	s_delay_alu instid0(VALU_DEP_2) | instskip(NEXT) | instid1(VALU_DEP_2)
	v_fma_mix_f32 v3, v5, v2, v6 op_sel_hi:[0,1,0]
	v_fma_mix_f32 v5, v5, v2, v1 op_sel:[0,1,0] op_sel_hi:[0,1,0]
	s_delay_alu instid0(VALU_DEP_2) | instskip(NEXT) | instid1(VALU_DEP_2)
	v_div_scale_f32 v6, null, v4, v4, v3
	v_div_scale_f32 v7, null, v4, v4, v5
	v_div_scale_f32 v10, vcc_lo, v3, v4, v3
	s_delay_alu instid0(VALU_DEP_3) | instskip(NEXT) | instid1(VALU_DEP_2)
	v_rcp_f32_e32 v8, v6
	v_rcp_f32_e32 v9, v7
	v_div_scale_f32 v11, s4, v5, v4, v5
	s_waitcnt_depctr 0xfff
	v_fma_f32 v1, -v6, v8, 1.0
	v_fma_f32 v2, -v7, v9, 1.0
	s_delay_alu instid0(VALU_DEP_1) | instskip(SKIP_1) | instid1(VALU_DEP_2)
	v_dual_fmac_f32 v8, v1, v8 :: v_dual_fmac_f32 v9, v2, v9
	v_mad_u64_u32 v[1:2], null, v0, s45, v[92:93]
	v_dual_mul_f32 v12, v10, v8 :: v_dual_mul_f32 v13, v11, v9
	s_delay_alu instid0(VALU_DEP_1) | instskip(NEXT) | instid1(VALU_DEP_2)
	v_fma_f32 v0, -v6, v12, v10
	v_fma_f32 v2, -v7, v13, v11
	s_delay_alu instid0(VALU_DEP_1) | instskip(SKIP_1) | instid1(VALU_DEP_2)
	v_dual_fmac_f32 v12, v0, v8 :: v_dual_fmac_f32 v13, v2, v9
	v_lshl_add_u32 v0, v1, 5, v64
	v_fma_f32 v2, -v6, v12, v10
	s_delay_alu instid0(VALU_DEP_3) | instskip(NEXT) | instid1(VALU_DEP_3)
	v_fma_f32 v6, -v7, v13, v11
	v_ashrrev_i32_e32 v1, 31, v0
	s_delay_alu instid0(VALU_DEP_3) | instskip(SKIP_1) | instid1(VALU_DEP_2)
	v_div_fmas_f32 v2, v2, v8, v12
	s_mov_b32 vcc_lo, s4
	v_lshlrev_b64 v[0:1], 3, v[0:1]
	v_div_fmas_f32 v6, v6, v9, v13
	s_delay_alu instid0(VALU_DEP_3) | instskip(NEXT) | instid1(VALU_DEP_2)
	v_div_fixup_f32 v2, v2, v4, v3
	v_div_fixup_f32 v3, v6, v4, v5
	s_delay_alu instid0(VALU_DEP_4)
	v_add_co_u32 v4, vcc_lo, s71, v0
	v_add_co_ci_u32_e32 v5, vcc_lo, s96, v1, vcc_lo
	v_mov_b32_e32 v1, 0
	global_store_b64 v[4:5], v[2:3], off
.LBB0_192:                              ;   in Loop: Header=BB0_12 Depth=1
	s_or_b32 exec_lo, exec_lo, s6
	s_mov_b32 s4, -1
	s_mov_b32 s6, exec_lo
	v_cmpx_gt_i32_e32 0x47, v1
; %bb.193:                              ;   in Loop: Header=BB0_12 Depth=1
	v_cmp_eq_u32_e32 vcc_lo, 0, v1
	s_or_not1_b32 s4, vcc_lo, exec_lo
; %bb.194:                              ;   in Loop: Header=BB0_12 Depth=1
	s_or_b32 exec_lo, exec_lo, s6
	s_delay_alu instid0(SALU_CYCLE_1)
	s_and_b32 exec_lo, exec_lo, s4
	s_cbranch_execz .LBB0_10
; %bb.195:                              ;   in Loop: Header=BB0_12 Depth=1
	v_add_nc_u32_e32 v0, s101, v217
	v_or_b32_e32 v1, s53, v83
	s_delay_alu instid0(VALU_DEP_1) | instskip(SKIP_1) | instid1(VALU_DEP_4)
	v_cmp_gt_i32_e64 s4, s14, v1
	v_mov_b32_e32 v1, 0x47
	v_cmp_gt_i32_e32 vcc_lo, s44, v0
	s_delay_alu instid0(VALU_DEP_3) | instskip(NEXT) | instid1(SALU_CYCLE_1)
	s_and_b32 s4, vcc_lo, s4
	s_and_saveexec_b32 s6, s4
	s_cbranch_execz .LBB0_197
; %bb.196:                              ;   in Loop: Header=BB0_12 Depth=1
	v_add_nc_u32_e32 v5, 0, v158
	ds_load_2addr_stride64_b32 v[1:2], v159 offset1:9
	ds_load_2addr_b32 v[3:4], v5 offset0:32 offset1:33
	ds_load_b32 v5, v5 offset:2432
	s_waitcnt lgkmcnt(1)
	v_fma_mix_f32 v6, v3, v1, 0 op_sel_hi:[0,1,0]
	v_fma_mix_f32 v1, v3, v1, 0 op_sel:[0,1,0] op_sel_hi:[0,1,0]
	s_waitcnt lgkmcnt(0)
	s_delay_alu instid0(VALU_DEP_2) | instskip(NEXT) | instid1(VALU_DEP_2)
	v_fma_mix_f32 v3, v5, v2, v6 op_sel_hi:[0,1,0]
	v_fma_mix_f32 v5, v5, v2, v1 op_sel:[0,1,0] op_sel_hi:[0,1,0]
	s_delay_alu instid0(VALU_DEP_2) | instskip(NEXT) | instid1(VALU_DEP_2)
	v_div_scale_f32 v6, null, v4, v4, v3
	v_div_scale_f32 v7, null, v4, v4, v5
	v_div_scale_f32 v10, vcc_lo, v3, v4, v3
	s_delay_alu instid0(VALU_DEP_3) | instskip(NEXT) | instid1(VALU_DEP_2)
	v_rcp_f32_e32 v8, v6
	v_rcp_f32_e32 v9, v7
	v_div_scale_f32 v11, s4, v5, v4, v5
	s_waitcnt_depctr 0xfff
	v_fma_f32 v1, -v6, v8, 1.0
	v_fma_f32 v2, -v7, v9, 1.0
	s_delay_alu instid0(VALU_DEP_2) | instskip(NEXT) | instid1(VALU_DEP_1)
	v_fmac_f32_e32 v8, v1, v8
	v_mul_f32_e32 v12, v10, v8
	s_delay_alu instid0(VALU_DEP_3) | instskip(SKIP_1) | instid1(VALU_DEP_3)
	v_fmac_f32_e32 v9, v2, v9
	v_mad_u64_u32 v[1:2], null, v0, s45, v[83:84]
	v_fma_f32 v0, -v6, v12, v10
	s_delay_alu instid0(VALU_DEP_1) | instskip(NEXT) | instid1(VALU_DEP_3)
	v_dual_fmac_f32 v12, v0, v8 :: v_dual_mul_f32 v13, v11, v9
	v_lshl_add_u32 v0, v1, 5, v64
	s_delay_alu instid0(VALU_DEP_2) | instskip(NEXT) | instid1(VALU_DEP_2)
	v_fma_f32 v2, -v7, v13, v11
	v_ashrrev_i32_e32 v1, 31, v0
	s_delay_alu instid0(VALU_DEP_2) | instskip(SKIP_1) | instid1(VALU_DEP_3)
	v_fmac_f32_e32 v13, v2, v9
	v_fma_f32 v2, -v6, v12, v10
	v_lshlrev_b64 v[0:1], 3, v[0:1]
	s_delay_alu instid0(VALU_DEP_3) | instskip(NEXT) | instid1(VALU_DEP_3)
	v_fma_f32 v6, -v7, v13, v11
	v_div_fmas_f32 v2, v2, v8, v12
	s_mov_b32 vcc_lo, s4
	s_delay_alu instid0(VALU_DEP_2) | instskip(NEXT) | instid1(VALU_DEP_2)
	v_div_fmas_f32 v6, v6, v9, v13
	v_div_fixup_f32 v2, v2, v4, v3
	s_delay_alu instid0(VALU_DEP_2)
	v_div_fixup_f32 v3, v6, v4, v5
	v_add_co_u32 v4, vcc_lo, s71, v0
	v_add_co_ci_u32_e32 v5, vcc_lo, s96, v1, vcc_lo
	v_mov_b32_e32 v1, 0
	global_store_b64 v[4:5], v[2:3], off
.LBB0_197:                              ;   in Loop: Header=BB0_12 Depth=1
	s_or_b32 exec_lo, exec_lo, s6
	s_mov_b32 s4, -1
	s_mov_b32 s6, exec_lo
	v_cmpx_gt_i32_e32 0x47, v1
; %bb.198:                              ;   in Loop: Header=BB0_12 Depth=1
	v_cmp_eq_u32_e32 vcc_lo, 0, v1
	s_or_not1_b32 s4, vcc_lo, exec_lo
; %bb.199:                              ;   in Loop: Header=BB0_12 Depth=1
	s_or_b32 exec_lo, exec_lo, s6
	s_delay_alu instid0(SALU_CYCLE_1)
	s_and_b32 exec_lo, exec_lo, s4
	s_cbranch_execz .LBB0_10
; %bb.200:                              ;   in Loop: Header=BB0_12 Depth=1
	v_dual_mov_b32 v1, 0x47 :: v_dual_add_nc_u32 v0, s101, v160
	s_delay_alu instid0(VALU_DEP_1) | instskip(SKIP_1) | instid1(SALU_CYCLE_1)
	v_cmp_gt_i32_e32 vcc_lo, s44, v0
	s_and_b32 s4, vcc_lo, s3
	s_and_saveexec_b32 s6, s4
	s_cbranch_execz .LBB0_202
; %bb.201:                              ;   in Loop: Header=BB0_12 Depth=1
	v_add_nc_u32_e32 v5, 0, v161
	ds_load_2addr_stride64_b32 v[1:2], v162 offset1:9
	ds_load_2addr_b32 v[3:4], v5 offset0:32 offset1:33
	ds_load_b32 v5, v5 offset:2432
	s_waitcnt lgkmcnt(1)
	v_fma_mix_f32 v6, v3, v1, 0 op_sel_hi:[0,1,0]
	v_fma_mix_f32 v1, v3, v1, 0 op_sel:[0,1,0] op_sel_hi:[0,1,0]
	s_waitcnt lgkmcnt(0)
	s_delay_alu instid0(VALU_DEP_2) | instskip(NEXT) | instid1(VALU_DEP_2)
	v_fma_mix_f32 v3, v5, v2, v6 op_sel_hi:[0,1,0]
	v_fma_mix_f32 v5, v5, v2, v1 op_sel:[0,1,0] op_sel_hi:[0,1,0]
	s_delay_alu instid0(VALU_DEP_2) | instskip(NEXT) | instid1(VALU_DEP_2)
	v_div_scale_f32 v6, null, v4, v4, v3
	v_div_scale_f32 v7, null, v4, v4, v5
	v_div_scale_f32 v10, vcc_lo, v3, v4, v3
	s_delay_alu instid0(VALU_DEP_3) | instskip(NEXT) | instid1(VALU_DEP_2)
	v_rcp_f32_e32 v8, v6
	v_rcp_f32_e32 v9, v7
	v_div_scale_f32 v11, s4, v5, v4, v5
	s_waitcnt_depctr 0xfff
	v_fma_f32 v1, -v6, v8, 1.0
	v_fma_f32 v2, -v7, v9, 1.0
	s_delay_alu instid0(VALU_DEP_2) | instskip(NEXT) | instid1(VALU_DEP_1)
	v_fmac_f32_e32 v8, v1, v8
	v_mul_f32_e32 v12, v10, v8
	s_delay_alu instid0(VALU_DEP_3) | instskip(SKIP_1) | instid1(VALU_DEP_3)
	v_fmac_f32_e32 v9, v2, v9
	v_mad_u64_u32 v[1:2], null, v0, s45, v[92:93]
	v_fma_f32 v0, -v6, v12, v10
	s_delay_alu instid0(VALU_DEP_1) | instskip(NEXT) | instid1(VALU_DEP_3)
	v_dual_fmac_f32 v12, v0, v8 :: v_dual_mul_f32 v13, v11, v9
	v_lshl_add_u32 v0, v1, 5, v64
	s_delay_alu instid0(VALU_DEP_2) | instskip(NEXT) | instid1(VALU_DEP_2)
	v_fma_f32 v2, -v7, v13, v11
	v_ashrrev_i32_e32 v1, 31, v0
	s_delay_alu instid0(VALU_DEP_2) | instskip(SKIP_1) | instid1(VALU_DEP_3)
	v_fmac_f32_e32 v13, v2, v9
	v_fma_f32 v2, -v6, v12, v10
	v_lshlrev_b64 v[0:1], 3, v[0:1]
	s_delay_alu instid0(VALU_DEP_3) | instskip(NEXT) | instid1(VALU_DEP_3)
	v_fma_f32 v6, -v7, v13, v11
	v_div_fmas_f32 v2, v2, v8, v12
	s_mov_b32 vcc_lo, s4
	s_delay_alu instid0(VALU_DEP_2) | instskip(NEXT) | instid1(VALU_DEP_2)
	v_div_fmas_f32 v6, v6, v9, v13
	v_div_fixup_f32 v2, v2, v4, v3
	s_delay_alu instid0(VALU_DEP_2)
	v_div_fixup_f32 v3, v6, v4, v5
	v_add_co_u32 v4, vcc_lo, s71, v0
	v_add_co_ci_u32_e32 v5, vcc_lo, s96, v1, vcc_lo
	v_mov_b32_e32 v1, 0
	global_store_b64 v[4:5], v[2:3], off
.LBB0_202:                              ;   in Loop: Header=BB0_12 Depth=1
	s_or_b32 exec_lo, exec_lo, s6
	s_mov_b32 s4, -1
	s_mov_b32 s6, exec_lo
	v_cmpx_gt_i32_e32 0x47, v1
; %bb.203:                              ;   in Loop: Header=BB0_12 Depth=1
	v_cmp_eq_u32_e32 vcc_lo, 0, v1
	s_or_not1_b32 s4, vcc_lo, exec_lo
; %bb.204:                              ;   in Loop: Header=BB0_12 Depth=1
	s_or_b32 exec_lo, exec_lo, s6
	s_delay_alu instid0(SALU_CYCLE_1)
	s_and_b32 exec_lo, exec_lo, s4
	s_cbranch_execz .LBB0_10
; %bb.205:                              ;   in Loop: Header=BB0_12 Depth=1
	v_add_nc_u32_e32 v0, s101, v218
	v_or_b32_e32 v1, s53, v84
	s_delay_alu instid0(VALU_DEP_1) | instskip(SKIP_1) | instid1(VALU_DEP_4)
	v_cmp_gt_i32_e64 s4, s14, v1
	v_mov_b32_e32 v1, 0x47
	v_cmp_gt_i32_e32 vcc_lo, s44, v0
	s_delay_alu instid0(VALU_DEP_3) | instskip(NEXT) | instid1(SALU_CYCLE_1)
	s_and_b32 s4, vcc_lo, s4
	s_and_saveexec_b32 s6, s4
	s_cbranch_execz .LBB0_207
; %bb.206:                              ;   in Loop: Header=BB0_12 Depth=1
	v_add_nc_u32_e32 v5, 0, v163
	ds_load_2addr_stride64_b32 v[1:2], v164 offset1:9
	ds_load_2addr_b32 v[3:4], v5 offset0:32 offset1:33
	ds_load_b32 v5, v5 offset:2432
	s_waitcnt lgkmcnt(1)
	v_fma_mix_f32 v6, v3, v1, 0 op_sel_hi:[0,1,0]
	v_fma_mix_f32 v1, v3, v1, 0 op_sel:[0,1,0] op_sel_hi:[0,1,0]
	s_waitcnt lgkmcnt(0)
	s_delay_alu instid0(VALU_DEP_2) | instskip(NEXT) | instid1(VALU_DEP_2)
	v_fma_mix_f32 v3, v5, v2, v6 op_sel_hi:[0,1,0]
	v_fma_mix_f32 v5, v5, v2, v1 op_sel:[0,1,0] op_sel_hi:[0,1,0]
	s_delay_alu instid0(VALU_DEP_2) | instskip(NEXT) | instid1(VALU_DEP_2)
	v_div_scale_f32 v6, null, v4, v4, v3
	v_div_scale_f32 v7, null, v4, v4, v5
	v_div_scale_f32 v10, vcc_lo, v3, v4, v3
	s_delay_alu instid0(VALU_DEP_3) | instskip(NEXT) | instid1(VALU_DEP_2)
	v_rcp_f32_e32 v8, v6
	v_rcp_f32_e32 v9, v7
	v_div_scale_f32 v11, s4, v5, v4, v5
	s_waitcnt_depctr 0xfff
	v_fma_f32 v1, -v6, v8, 1.0
	v_fma_f32 v2, -v7, v9, 1.0
	s_delay_alu instid0(VALU_DEP_2) | instskip(NEXT) | instid1(VALU_DEP_1)
	v_fmac_f32_e32 v8, v1, v8
	v_mul_f32_e32 v12, v10, v8
	s_delay_alu instid0(VALU_DEP_3) | instskip(SKIP_1) | instid1(VALU_DEP_3)
	v_fmac_f32_e32 v9, v2, v9
	v_mad_u64_u32 v[1:2], null, v0, s45, v[84:85]
	v_fma_f32 v0, -v6, v12, v10
	s_delay_alu instid0(VALU_DEP_1) | instskip(NEXT) | instid1(VALU_DEP_3)
	v_dual_fmac_f32 v12, v0, v8 :: v_dual_mul_f32 v13, v11, v9
	v_lshl_add_u32 v0, v1, 5, v64
	s_delay_alu instid0(VALU_DEP_2) | instskip(NEXT) | instid1(VALU_DEP_2)
	v_fma_f32 v2, -v7, v13, v11
	v_ashrrev_i32_e32 v1, 31, v0
	s_delay_alu instid0(VALU_DEP_2) | instskip(SKIP_1) | instid1(VALU_DEP_3)
	v_fmac_f32_e32 v13, v2, v9
	v_fma_f32 v2, -v6, v12, v10
	v_lshlrev_b64 v[0:1], 3, v[0:1]
	s_delay_alu instid0(VALU_DEP_3) | instskip(NEXT) | instid1(VALU_DEP_3)
	v_fma_f32 v6, -v7, v13, v11
	v_div_fmas_f32 v2, v2, v8, v12
	s_mov_b32 vcc_lo, s4
	s_delay_alu instid0(VALU_DEP_2) | instskip(NEXT) | instid1(VALU_DEP_2)
	v_div_fmas_f32 v6, v6, v9, v13
	v_div_fixup_f32 v2, v2, v4, v3
	s_delay_alu instid0(VALU_DEP_2)
	v_div_fixup_f32 v3, v6, v4, v5
	v_add_co_u32 v4, vcc_lo, s71, v0
	v_add_co_ci_u32_e32 v5, vcc_lo, s96, v1, vcc_lo
	v_mov_b32_e32 v1, 0
	global_store_b64 v[4:5], v[2:3], off
.LBB0_207:                              ;   in Loop: Header=BB0_12 Depth=1
	s_or_b32 exec_lo, exec_lo, s6
	s_mov_b32 s4, -1
	s_mov_b32 s6, exec_lo
	v_cmpx_gt_i32_e32 0x47, v1
; %bb.208:                              ;   in Loop: Header=BB0_12 Depth=1
	v_cmp_eq_u32_e32 vcc_lo, 0, v1
	s_or_not1_b32 s4, vcc_lo, exec_lo
; %bb.209:                              ;   in Loop: Header=BB0_12 Depth=1
	s_or_b32 exec_lo, exec_lo, s6
	s_delay_alu instid0(SALU_CYCLE_1)
	s_and_b32 exec_lo, exec_lo, s4
	s_cbranch_execz .LBB0_10
; %bb.210:                              ;   in Loop: Header=BB0_12 Depth=1
	v_dual_mov_b32 v1, 0x47 :: v_dual_add_nc_u32 v0, s101, v165
	s_delay_alu instid0(VALU_DEP_1) | instskip(SKIP_1) | instid1(SALU_CYCLE_1)
	v_cmp_gt_i32_e32 vcc_lo, s44, v0
	s_and_b32 s4, vcc_lo, s3
	s_and_saveexec_b32 s6, s4
	s_cbranch_execz .LBB0_212
; %bb.211:                              ;   in Loop: Header=BB0_12 Depth=1
	v_add_nc_u32_e32 v5, 0, v166
	ds_load_2addr_stride64_b32 v[1:2], v167 offset1:9
	ds_load_2addr_b32 v[3:4], v5 offset0:32 offset1:33
	ds_load_b32 v5, v5 offset:2432
	s_waitcnt lgkmcnt(1)
	v_fma_mix_f32 v6, v3, v1, 0 op_sel_hi:[0,1,0]
	v_fma_mix_f32 v1, v3, v1, 0 op_sel:[0,1,0] op_sel_hi:[0,1,0]
	s_waitcnt lgkmcnt(0)
	s_delay_alu instid0(VALU_DEP_2) | instskip(NEXT) | instid1(VALU_DEP_2)
	v_fma_mix_f32 v3, v5, v2, v6 op_sel_hi:[0,1,0]
	v_fma_mix_f32 v5, v5, v2, v1 op_sel:[0,1,0] op_sel_hi:[0,1,0]
	s_delay_alu instid0(VALU_DEP_2) | instskip(NEXT) | instid1(VALU_DEP_2)
	v_div_scale_f32 v6, null, v4, v4, v3
	v_div_scale_f32 v7, null, v4, v4, v5
	v_div_scale_f32 v10, vcc_lo, v3, v4, v3
	s_delay_alu instid0(VALU_DEP_3) | instskip(NEXT) | instid1(VALU_DEP_2)
	v_rcp_f32_e32 v8, v6
	v_rcp_f32_e32 v9, v7
	v_div_scale_f32 v11, s4, v5, v4, v5
	s_waitcnt_depctr 0xfff
	v_fma_f32 v1, -v6, v8, 1.0
	v_fma_f32 v2, -v7, v9, 1.0
	s_delay_alu instid0(VALU_DEP_2) | instskip(NEXT) | instid1(VALU_DEP_1)
	v_fmac_f32_e32 v8, v1, v8
	v_mul_f32_e32 v12, v10, v8
	s_delay_alu instid0(VALU_DEP_3) | instskip(SKIP_1) | instid1(VALU_DEP_3)
	v_fmac_f32_e32 v9, v2, v9
	v_mad_u64_u32 v[1:2], null, v0, s45, v[92:93]
	v_fma_f32 v0, -v6, v12, v10
	s_delay_alu instid0(VALU_DEP_1) | instskip(NEXT) | instid1(VALU_DEP_3)
	v_dual_fmac_f32 v12, v0, v8 :: v_dual_mul_f32 v13, v11, v9
	v_lshl_add_u32 v0, v1, 5, v64
	s_delay_alu instid0(VALU_DEP_2) | instskip(NEXT) | instid1(VALU_DEP_2)
	v_fma_f32 v2, -v7, v13, v11
	v_ashrrev_i32_e32 v1, 31, v0
	s_delay_alu instid0(VALU_DEP_2) | instskip(SKIP_1) | instid1(VALU_DEP_3)
	v_fmac_f32_e32 v13, v2, v9
	v_fma_f32 v2, -v6, v12, v10
	v_lshlrev_b64 v[0:1], 3, v[0:1]
	s_delay_alu instid0(VALU_DEP_3) | instskip(NEXT) | instid1(VALU_DEP_3)
	v_fma_f32 v6, -v7, v13, v11
	v_div_fmas_f32 v2, v2, v8, v12
	s_mov_b32 vcc_lo, s4
	s_delay_alu instid0(VALU_DEP_2) | instskip(NEXT) | instid1(VALU_DEP_2)
	v_div_fmas_f32 v6, v6, v9, v13
	v_div_fixup_f32 v2, v2, v4, v3
	s_delay_alu instid0(VALU_DEP_2)
	v_div_fixup_f32 v3, v6, v4, v5
	v_add_co_u32 v4, vcc_lo, s71, v0
	v_add_co_ci_u32_e32 v5, vcc_lo, s96, v1, vcc_lo
	v_mov_b32_e32 v1, 0
	global_store_b64 v[4:5], v[2:3], off
.LBB0_212:                              ;   in Loop: Header=BB0_12 Depth=1
	s_or_b32 exec_lo, exec_lo, s6
	s_mov_b32 s4, -1
	s_mov_b32 s6, exec_lo
	v_cmpx_gt_i32_e32 0x47, v1
; %bb.213:                              ;   in Loop: Header=BB0_12 Depth=1
	v_cmp_eq_u32_e32 vcc_lo, 0, v1
	s_or_not1_b32 s4, vcc_lo, exec_lo
; %bb.214:                              ;   in Loop: Header=BB0_12 Depth=1
	s_or_b32 exec_lo, exec_lo, s6
	s_delay_alu instid0(SALU_CYCLE_1)
	s_and_b32 exec_lo, exec_lo, s4
	s_cbranch_execz .LBB0_10
; %bb.215:                              ;   in Loop: Header=BB0_12 Depth=1
	v_add_nc_u32_e32 v0, s101, v219
	v_or_b32_e32 v1, s53, v85
	s_delay_alu instid0(VALU_DEP_1) | instskip(SKIP_1) | instid1(VALU_DEP_4)
	v_cmp_gt_i32_e64 s4, s14, v1
	v_mov_b32_e32 v1, 0x47
	v_cmp_gt_i32_e32 vcc_lo, s44, v0
	s_delay_alu instid0(VALU_DEP_3) | instskip(NEXT) | instid1(SALU_CYCLE_1)
	s_and_b32 s4, vcc_lo, s4
	s_and_saveexec_b32 s6, s4
	s_cbranch_execz .LBB0_217
; %bb.216:                              ;   in Loop: Header=BB0_12 Depth=1
	v_add_nc_u32_e32 v5, 0, v168
	ds_load_2addr_stride64_b32 v[1:2], v169 offset1:9
	ds_load_2addr_b32 v[3:4], v5 offset0:32 offset1:33
	ds_load_b32 v5, v5 offset:2432
	s_waitcnt lgkmcnt(1)
	v_fma_mix_f32 v6, v3, v1, 0 op_sel_hi:[0,1,0]
	v_fma_mix_f32 v1, v3, v1, 0 op_sel:[0,1,0] op_sel_hi:[0,1,0]
	s_waitcnt lgkmcnt(0)
	s_delay_alu instid0(VALU_DEP_2) | instskip(NEXT) | instid1(VALU_DEP_2)
	v_fma_mix_f32 v3, v5, v2, v6 op_sel_hi:[0,1,0]
	v_fma_mix_f32 v5, v5, v2, v1 op_sel:[0,1,0] op_sel_hi:[0,1,0]
	s_delay_alu instid0(VALU_DEP_2) | instskip(NEXT) | instid1(VALU_DEP_2)
	v_div_scale_f32 v6, null, v4, v4, v3
	v_div_scale_f32 v7, null, v4, v4, v5
	v_div_scale_f32 v10, vcc_lo, v3, v4, v3
	s_delay_alu instid0(VALU_DEP_3) | instskip(NEXT) | instid1(VALU_DEP_2)
	v_rcp_f32_e32 v8, v6
	v_rcp_f32_e32 v9, v7
	v_div_scale_f32 v11, s4, v5, v4, v5
	s_waitcnt_depctr 0xfff
	v_fma_f32 v1, -v6, v8, 1.0
	v_fma_f32 v2, -v7, v9, 1.0
	s_delay_alu instid0(VALU_DEP_1) | instskip(SKIP_1) | instid1(VALU_DEP_2)
	v_dual_fmac_f32 v8, v1, v8 :: v_dual_fmac_f32 v9, v2, v9
	v_mad_u64_u32 v[1:2], null, v0, s45, v[85:86]
	v_dual_mul_f32 v12, v10, v8 :: v_dual_mul_f32 v13, v11, v9
	s_delay_alu instid0(VALU_DEP_1) | instskip(NEXT) | instid1(VALU_DEP_2)
	v_fma_f32 v0, -v6, v12, v10
	v_fma_f32 v2, -v7, v13, v11
	s_delay_alu instid0(VALU_DEP_1) | instskip(SKIP_1) | instid1(VALU_DEP_2)
	v_dual_fmac_f32 v12, v0, v8 :: v_dual_fmac_f32 v13, v2, v9
	v_lshl_add_u32 v0, v1, 5, v64
	v_fma_f32 v2, -v6, v12, v10
	s_delay_alu instid0(VALU_DEP_3) | instskip(NEXT) | instid1(VALU_DEP_3)
	v_fma_f32 v6, -v7, v13, v11
	v_ashrrev_i32_e32 v1, 31, v0
	s_delay_alu instid0(VALU_DEP_3) | instskip(SKIP_1) | instid1(VALU_DEP_2)
	v_div_fmas_f32 v2, v2, v8, v12
	s_mov_b32 vcc_lo, s4
	v_lshlrev_b64 v[0:1], 3, v[0:1]
	v_div_fmas_f32 v6, v6, v9, v13
	s_delay_alu instid0(VALU_DEP_3) | instskip(NEXT) | instid1(VALU_DEP_2)
	v_div_fixup_f32 v2, v2, v4, v3
	v_div_fixup_f32 v3, v6, v4, v5
	s_delay_alu instid0(VALU_DEP_4)
	v_add_co_u32 v4, vcc_lo, s71, v0
	v_add_co_ci_u32_e32 v5, vcc_lo, s96, v1, vcc_lo
	v_mov_b32_e32 v1, 0
	global_store_b64 v[4:5], v[2:3], off
.LBB0_217:                              ;   in Loop: Header=BB0_12 Depth=1
	s_or_b32 exec_lo, exec_lo, s6
	s_mov_b32 s4, -1
	s_mov_b32 s6, exec_lo
	v_cmpx_gt_i32_e32 0x47, v1
; %bb.218:                              ;   in Loop: Header=BB0_12 Depth=1
	v_cmp_eq_u32_e32 vcc_lo, 0, v1
	s_or_not1_b32 s4, vcc_lo, exec_lo
; %bb.219:                              ;   in Loop: Header=BB0_12 Depth=1
	s_or_b32 exec_lo, exec_lo, s6
	s_delay_alu instid0(SALU_CYCLE_1)
	s_and_b32 exec_lo, exec_lo, s4
	s_cbranch_execz .LBB0_10
; %bb.220:                              ;   in Loop: Header=BB0_12 Depth=1
	v_dual_mov_b32 v1, 0x47 :: v_dual_add_nc_u32 v0, s101, v170
	s_delay_alu instid0(VALU_DEP_1) | instskip(SKIP_1) | instid1(SALU_CYCLE_1)
	v_cmp_gt_i32_e32 vcc_lo, s44, v0
	s_and_b32 s4, vcc_lo, s3
	s_and_saveexec_b32 s6, s4
	s_cbranch_execz .LBB0_222
; %bb.221:                              ;   in Loop: Header=BB0_12 Depth=1
	scratch_load_b32 v1, off, off           ; 4-byte Folded Reload
	s_waitcnt vmcnt(0)
	v_add_nc_u32_e32 v5, 0, v1
	scratch_load_b32 v1, off, off offset:4  ; 4-byte Folded Reload
	s_waitcnt vmcnt(0)
	ds_load_2addr_stride64_b32 v[1:2], v1 offset1:9
	ds_load_2addr_b32 v[3:4], v5 offset0:32 offset1:33
	ds_load_b32 v5, v5 offset:2432
	s_waitcnt lgkmcnt(1)
	v_fma_mix_f32 v6, v3, v1, 0 op_sel_hi:[0,1,0]
	v_fma_mix_f32 v1, v3, v1, 0 op_sel:[0,1,0] op_sel_hi:[0,1,0]
	s_waitcnt lgkmcnt(0)
	s_delay_alu instid0(VALU_DEP_2) | instskip(NEXT) | instid1(VALU_DEP_2)
	v_fma_mix_f32 v3, v5, v2, v6 op_sel_hi:[0,1,0]
	v_fma_mix_f32 v5, v5, v2, v1 op_sel:[0,1,0] op_sel_hi:[0,1,0]
	s_delay_alu instid0(VALU_DEP_2) | instskip(NEXT) | instid1(VALU_DEP_2)
	v_div_scale_f32 v6, null, v4, v4, v3
	v_div_scale_f32 v7, null, v4, v4, v5
	v_div_scale_f32 v10, vcc_lo, v3, v4, v3
	s_delay_alu instid0(VALU_DEP_3) | instskip(NEXT) | instid1(VALU_DEP_2)
	v_rcp_f32_e32 v8, v6
	v_rcp_f32_e32 v9, v7
	v_div_scale_f32 v11, s4, v5, v4, v5
	s_waitcnt_depctr 0xfff
	v_fma_f32 v1, -v6, v8, 1.0
	v_fma_f32 v2, -v7, v9, 1.0
	s_delay_alu instid0(VALU_DEP_2) | instskip(NEXT) | instid1(VALU_DEP_1)
	v_fmac_f32_e32 v8, v1, v8
	v_mul_f32_e32 v12, v10, v8
	s_delay_alu instid0(VALU_DEP_3) | instskip(SKIP_1) | instid1(VALU_DEP_3)
	v_fmac_f32_e32 v9, v2, v9
	v_mad_u64_u32 v[1:2], null, v0, s45, v[92:93]
	v_fma_f32 v0, -v6, v12, v10
	s_delay_alu instid0(VALU_DEP_1) | instskip(NEXT) | instid1(VALU_DEP_3)
	v_dual_fmac_f32 v12, v0, v8 :: v_dual_mul_f32 v13, v11, v9
	v_lshl_add_u32 v0, v1, 5, v64
	s_delay_alu instid0(VALU_DEP_2) | instskip(NEXT) | instid1(VALU_DEP_2)
	v_fma_f32 v2, -v7, v13, v11
	v_ashrrev_i32_e32 v1, 31, v0
	s_delay_alu instid0(VALU_DEP_2) | instskip(SKIP_1) | instid1(VALU_DEP_3)
	v_fmac_f32_e32 v13, v2, v9
	v_fma_f32 v2, -v6, v12, v10
	v_lshlrev_b64 v[0:1], 3, v[0:1]
	s_delay_alu instid0(VALU_DEP_3) | instskip(NEXT) | instid1(VALU_DEP_3)
	v_fma_f32 v6, -v7, v13, v11
	v_div_fmas_f32 v2, v2, v8, v12
	s_mov_b32 vcc_lo, s4
	s_delay_alu instid0(VALU_DEP_2) | instskip(NEXT) | instid1(VALU_DEP_2)
	v_div_fmas_f32 v6, v6, v9, v13
	v_div_fixup_f32 v2, v2, v4, v3
	s_delay_alu instid0(VALU_DEP_2)
	v_div_fixup_f32 v3, v6, v4, v5
	v_add_co_u32 v4, vcc_lo, s71, v0
	v_add_co_ci_u32_e32 v5, vcc_lo, s96, v1, vcc_lo
	v_mov_b32_e32 v1, 0
	global_store_b64 v[4:5], v[2:3], off
.LBB0_222:                              ;   in Loop: Header=BB0_12 Depth=1
	s_or_b32 exec_lo, exec_lo, s6
	s_mov_b32 s4, -1
	s_mov_b32 s6, exec_lo
	v_cmpx_gt_i32_e32 0x47, v1
; %bb.223:                              ;   in Loop: Header=BB0_12 Depth=1
	v_cmp_eq_u32_e32 vcc_lo, 0, v1
	s_or_not1_b32 s4, vcc_lo, exec_lo
; %bb.224:                              ;   in Loop: Header=BB0_12 Depth=1
	s_or_b32 exec_lo, exec_lo, s6
	s_delay_alu instid0(SALU_CYCLE_1)
	s_and_b32 exec_lo, exec_lo, s4
	s_cbranch_execz .LBB0_10
; %bb.225:                              ;   in Loop: Header=BB0_12 Depth=1
	scratch_load_b32 v0, off, off offset:8  ; 4-byte Folded Reload
	v_or_b32_e32 v1, s53, v86
	s_delay_alu instid0(VALU_DEP_1) | instskip(SKIP_2) | instid1(VALU_DEP_1)
	v_cmp_gt_i32_e64 s4, s14, v1
	s_waitcnt vmcnt(0)
	v_dual_mov_b32 v1, 0x47 :: v_dual_add_nc_u32 v0, s101, v0
	v_cmp_gt_i32_e32 vcc_lo, s44, v0
	s_delay_alu instid0(VALU_DEP_3) | instskip(NEXT) | instid1(SALU_CYCLE_1)
	s_and_b32 s4, vcc_lo, s4
	s_and_saveexec_b32 s6, s4
	s_cbranch_execz .LBB0_227
; %bb.226:                              ;   in Loop: Header=BB0_12 Depth=1
	scratch_load_b32 v1, off, off offset:12 ; 4-byte Folded Reload
	s_waitcnt vmcnt(0)
	v_add_nc_u32_e32 v5, 0, v1
	scratch_load_b32 v1, off, off offset:16 ; 4-byte Folded Reload
	s_waitcnt vmcnt(0)
	ds_load_2addr_stride64_b32 v[1:2], v1 offset1:9
	ds_load_2addr_b32 v[3:4], v5 offset0:32 offset1:33
	ds_load_b32 v5, v5 offset:2432
	s_waitcnt lgkmcnt(1)
	v_fma_mix_f32 v6, v3, v1, 0 op_sel_hi:[0,1,0]
	v_fma_mix_f32 v1, v3, v1, 0 op_sel:[0,1,0] op_sel_hi:[0,1,0]
	s_waitcnt lgkmcnt(0)
	s_delay_alu instid0(VALU_DEP_2) | instskip(NEXT) | instid1(VALU_DEP_2)
	v_fma_mix_f32 v3, v5, v2, v6 op_sel_hi:[0,1,0]
	v_fma_mix_f32 v5, v5, v2, v1 op_sel:[0,1,0] op_sel_hi:[0,1,0]
	s_delay_alu instid0(VALU_DEP_2) | instskip(NEXT) | instid1(VALU_DEP_2)
	v_div_scale_f32 v6, null, v4, v4, v3
	v_div_scale_f32 v7, null, v4, v4, v5
	v_div_scale_f32 v10, vcc_lo, v3, v4, v3
	s_delay_alu instid0(VALU_DEP_3) | instskip(NEXT) | instid1(VALU_DEP_2)
	v_rcp_f32_e32 v8, v6
	v_rcp_f32_e32 v9, v7
	v_div_scale_f32 v11, s4, v5, v4, v5
	s_waitcnt_depctr 0xfff
	v_fma_f32 v1, -v6, v8, 1.0
	v_fma_f32 v2, -v7, v9, 1.0
	s_delay_alu instid0(VALU_DEP_2) | instskip(NEXT) | instid1(VALU_DEP_1)
	v_fmac_f32_e32 v8, v1, v8
	v_mul_f32_e32 v12, v10, v8
	s_delay_alu instid0(VALU_DEP_3) | instskip(SKIP_1) | instid1(VALU_DEP_3)
	v_fmac_f32_e32 v9, v2, v9
	v_mad_u64_u32 v[1:2], null, v0, s45, v[86:87]
	v_fma_f32 v0, -v6, v12, v10
	s_delay_alu instid0(VALU_DEP_1) | instskip(NEXT) | instid1(VALU_DEP_3)
	v_dual_fmac_f32 v12, v0, v8 :: v_dual_mul_f32 v13, v11, v9
	v_lshl_add_u32 v0, v1, 5, v64
	s_delay_alu instid0(VALU_DEP_2) | instskip(NEXT) | instid1(VALU_DEP_2)
	v_fma_f32 v2, -v7, v13, v11
	v_ashrrev_i32_e32 v1, 31, v0
	s_delay_alu instid0(VALU_DEP_2) | instskip(SKIP_1) | instid1(VALU_DEP_3)
	v_fmac_f32_e32 v13, v2, v9
	v_fma_f32 v2, -v6, v12, v10
	v_lshlrev_b64 v[0:1], 3, v[0:1]
	s_delay_alu instid0(VALU_DEP_3) | instskip(NEXT) | instid1(VALU_DEP_3)
	v_fma_f32 v6, -v7, v13, v11
	v_div_fmas_f32 v2, v2, v8, v12
	s_mov_b32 vcc_lo, s4
	s_delay_alu instid0(VALU_DEP_2) | instskip(NEXT) | instid1(VALU_DEP_2)
	v_div_fmas_f32 v6, v6, v9, v13
	v_div_fixup_f32 v2, v2, v4, v3
	s_delay_alu instid0(VALU_DEP_2)
	v_div_fixup_f32 v3, v6, v4, v5
	v_add_co_u32 v4, vcc_lo, s71, v0
	v_add_co_ci_u32_e32 v5, vcc_lo, s96, v1, vcc_lo
	v_mov_b32_e32 v1, 0
	global_store_b64 v[4:5], v[2:3], off
.LBB0_227:                              ;   in Loop: Header=BB0_12 Depth=1
	s_or_b32 exec_lo, exec_lo, s6
	s_mov_b32 s4, -1
	s_mov_b32 s6, exec_lo
	v_cmpx_gt_i32_e32 0x47, v1
; %bb.228:                              ;   in Loop: Header=BB0_12 Depth=1
	v_cmp_eq_u32_e32 vcc_lo, 0, v1
	s_or_not1_b32 s4, vcc_lo, exec_lo
; %bb.229:                              ;   in Loop: Header=BB0_12 Depth=1
	s_or_b32 exec_lo, exec_lo, s6
	s_delay_alu instid0(SALU_CYCLE_1)
	s_and_b32 exec_lo, exec_lo, s4
	s_cbranch_execz .LBB0_10
; %bb.230:                              ;   in Loop: Header=BB0_12 Depth=1
	scratch_load_b32 v0, off, off offset:20 ; 4-byte Folded Reload
	s_waitcnt vmcnt(0)
	v_dual_mov_b32 v1, 0x47 :: v_dual_add_nc_u32 v0, s101, v0
	s_delay_alu instid0(VALU_DEP_1) | instskip(SKIP_1) | instid1(SALU_CYCLE_1)
	v_cmp_gt_i32_e32 vcc_lo, s44, v0
	s_and_b32 s4, vcc_lo, s3
	s_and_saveexec_b32 s6, s4
	s_cbranch_execz .LBB0_232
; %bb.231:                              ;   in Loop: Header=BB0_12 Depth=1
	scratch_load_b32 v1, off, off offset:32 ; 4-byte Folded Reload
	s_waitcnt vmcnt(0)
	v_add_nc_u32_e32 v5, 0, v1
	scratch_load_b32 v1, off, off offset:36 ; 4-byte Folded Reload
	s_waitcnt vmcnt(0)
	ds_load_2addr_stride64_b32 v[1:2], v1 offset1:9
	ds_load_2addr_b32 v[3:4], v5 offset0:32 offset1:33
	ds_load_b32 v5, v5 offset:2432
	s_waitcnt lgkmcnt(1)
	v_fma_mix_f32 v6, v3, v1, 0 op_sel_hi:[0,1,0]
	v_fma_mix_f32 v1, v3, v1, 0 op_sel:[0,1,0] op_sel_hi:[0,1,0]
	s_waitcnt lgkmcnt(0)
	s_delay_alu instid0(VALU_DEP_2) | instskip(NEXT) | instid1(VALU_DEP_2)
	v_fma_mix_f32 v3, v5, v2, v6 op_sel_hi:[0,1,0]
	v_fma_mix_f32 v5, v5, v2, v1 op_sel:[0,1,0] op_sel_hi:[0,1,0]
	s_delay_alu instid0(VALU_DEP_2) | instskip(NEXT) | instid1(VALU_DEP_2)
	v_div_scale_f32 v6, null, v4, v4, v3
	v_div_scale_f32 v7, null, v4, v4, v5
	v_div_scale_f32 v10, vcc_lo, v3, v4, v3
	s_delay_alu instid0(VALU_DEP_3) | instskip(NEXT) | instid1(VALU_DEP_2)
	v_rcp_f32_e32 v8, v6
	v_rcp_f32_e32 v9, v7
	v_div_scale_f32 v11, s4, v5, v4, v5
	s_waitcnt_depctr 0xfff
	v_fma_f32 v1, -v6, v8, 1.0
	v_fma_f32 v2, -v7, v9, 1.0
	s_delay_alu instid0(VALU_DEP_2) | instskip(NEXT) | instid1(VALU_DEP_1)
	v_fmac_f32_e32 v8, v1, v8
	v_mul_f32_e32 v12, v10, v8
	s_delay_alu instid0(VALU_DEP_3) | instskip(SKIP_1) | instid1(VALU_DEP_3)
	v_fmac_f32_e32 v9, v2, v9
	v_mad_u64_u32 v[1:2], null, v0, s45, v[92:93]
	v_fma_f32 v0, -v6, v12, v10
	s_delay_alu instid0(VALU_DEP_1) | instskip(NEXT) | instid1(VALU_DEP_3)
	v_dual_fmac_f32 v12, v0, v8 :: v_dual_mul_f32 v13, v11, v9
	v_lshl_add_u32 v0, v1, 5, v64
	s_delay_alu instid0(VALU_DEP_2) | instskip(NEXT) | instid1(VALU_DEP_2)
	v_fma_f32 v2, -v7, v13, v11
	v_ashrrev_i32_e32 v1, 31, v0
	s_delay_alu instid0(VALU_DEP_2) | instskip(SKIP_1) | instid1(VALU_DEP_3)
	v_fmac_f32_e32 v13, v2, v9
	v_fma_f32 v2, -v6, v12, v10
	v_lshlrev_b64 v[0:1], 3, v[0:1]
	s_delay_alu instid0(VALU_DEP_3) | instskip(NEXT) | instid1(VALU_DEP_3)
	v_fma_f32 v6, -v7, v13, v11
	v_div_fmas_f32 v2, v2, v8, v12
	s_mov_b32 vcc_lo, s4
	s_delay_alu instid0(VALU_DEP_2) | instskip(NEXT) | instid1(VALU_DEP_2)
	v_div_fmas_f32 v6, v6, v9, v13
	v_div_fixup_f32 v2, v2, v4, v3
	s_delay_alu instid0(VALU_DEP_2)
	v_div_fixup_f32 v3, v6, v4, v5
	v_add_co_u32 v4, vcc_lo, s71, v0
	v_add_co_ci_u32_e32 v5, vcc_lo, s96, v1, vcc_lo
	v_mov_b32_e32 v1, 0
	global_store_b64 v[4:5], v[2:3], off
.LBB0_232:                              ;   in Loop: Header=BB0_12 Depth=1
	s_or_b32 exec_lo, exec_lo, s6
	s_mov_b32 s4, -1
	s_mov_b32 s6, exec_lo
	v_cmpx_gt_i32_e32 0x47, v1
; %bb.233:                              ;   in Loop: Header=BB0_12 Depth=1
	v_cmp_eq_u32_e32 vcc_lo, 0, v1
	s_or_not1_b32 s4, vcc_lo, exec_lo
; %bb.234:                              ;   in Loop: Header=BB0_12 Depth=1
	s_or_b32 exec_lo, exec_lo, s6
	s_delay_alu instid0(SALU_CYCLE_1)
	s_and_b32 exec_lo, exec_lo, s4
	s_cbranch_execz .LBB0_10
; %bb.235:                              ;   in Loop: Header=BB0_12 Depth=1
	s_clause 0x1
	scratch_load_b32 v0, off, off offset:40
	scratch_load_b64 v[1:2], off, off offset:24
	s_waitcnt vmcnt(1)
	v_add_nc_u32_e32 v0, s101, v0
	s_waitcnt vmcnt(0)
	v_or_b32_e32 v1, s53, v1
	s_delay_alu instid0(VALU_DEP_1) | instskip(SKIP_2) | instid1(VALU_DEP_3)
	v_cmp_gt_i32_e64 s4, s14, v1
	v_mov_b32_e32 v1, 0x47
	v_cmp_gt_i32_e32 vcc_lo, s44, v0
	s_and_b32 s4, vcc_lo, s4
	s_delay_alu instid0(SALU_CYCLE_1)
	s_and_saveexec_b32 s6, s4
	s_cbranch_execz .LBB0_237
; %bb.236:                              ;   in Loop: Header=BB0_12 Depth=1
	scratch_load_b32 v1, off, off offset:44 ; 4-byte Folded Reload
	s_waitcnt vmcnt(0)
	v_add_nc_u32_e32 v5, 0, v1
	scratch_load_b32 v1, off, off offset:48 ; 4-byte Folded Reload
	s_waitcnt vmcnt(0)
	ds_load_2addr_stride64_b32 v[1:2], v1 offset1:9
	ds_load_2addr_b32 v[3:4], v5 offset0:32 offset1:33
	ds_load_b32 v5, v5 offset:2432
	scratch_load_b64 v[14:15], off, off offset:24 ; 8-byte Folded Reload
	s_waitcnt lgkmcnt(1)
	v_fma_mix_f32 v6, v3, v1, 0 op_sel_hi:[0,1,0]
	v_fma_mix_f32 v1, v3, v1, 0 op_sel:[0,1,0] op_sel_hi:[0,1,0]
	s_waitcnt lgkmcnt(0)
	s_delay_alu instid0(VALU_DEP_2) | instskip(NEXT) | instid1(VALU_DEP_2)
	v_fma_mix_f32 v3, v5, v2, v6 op_sel_hi:[0,1,0]
	v_fma_mix_f32 v5, v5, v2, v1 op_sel:[0,1,0] op_sel_hi:[0,1,0]
	s_delay_alu instid0(VALU_DEP_2) | instskip(NEXT) | instid1(VALU_DEP_2)
	v_div_scale_f32 v6, null, v4, v4, v3
	v_div_scale_f32 v7, null, v4, v4, v5
	v_div_scale_f32 v10, vcc_lo, v3, v4, v3
	s_delay_alu instid0(VALU_DEP_3) | instskip(NEXT) | instid1(VALU_DEP_2)
	v_rcp_f32_e32 v8, v6
	v_rcp_f32_e32 v9, v7
	v_div_scale_f32 v11, s4, v5, v4, v5
	s_waitcnt_depctr 0xfff
	v_fma_f32 v1, -v6, v8, 1.0
	v_fma_f32 v2, -v7, v9, 1.0
	s_delay_alu instid0(VALU_DEP_2) | instskip(NEXT) | instid1(VALU_DEP_1)
	v_fmac_f32_e32 v8, v1, v8
	v_mul_f32_e32 v12, v10, v8
	s_delay_alu instid0(VALU_DEP_3) | instskip(SKIP_2) | instid1(VALU_DEP_3)
	v_fmac_f32_e32 v9, v2, v9
	s_waitcnt vmcnt(0)
	v_mad_u64_u32 v[1:2], null, v0, s45, v[14:15]
	v_fma_f32 v0, -v6, v12, v10
	s_delay_alu instid0(VALU_DEP_1) | instskip(NEXT) | instid1(VALU_DEP_3)
	v_dual_fmac_f32 v12, v0, v8 :: v_dual_mul_f32 v13, v11, v9
	v_lshl_add_u32 v0, v1, 5, v64
	s_delay_alu instid0(VALU_DEP_2) | instskip(NEXT) | instid1(VALU_DEP_2)
	v_fma_f32 v2, -v7, v13, v11
	v_ashrrev_i32_e32 v1, 31, v0
	s_delay_alu instid0(VALU_DEP_2) | instskip(SKIP_1) | instid1(VALU_DEP_3)
	v_fmac_f32_e32 v13, v2, v9
	v_fma_f32 v2, -v6, v12, v10
	v_lshlrev_b64 v[0:1], 3, v[0:1]
	s_delay_alu instid0(VALU_DEP_3) | instskip(NEXT) | instid1(VALU_DEP_3)
	v_fma_f32 v6, -v7, v13, v11
	v_div_fmas_f32 v2, v2, v8, v12
	s_mov_b32 vcc_lo, s4
	s_delay_alu instid0(VALU_DEP_2) | instskip(NEXT) | instid1(VALU_DEP_2)
	v_div_fmas_f32 v6, v6, v9, v13
	v_div_fixup_f32 v2, v2, v4, v3
	s_delay_alu instid0(VALU_DEP_2)
	v_div_fixup_f32 v3, v6, v4, v5
	v_add_co_u32 v4, vcc_lo, s71, v0
	v_add_co_ci_u32_e32 v5, vcc_lo, s96, v1, vcc_lo
	v_mov_b32_e32 v1, 0
	global_store_b64 v[4:5], v[2:3], off
.LBB0_237:                              ;   in Loop: Header=BB0_12 Depth=1
	s_or_b32 exec_lo, exec_lo, s6
	s_mov_b32 s4, -1
	s_mov_b32 s6, exec_lo
	v_cmpx_gt_i32_e32 0x47, v1
; %bb.238:                              ;   in Loop: Header=BB0_12 Depth=1
	v_cmp_eq_u32_e32 vcc_lo, 0, v1
	s_or_not1_b32 s4, vcc_lo, exec_lo
; %bb.239:                              ;   in Loop: Header=BB0_12 Depth=1
	s_or_b32 exec_lo, exec_lo, s6
	s_delay_alu instid0(SALU_CYCLE_1)
	s_and_b32 exec_lo, exec_lo, s4
	s_cbranch_execz .LBB0_10
; %bb.240:                              ;   in Loop: Header=BB0_12 Depth=1
	scratch_load_b32 v0, off, off offset:52 ; 4-byte Folded Reload
	s_waitcnt vmcnt(0)
	v_dual_mov_b32 v1, 0x47 :: v_dual_add_nc_u32 v0, s101, v0
	s_delay_alu instid0(VALU_DEP_1) | instskip(SKIP_1) | instid1(SALU_CYCLE_1)
	v_cmp_gt_i32_e32 vcc_lo, s44, v0
	s_and_b32 s4, vcc_lo, s3
	s_and_saveexec_b32 s6, s4
	s_cbranch_execz .LBB0_242
; %bb.241:                              ;   in Loop: Header=BB0_12 Depth=1
	scratch_load_b32 v1, off, off offset:64 ; 4-byte Folded Reload
	s_waitcnt vmcnt(0)
	v_add_nc_u32_e32 v5, 0, v1
	scratch_load_b32 v1, off, off offset:68 ; 4-byte Folded Reload
	s_waitcnt vmcnt(0)
	ds_load_2addr_stride64_b32 v[1:2], v1 offset1:9
	ds_load_2addr_b32 v[3:4], v5 offset0:32 offset1:33
	ds_load_b32 v5, v5 offset:2432
	s_waitcnt lgkmcnt(1)
	v_fma_mix_f32 v6, v3, v1, 0 op_sel_hi:[0,1,0]
	v_fma_mix_f32 v1, v3, v1, 0 op_sel:[0,1,0] op_sel_hi:[0,1,0]
	s_waitcnt lgkmcnt(0)
	s_delay_alu instid0(VALU_DEP_2) | instskip(NEXT) | instid1(VALU_DEP_2)
	v_fma_mix_f32 v3, v5, v2, v6 op_sel_hi:[0,1,0]
	v_fma_mix_f32 v5, v5, v2, v1 op_sel:[0,1,0] op_sel_hi:[0,1,0]
	s_delay_alu instid0(VALU_DEP_2) | instskip(NEXT) | instid1(VALU_DEP_2)
	v_div_scale_f32 v6, null, v4, v4, v3
	v_div_scale_f32 v7, null, v4, v4, v5
	v_div_scale_f32 v10, vcc_lo, v3, v4, v3
	s_delay_alu instid0(VALU_DEP_3) | instskip(NEXT) | instid1(VALU_DEP_2)
	v_rcp_f32_e32 v8, v6
	v_rcp_f32_e32 v9, v7
	v_div_scale_f32 v11, s4, v5, v4, v5
	s_waitcnt_depctr 0xfff
	v_fma_f32 v1, -v6, v8, 1.0
	v_fma_f32 v2, -v7, v9, 1.0
	s_delay_alu instid0(VALU_DEP_2) | instskip(NEXT) | instid1(VALU_DEP_1)
	v_fmac_f32_e32 v8, v1, v8
	v_mul_f32_e32 v12, v10, v8
	s_delay_alu instid0(VALU_DEP_3) | instskip(SKIP_1) | instid1(VALU_DEP_3)
	v_fmac_f32_e32 v9, v2, v9
	v_mad_u64_u32 v[1:2], null, v0, s45, v[92:93]
	v_fma_f32 v0, -v6, v12, v10
	s_delay_alu instid0(VALU_DEP_1) | instskip(NEXT) | instid1(VALU_DEP_3)
	v_dual_fmac_f32 v12, v0, v8 :: v_dual_mul_f32 v13, v11, v9
	v_lshl_add_u32 v0, v1, 5, v64
	s_delay_alu instid0(VALU_DEP_2) | instskip(NEXT) | instid1(VALU_DEP_2)
	v_fma_f32 v2, -v7, v13, v11
	v_ashrrev_i32_e32 v1, 31, v0
	s_delay_alu instid0(VALU_DEP_2) | instskip(SKIP_1) | instid1(VALU_DEP_3)
	v_fmac_f32_e32 v13, v2, v9
	v_fma_f32 v2, -v6, v12, v10
	v_lshlrev_b64 v[0:1], 3, v[0:1]
	s_delay_alu instid0(VALU_DEP_3) | instskip(NEXT) | instid1(VALU_DEP_3)
	v_fma_f32 v6, -v7, v13, v11
	v_div_fmas_f32 v2, v2, v8, v12
	s_mov_b32 vcc_lo, s4
	s_delay_alu instid0(VALU_DEP_2) | instskip(NEXT) | instid1(VALU_DEP_2)
	v_div_fmas_f32 v6, v6, v9, v13
	v_div_fixup_f32 v2, v2, v4, v3
	s_delay_alu instid0(VALU_DEP_2)
	v_div_fixup_f32 v3, v6, v4, v5
	v_add_co_u32 v4, vcc_lo, s71, v0
	v_add_co_ci_u32_e32 v5, vcc_lo, s96, v1, vcc_lo
	v_mov_b32_e32 v1, 0
	global_store_b64 v[4:5], v[2:3], off
.LBB0_242:                              ;   in Loop: Header=BB0_12 Depth=1
	s_or_b32 exec_lo, exec_lo, s6
	s_mov_b32 s4, -1
	s_mov_b32 s6, exec_lo
	v_cmpx_gt_i32_e32 0x47, v1
; %bb.243:                              ;   in Loop: Header=BB0_12 Depth=1
	v_cmp_eq_u32_e32 vcc_lo, 0, v1
	s_or_not1_b32 s4, vcc_lo, exec_lo
; %bb.244:                              ;   in Loop: Header=BB0_12 Depth=1
	s_or_b32 exec_lo, exec_lo, s6
	s_delay_alu instid0(SALU_CYCLE_1)
	s_and_b32 exec_lo, exec_lo, s4
	s_cbranch_execz .LBB0_10
; %bb.245:                              ;   in Loop: Header=BB0_12 Depth=1
	s_clause 0x1
	scratch_load_b32 v0, off, off offset:72
	scratch_load_b64 v[1:2], off, off offset:56
	s_waitcnt vmcnt(1)
	v_add_nc_u32_e32 v0, s101, v0
	s_waitcnt vmcnt(0)
	v_or_b32_e32 v1, s53, v1
	s_delay_alu instid0(VALU_DEP_1) | instskip(SKIP_2) | instid1(VALU_DEP_3)
	v_cmp_gt_i32_e64 s4, s14, v1
	v_mov_b32_e32 v1, 0x47
	v_cmp_gt_i32_e32 vcc_lo, s44, v0
	s_and_b32 s4, vcc_lo, s4
	s_delay_alu instid0(SALU_CYCLE_1)
	s_and_saveexec_b32 s6, s4
	s_cbranch_execz .LBB0_247
; %bb.246:                              ;   in Loop: Header=BB0_12 Depth=1
	scratch_load_b32 v1, off, off offset:76 ; 4-byte Folded Reload
	s_waitcnt vmcnt(0)
	v_add_nc_u32_e32 v5, 0, v1
	scratch_load_b32 v1, off, off offset:80 ; 4-byte Folded Reload
	s_waitcnt vmcnt(0)
	ds_load_2addr_stride64_b32 v[1:2], v1 offset1:9
	ds_load_2addr_b32 v[3:4], v5 offset0:32 offset1:33
	ds_load_b32 v5, v5 offset:2432
	scratch_load_b64 v[14:15], off, off offset:56 ; 8-byte Folded Reload
	s_waitcnt lgkmcnt(1)
	v_fma_mix_f32 v6, v3, v1, 0 op_sel_hi:[0,1,0]
	v_fma_mix_f32 v1, v3, v1, 0 op_sel:[0,1,0] op_sel_hi:[0,1,0]
	s_waitcnt lgkmcnt(0)
	s_delay_alu instid0(VALU_DEP_2) | instskip(NEXT) | instid1(VALU_DEP_2)
	v_fma_mix_f32 v3, v5, v2, v6 op_sel_hi:[0,1,0]
	v_fma_mix_f32 v5, v5, v2, v1 op_sel:[0,1,0] op_sel_hi:[0,1,0]
	s_delay_alu instid0(VALU_DEP_2) | instskip(NEXT) | instid1(VALU_DEP_2)
	v_div_scale_f32 v6, null, v4, v4, v3
	v_div_scale_f32 v7, null, v4, v4, v5
	v_div_scale_f32 v10, vcc_lo, v3, v4, v3
	s_delay_alu instid0(VALU_DEP_3) | instskip(NEXT) | instid1(VALU_DEP_2)
	v_rcp_f32_e32 v8, v6
	v_rcp_f32_e32 v9, v7
	v_div_scale_f32 v11, s4, v5, v4, v5
	s_waitcnt_depctr 0xfff
	v_fma_f32 v1, -v6, v8, 1.0
	v_fma_f32 v2, -v7, v9, 1.0
	s_delay_alu instid0(VALU_DEP_2) | instskip(NEXT) | instid1(VALU_DEP_1)
	v_fmac_f32_e32 v8, v1, v8
	v_mul_f32_e32 v12, v10, v8
	s_delay_alu instid0(VALU_DEP_3) | instskip(SKIP_2) | instid1(VALU_DEP_3)
	v_fmac_f32_e32 v9, v2, v9
	s_waitcnt vmcnt(0)
	v_mad_u64_u32 v[1:2], null, v0, s45, v[14:15]
	v_fma_f32 v0, -v6, v12, v10
	s_delay_alu instid0(VALU_DEP_1) | instskip(NEXT) | instid1(VALU_DEP_3)
	v_dual_fmac_f32 v12, v0, v8 :: v_dual_mul_f32 v13, v11, v9
	v_lshl_add_u32 v0, v1, 5, v64
	s_delay_alu instid0(VALU_DEP_2) | instskip(NEXT) | instid1(VALU_DEP_2)
	v_fma_f32 v2, -v7, v13, v11
	v_ashrrev_i32_e32 v1, 31, v0
	s_delay_alu instid0(VALU_DEP_2) | instskip(SKIP_1) | instid1(VALU_DEP_3)
	v_fmac_f32_e32 v13, v2, v9
	v_fma_f32 v2, -v6, v12, v10
	v_lshlrev_b64 v[0:1], 3, v[0:1]
	s_delay_alu instid0(VALU_DEP_3) | instskip(NEXT) | instid1(VALU_DEP_3)
	v_fma_f32 v6, -v7, v13, v11
	v_div_fmas_f32 v2, v2, v8, v12
	s_mov_b32 vcc_lo, s4
	s_delay_alu instid0(VALU_DEP_2) | instskip(NEXT) | instid1(VALU_DEP_2)
	v_div_fmas_f32 v6, v6, v9, v13
	v_div_fixup_f32 v2, v2, v4, v3
	s_delay_alu instid0(VALU_DEP_2)
	v_div_fixup_f32 v3, v6, v4, v5
	v_add_co_u32 v4, vcc_lo, s71, v0
	v_add_co_ci_u32_e32 v5, vcc_lo, s96, v1, vcc_lo
	v_mov_b32_e32 v1, 0
	global_store_b64 v[4:5], v[2:3], off
.LBB0_247:                              ;   in Loop: Header=BB0_12 Depth=1
	s_or_b32 exec_lo, exec_lo, s6
	s_mov_b32 s4, -1
	s_mov_b32 s6, exec_lo
	v_cmpx_gt_i32_e32 0x47, v1
; %bb.248:                              ;   in Loop: Header=BB0_12 Depth=1
	v_cmp_eq_u32_e32 vcc_lo, 0, v1
	s_or_not1_b32 s4, vcc_lo, exec_lo
; %bb.249:                              ;   in Loop: Header=BB0_12 Depth=1
	s_or_b32 exec_lo, exec_lo, s6
	s_delay_alu instid0(SALU_CYCLE_1)
	s_and_b32 exec_lo, exec_lo, s4
	s_cbranch_execz .LBB0_10
; %bb.250:                              ;   in Loop: Header=BB0_12 Depth=1
	scratch_load_b32 v0, off, off offset:84 ; 4-byte Folded Reload
	s_waitcnt vmcnt(0)
	v_dual_mov_b32 v1, 0x47 :: v_dual_add_nc_u32 v0, s101, v0
	s_delay_alu instid0(VALU_DEP_1) | instskip(SKIP_1) | instid1(SALU_CYCLE_1)
	v_cmp_gt_i32_e32 vcc_lo, s44, v0
	s_and_b32 s4, vcc_lo, s3
	s_and_saveexec_b32 s6, s4
	s_cbranch_execz .LBB0_252
; %bb.251:                              ;   in Loop: Header=BB0_12 Depth=1
	scratch_load_b32 v1, off, off offset:96 ; 4-byte Folded Reload
	s_waitcnt vmcnt(0)
	v_add_nc_u32_e32 v5, 0, v1
	scratch_load_b32 v1, off, off offset:100 ; 4-byte Folded Reload
	s_waitcnt vmcnt(0)
	ds_load_2addr_stride64_b32 v[1:2], v1 offset1:9
	ds_load_2addr_b32 v[3:4], v5 offset0:32 offset1:33
	ds_load_b32 v5, v5 offset:2432
	s_waitcnt lgkmcnt(1)
	v_fma_mix_f32 v6, v3, v1, 0 op_sel_hi:[0,1,0]
	v_fma_mix_f32 v1, v3, v1, 0 op_sel:[0,1,0] op_sel_hi:[0,1,0]
	s_waitcnt lgkmcnt(0)
	s_delay_alu instid0(VALU_DEP_2) | instskip(NEXT) | instid1(VALU_DEP_2)
	v_fma_mix_f32 v3, v5, v2, v6 op_sel_hi:[0,1,0]
	v_fma_mix_f32 v5, v5, v2, v1 op_sel:[0,1,0] op_sel_hi:[0,1,0]
	s_delay_alu instid0(VALU_DEP_2) | instskip(NEXT) | instid1(VALU_DEP_2)
	v_div_scale_f32 v6, null, v4, v4, v3
	v_div_scale_f32 v7, null, v4, v4, v5
	v_div_scale_f32 v10, vcc_lo, v3, v4, v3
	s_delay_alu instid0(VALU_DEP_3) | instskip(NEXT) | instid1(VALU_DEP_2)
	v_rcp_f32_e32 v8, v6
	v_rcp_f32_e32 v9, v7
	v_div_scale_f32 v11, s4, v5, v4, v5
	s_waitcnt_depctr 0xfff
	v_fma_f32 v1, -v6, v8, 1.0
	v_fma_f32 v2, -v7, v9, 1.0
	s_delay_alu instid0(VALU_DEP_2) | instskip(NEXT) | instid1(VALU_DEP_1)
	v_fmac_f32_e32 v8, v1, v8
	v_mul_f32_e32 v12, v10, v8
	s_delay_alu instid0(VALU_DEP_3) | instskip(SKIP_1) | instid1(VALU_DEP_3)
	v_fmac_f32_e32 v9, v2, v9
	v_mad_u64_u32 v[1:2], null, v0, s45, v[92:93]
	v_fma_f32 v0, -v6, v12, v10
	s_delay_alu instid0(VALU_DEP_1) | instskip(NEXT) | instid1(VALU_DEP_3)
	v_dual_fmac_f32 v12, v0, v8 :: v_dual_mul_f32 v13, v11, v9
	v_lshl_add_u32 v0, v1, 5, v64
	s_delay_alu instid0(VALU_DEP_2) | instskip(NEXT) | instid1(VALU_DEP_2)
	v_fma_f32 v2, -v7, v13, v11
	v_ashrrev_i32_e32 v1, 31, v0
	s_delay_alu instid0(VALU_DEP_2) | instskip(SKIP_1) | instid1(VALU_DEP_3)
	v_fmac_f32_e32 v13, v2, v9
	v_fma_f32 v2, -v6, v12, v10
	v_lshlrev_b64 v[0:1], 3, v[0:1]
	s_delay_alu instid0(VALU_DEP_3) | instskip(NEXT) | instid1(VALU_DEP_3)
	v_fma_f32 v6, -v7, v13, v11
	v_div_fmas_f32 v2, v2, v8, v12
	s_mov_b32 vcc_lo, s4
	s_delay_alu instid0(VALU_DEP_2) | instskip(NEXT) | instid1(VALU_DEP_2)
	v_div_fmas_f32 v6, v6, v9, v13
	v_div_fixup_f32 v2, v2, v4, v3
	s_delay_alu instid0(VALU_DEP_2)
	v_div_fixup_f32 v3, v6, v4, v5
	v_add_co_u32 v4, vcc_lo, s71, v0
	v_add_co_ci_u32_e32 v5, vcc_lo, s96, v1, vcc_lo
	v_mov_b32_e32 v1, 0
	global_store_b64 v[4:5], v[2:3], off
.LBB0_252:                              ;   in Loop: Header=BB0_12 Depth=1
	s_or_b32 exec_lo, exec_lo, s6
	s_mov_b32 s4, -1
	s_mov_b32 s6, exec_lo
	v_cmpx_gt_i32_e32 0x47, v1
; %bb.253:                              ;   in Loop: Header=BB0_12 Depth=1
	v_cmp_eq_u32_e32 vcc_lo, 0, v1
	s_or_not1_b32 s4, vcc_lo, exec_lo
; %bb.254:                              ;   in Loop: Header=BB0_12 Depth=1
	s_or_b32 exec_lo, exec_lo, s6
	s_delay_alu instid0(SALU_CYCLE_1)
	s_and_b32 exec_lo, exec_lo, s4
	s_cbranch_execz .LBB0_10
; %bb.255:                              ;   in Loop: Header=BB0_12 Depth=1
	s_clause 0x1
	scratch_load_b32 v0, off, off offset:104
	scratch_load_b64 v[1:2], off, off offset:88
	s_waitcnt vmcnt(1)
	v_add_nc_u32_e32 v0, s101, v0
	s_waitcnt vmcnt(0)
	v_or_b32_e32 v1, s53, v1
	s_delay_alu instid0(VALU_DEP_1) | instskip(SKIP_2) | instid1(VALU_DEP_3)
	v_cmp_gt_i32_e64 s4, s14, v1
	v_mov_b32_e32 v1, 0x47
	v_cmp_gt_i32_e32 vcc_lo, s44, v0
	s_and_b32 s4, vcc_lo, s4
	s_delay_alu instid0(SALU_CYCLE_1)
	s_and_saveexec_b32 s6, s4
	s_cbranch_execz .LBB0_257
; %bb.256:                              ;   in Loop: Header=BB0_12 Depth=1
	scratch_load_b32 v1, off, off offset:108 ; 4-byte Folded Reload
	s_waitcnt vmcnt(0)
	v_add_nc_u32_e32 v5, 0, v1
	scratch_load_b32 v1, off, off offset:112 ; 4-byte Folded Reload
	s_waitcnt vmcnt(0)
	ds_load_2addr_stride64_b32 v[1:2], v1 offset1:9
	ds_load_2addr_b32 v[3:4], v5 offset0:32 offset1:33
	ds_load_b32 v5, v5 offset:2432
	scratch_load_b64 v[14:15], off, off offset:88 ; 8-byte Folded Reload
	s_waitcnt lgkmcnt(1)
	v_fma_mix_f32 v6, v3, v1, 0 op_sel_hi:[0,1,0]
	v_fma_mix_f32 v1, v3, v1, 0 op_sel:[0,1,0] op_sel_hi:[0,1,0]
	s_waitcnt lgkmcnt(0)
	s_delay_alu instid0(VALU_DEP_2) | instskip(NEXT) | instid1(VALU_DEP_2)
	v_fma_mix_f32 v3, v5, v2, v6 op_sel_hi:[0,1,0]
	v_fma_mix_f32 v5, v5, v2, v1 op_sel:[0,1,0] op_sel_hi:[0,1,0]
	s_delay_alu instid0(VALU_DEP_2) | instskip(NEXT) | instid1(VALU_DEP_2)
	v_div_scale_f32 v6, null, v4, v4, v3
	v_div_scale_f32 v7, null, v4, v4, v5
	v_div_scale_f32 v10, vcc_lo, v3, v4, v3
	s_delay_alu instid0(VALU_DEP_3) | instskip(NEXT) | instid1(VALU_DEP_2)
	v_rcp_f32_e32 v8, v6
	v_rcp_f32_e32 v9, v7
	v_div_scale_f32 v11, s4, v5, v4, v5
	s_waitcnt_depctr 0xfff
	v_fma_f32 v1, -v6, v8, 1.0
	v_fma_f32 v2, -v7, v9, 1.0
	s_delay_alu instid0(VALU_DEP_2) | instskip(NEXT) | instid1(VALU_DEP_1)
	v_fmac_f32_e32 v8, v1, v8
	v_mul_f32_e32 v12, v10, v8
	s_delay_alu instid0(VALU_DEP_3) | instskip(SKIP_2) | instid1(VALU_DEP_3)
	v_fmac_f32_e32 v9, v2, v9
	s_waitcnt vmcnt(0)
	v_mad_u64_u32 v[1:2], null, v0, s45, v[14:15]
	v_fma_f32 v0, -v6, v12, v10
	s_delay_alu instid0(VALU_DEP_1) | instskip(NEXT) | instid1(VALU_DEP_3)
	v_dual_fmac_f32 v12, v0, v8 :: v_dual_mul_f32 v13, v11, v9
	v_lshl_add_u32 v0, v1, 5, v64
	s_delay_alu instid0(VALU_DEP_2) | instskip(NEXT) | instid1(VALU_DEP_2)
	v_fma_f32 v2, -v7, v13, v11
	v_ashrrev_i32_e32 v1, 31, v0
	s_delay_alu instid0(VALU_DEP_2) | instskip(SKIP_1) | instid1(VALU_DEP_3)
	v_fmac_f32_e32 v13, v2, v9
	v_fma_f32 v2, -v6, v12, v10
	v_lshlrev_b64 v[0:1], 3, v[0:1]
	s_delay_alu instid0(VALU_DEP_3) | instskip(NEXT) | instid1(VALU_DEP_3)
	v_fma_f32 v6, -v7, v13, v11
	v_div_fmas_f32 v2, v2, v8, v12
	s_mov_b32 vcc_lo, s4
	s_delay_alu instid0(VALU_DEP_2) | instskip(NEXT) | instid1(VALU_DEP_2)
	v_div_fmas_f32 v6, v6, v9, v13
	v_div_fixup_f32 v2, v2, v4, v3
	s_delay_alu instid0(VALU_DEP_2)
	v_div_fixup_f32 v3, v6, v4, v5
	v_add_co_u32 v4, vcc_lo, s71, v0
	v_add_co_ci_u32_e32 v5, vcc_lo, s96, v1, vcc_lo
	v_mov_b32_e32 v1, 0
	global_store_b64 v[4:5], v[2:3], off
.LBB0_257:                              ;   in Loop: Header=BB0_12 Depth=1
	s_or_b32 exec_lo, exec_lo, s6
	s_mov_b32 s4, -1
	s_mov_b32 s6, exec_lo
	v_cmpx_gt_i32_e32 0x47, v1
; %bb.258:                              ;   in Loop: Header=BB0_12 Depth=1
	v_cmp_eq_u32_e32 vcc_lo, 0, v1
	s_or_not1_b32 s4, vcc_lo, exec_lo
; %bb.259:                              ;   in Loop: Header=BB0_12 Depth=1
	s_or_b32 exec_lo, exec_lo, s6
	s_delay_alu instid0(SALU_CYCLE_1)
	s_and_b32 exec_lo, exec_lo, s4
	s_cbranch_execz .LBB0_10
; %bb.260:                              ;   in Loop: Header=BB0_12 Depth=1
	scratch_load_b32 v0, off, off offset:116 ; 4-byte Folded Reload
	s_waitcnt vmcnt(0)
	v_dual_mov_b32 v1, 0x47 :: v_dual_add_nc_u32 v0, s101, v0
	s_delay_alu instid0(VALU_DEP_1) | instskip(SKIP_1) | instid1(SALU_CYCLE_1)
	v_cmp_gt_i32_e32 vcc_lo, s44, v0
	s_and_b32 s3, vcc_lo, s3
	s_and_saveexec_b32 s4, s3
	s_cbranch_execz .LBB0_262
; %bb.261:                              ;   in Loop: Header=BB0_12 Depth=1
	scratch_load_b32 v1, off, off offset:128 ; 4-byte Folded Reload
	s_waitcnt vmcnt(0)
	v_add_nc_u32_e32 v5, 0, v1
	scratch_load_b32 v1, off, off offset:132 ; 4-byte Folded Reload
	s_waitcnt vmcnt(0)
	ds_load_2addr_stride64_b32 v[1:2], v1 offset1:9
	ds_load_2addr_b32 v[3:4], v5 offset0:32 offset1:33
	ds_load_b32 v5, v5 offset:2432
	s_waitcnt lgkmcnt(1)
	v_fma_mix_f32 v6, v3, v1, 0 op_sel_hi:[0,1,0]
	v_fma_mix_f32 v1, v3, v1, 0 op_sel:[0,1,0] op_sel_hi:[0,1,0]
	s_waitcnt lgkmcnt(0)
	s_delay_alu instid0(VALU_DEP_2) | instskip(NEXT) | instid1(VALU_DEP_2)
	v_fma_mix_f32 v3, v5, v2, v6 op_sel_hi:[0,1,0]
	v_fma_mix_f32 v5, v5, v2, v1 op_sel:[0,1,0] op_sel_hi:[0,1,0]
	s_delay_alu instid0(VALU_DEP_2) | instskip(NEXT) | instid1(VALU_DEP_2)
	v_div_scale_f32 v6, null, v4, v4, v3
	v_div_scale_f32 v7, null, v4, v4, v5
	v_div_scale_f32 v10, vcc_lo, v3, v4, v3
	s_delay_alu instid0(VALU_DEP_3) | instskip(NEXT) | instid1(VALU_DEP_2)
	v_rcp_f32_e32 v8, v6
	v_rcp_f32_e32 v9, v7
	v_div_scale_f32 v11, s3, v5, v4, v5
	s_waitcnt_depctr 0xfff
	v_fma_f32 v1, -v6, v8, 1.0
	v_fma_f32 v2, -v7, v9, 1.0
	s_delay_alu instid0(VALU_DEP_2) | instskip(NEXT) | instid1(VALU_DEP_1)
	v_fmac_f32_e32 v8, v1, v8
	v_mul_f32_e32 v12, v10, v8
	s_delay_alu instid0(VALU_DEP_3) | instskip(SKIP_1) | instid1(VALU_DEP_3)
	v_fmac_f32_e32 v9, v2, v9
	v_mad_u64_u32 v[1:2], null, v0, s45, v[92:93]
	v_fma_f32 v0, -v6, v12, v10
	s_delay_alu instid0(VALU_DEP_1) | instskip(NEXT) | instid1(VALU_DEP_3)
	v_dual_fmac_f32 v12, v0, v8 :: v_dual_mul_f32 v13, v11, v9
	v_lshl_add_u32 v0, v1, 5, v64
	s_delay_alu instid0(VALU_DEP_2) | instskip(NEXT) | instid1(VALU_DEP_2)
	v_fma_f32 v2, -v7, v13, v11
	v_ashrrev_i32_e32 v1, 31, v0
	s_delay_alu instid0(VALU_DEP_2) | instskip(SKIP_1) | instid1(VALU_DEP_3)
	v_fmac_f32_e32 v13, v2, v9
	v_fma_f32 v2, -v6, v12, v10
	v_lshlrev_b64 v[0:1], 3, v[0:1]
	s_delay_alu instid0(VALU_DEP_3) | instskip(NEXT) | instid1(VALU_DEP_3)
	v_fma_f32 v6, -v7, v13, v11
	v_div_fmas_f32 v2, v2, v8, v12
	s_mov_b32 vcc_lo, s3
	s_delay_alu instid0(VALU_DEP_2) | instskip(NEXT) | instid1(VALU_DEP_2)
	v_div_fmas_f32 v6, v6, v9, v13
	v_div_fixup_f32 v2, v2, v4, v3
	s_delay_alu instid0(VALU_DEP_2)
	v_div_fixup_f32 v3, v6, v4, v5
	v_add_co_u32 v4, vcc_lo, s71, v0
	v_add_co_ci_u32_e32 v5, vcc_lo, s96, v1, vcc_lo
	v_mov_b32_e32 v1, 0
	global_store_b64 v[4:5], v[2:3], off
.LBB0_262:                              ;   in Loop: Header=BB0_12 Depth=1
	s_or_b32 exec_lo, exec_lo, s4
	s_mov_b32 s3, -1
	s_mov_b32 s4, exec_lo
	v_cmpx_gt_i32_e32 0x47, v1
; %bb.263:                              ;   in Loop: Header=BB0_12 Depth=1
	v_cmp_eq_u32_e32 vcc_lo, 0, v1
	s_or_not1_b32 s3, vcc_lo, exec_lo
; %bb.264:                              ;   in Loop: Header=BB0_12 Depth=1
	s_or_b32 exec_lo, exec_lo, s4
	s_delay_alu instid0(SALU_CYCLE_1)
	s_and_b32 exec_lo, exec_lo, s3
	s_cbranch_execz .LBB0_10
; %bb.265:                              ;   in Loop: Header=BB0_12 Depth=1
	s_clause 0x1
	scratch_load_b32 v0, off, off offset:136
	scratch_load_b64 v[1:2], off, off offset:120
	s_waitcnt vmcnt(1)
	v_add_nc_u32_e32 v0, s101, v0
	s_waitcnt vmcnt(0)
	v_or_b32_e32 v1, s53, v1
	s_delay_alu instid0(VALU_DEP_2) | instskip(NEXT) | instid1(VALU_DEP_2)
	v_cmp_gt_i32_e32 vcc_lo, s44, v0
	v_cmp_gt_i32_e64 s3, s14, v1
	s_delay_alu instid0(VALU_DEP_1) | instskip(NEXT) | instid1(SALU_CYCLE_1)
	s_and_b32 s3, vcc_lo, s3
	s_and_b32 exec_lo, exec_lo, s3
	s_cbranch_execz .LBB0_10
; %bb.266:                              ;   in Loop: Header=BB0_12 Depth=1
	scratch_load_b32 v1, off, off offset:140 ; 4-byte Folded Reload
	s_waitcnt vmcnt(0)
	v_add_nc_u32_e32 v5, 0, v1
	scratch_load_b32 v1, off, off offset:144 ; 4-byte Folded Reload
	s_waitcnt vmcnt(0)
	ds_load_2addr_stride64_b32 v[1:2], v1 offset1:9
	ds_load_2addr_b32 v[3:4], v5 offset0:32 offset1:33
	ds_load_b32 v5, v5 offset:2432
	scratch_load_b64 v[14:15], off, off offset:120 ; 8-byte Folded Reload
	s_waitcnt lgkmcnt(1)
	v_fma_mix_f32 v6, v3, v1, 0 op_sel_hi:[0,1,0]
	v_fma_mix_f32 v1, v3, v1, 0 op_sel:[0,1,0] op_sel_hi:[0,1,0]
	s_waitcnt lgkmcnt(0)
	s_delay_alu instid0(VALU_DEP_2) | instskip(NEXT) | instid1(VALU_DEP_2)
	v_fma_mix_f32 v3, v5, v2, v6 op_sel_hi:[0,1,0]
	v_fma_mix_f32 v5, v5, v2, v1 op_sel:[0,1,0] op_sel_hi:[0,1,0]
	s_delay_alu instid0(VALU_DEP_2) | instskip(NEXT) | instid1(VALU_DEP_2)
	v_div_scale_f32 v6, null, v4, v4, v3
	v_div_scale_f32 v7, null, v4, v4, v5
	v_div_scale_f32 v10, vcc_lo, v3, v4, v3
	s_delay_alu instid0(VALU_DEP_3) | instskip(NEXT) | instid1(VALU_DEP_2)
	v_rcp_f32_e32 v8, v6
	v_rcp_f32_e32 v9, v7
	v_div_scale_f32 v11, s3, v5, v4, v5
	s_waitcnt_depctr 0xfff
	v_fma_f32 v1, -v6, v8, 1.0
	v_fma_f32 v2, -v7, v9, 1.0
	s_delay_alu instid0(VALU_DEP_2) | instskip(NEXT) | instid1(VALU_DEP_1)
	v_fmac_f32_e32 v8, v1, v8
	v_mul_f32_e32 v12, v10, v8
	s_delay_alu instid0(VALU_DEP_3) | instskip(SKIP_2) | instid1(VALU_DEP_3)
	v_fmac_f32_e32 v9, v2, v9
	s_waitcnt vmcnt(0)
	v_mad_u64_u32 v[1:2], null, v0, s45, v[14:15]
	v_fma_f32 v0, -v6, v12, v10
	s_delay_alu instid0(VALU_DEP_1) | instskip(NEXT) | instid1(VALU_DEP_3)
	v_dual_fmac_f32 v12, v0, v8 :: v_dual_mul_f32 v13, v11, v9
	v_lshl_add_u32 v0, v1, 5, v64
	s_delay_alu instid0(VALU_DEP_2) | instskip(NEXT) | instid1(VALU_DEP_2)
	v_fma_f32 v2, -v7, v13, v11
	v_ashrrev_i32_e32 v1, 31, v0
	s_delay_alu instid0(VALU_DEP_2) | instskip(SKIP_1) | instid1(VALU_DEP_3)
	v_fmac_f32_e32 v13, v2, v9
	v_fma_f32 v2, -v6, v12, v10
	v_lshlrev_b64 v[0:1], 3, v[0:1]
	s_delay_alu instid0(VALU_DEP_3) | instskip(NEXT) | instid1(VALU_DEP_3)
	v_fma_f32 v6, -v7, v13, v11
	v_div_fmas_f32 v2, v2, v8, v12
	s_mov_b32 vcc_lo, s3
	s_delay_alu instid0(VALU_DEP_2) | instskip(NEXT) | instid1(VALU_DEP_4)
	v_div_fmas_f32 v6, v6, v9, v13
	v_add_co_u32 v0, vcc_lo, s71, v0
	s_delay_alu instid0(VALU_DEP_3) | instskip(SKIP_1) | instid1(VALU_DEP_4)
	v_div_fixup_f32 v2, v2, v4, v3
	v_add_co_ci_u32_e32 v1, vcc_lo, s96, v1, vcc_lo
	v_div_fixup_f32 v3, v6, v4, v5
	global_store_b64 v[0:1], v[2:3], off
	s_branch .LBB0_10
.LBB0_267:
	v_readlane_b32 s15, v255, 2
	v_readlane_b32 s40, v255, 1
	;; [unrolled: 1-line block ×5, first 2 shown]
	s_and_not1_b32 vcc_lo, exec_lo, s3
	s_cbranch_vccnz .LBB0_8
.LBB0_268:
	s_abs_i32 s0, s79
	s_abs_i32 s3, s62
	v_cvt_f32_u32_e32 v0, s0
	s_sub_i32 s2, 0, s0
	v_readlane_b32 s9, v255, 0
	v_mov_b32_e32 v32, s10
	s_delay_alu instid0(VALU_DEP_3) | instskip(SKIP_2) | instid1(VALU_DEP_1)
	v_rcp_iflag_f32_e32 v0, v0
	s_waitcnt_depctr 0xfff
	v_mul_f32_e32 v0, 0x4f7ffffe, v0
	v_cvt_u32_f32_e32 v0, v0
	s_delay_alu instid0(VALU_DEP_1) | instskip(NEXT) | instid1(VALU_DEP_1)
	v_readfirstlane_b32 s1, v0
	s_mul_i32 s2, s2, s1
	s_delay_alu instid0(SALU_CYCLE_1) | instskip(NEXT) | instid1(SALU_CYCLE_1)
	s_mul_hi_u32 s2, s1, s2
	s_add_i32 s1, s1, s2
	s_xor_b32 s2, s62, s79
	s_mul_hi_u32 s1, s3, s1
	s_ashr_i32 s2, s2, 31
	s_mul_i32 s4, s1, s0
	s_delay_alu instid0(SALU_CYCLE_1)
	s_sub_i32 s3, s3, s4
	s_add_i32 s4, s1, 1
	s_sub_i32 s5, s3, s0
	s_cmp_ge_u32 s3, s0
	s_cselect_b32 s1, s4, s1
	s_cselect_b32 s3, s5, s3
	s_add_i32 s4, s1, 1
	s_cmp_ge_u32 s3, s0
	s_cselect_b32 s0, s4, s1
	s_abs_i32 s1, s80
	s_xor_b32 s0, s0, s2
	v_cvt_f32_u32_e32 v0, s1
	s_sub_i32 s2, s0, s2
	s_sub_i32 s0, 0, s1
	s_mul_i32 s4, s2, s79
	s_delay_alu instid0(VALU_DEP_1) | instskip(SKIP_1) | instid1(SALU_CYCLE_1)
	v_rcp_iflag_f32_e32 v0, v0
	s_sub_i32 s4, s62, s4
	s_abs_i32 s5, s4
	s_waitcnt_depctr 0xfff
	v_mul_f32_e32 v0, 0x4f7ffffe, v0
	s_delay_alu instid0(VALU_DEP_1) | instskip(NEXT) | instid1(VALU_DEP_1)
	v_cvt_u32_f32_e32 v0, v0
	v_readfirstlane_b32 s3, v0
	s_delay_alu instid0(VALU_DEP_1) | instskip(NEXT) | instid1(SALU_CYCLE_1)
	s_mul_i32 s0, s0, s3
	s_mul_hi_u32 s0, s3, s0
	s_delay_alu instid0(SALU_CYCLE_1) | instskip(NEXT) | instid1(SALU_CYCLE_1)
	s_add_i32 s3, s3, s0
	s_mul_hi_u32 s0, s5, s3
	s_xor_b32 s3, s4, s80
	s_mul_i32 s6, s0, s1
	s_ashr_i32 s3, s3, 31
	s_sub_i32 s5, s5, s6
	s_add_i32 s6, s0, 1
	s_sub_i32 s7, s5, s1
	s_cmp_ge_u32 s5, s1
	s_cselect_b32 s0, s6, s0
	s_cselect_b32 s5, s7, s5
	s_add_i32 s6, s0, 1
	s_cmp_ge_u32 s5, s1
	s_cselect_b32 s0, s6, s0
	s_abs_i32 s1, s9
	s_xor_b32 s0, s0, s3
	v_cvt_f32_u32_e32 v0, s1
	s_sub_i32 s3, s0, s3
	s_sub_i32 s0, 0, s1
	s_mul_i32 s6, s3, s80
	s_delay_alu instid0(VALU_DEP_1) | instskip(SKIP_1) | instid1(SALU_CYCLE_1)
	v_rcp_iflag_f32_e32 v0, v0
	s_sub_i32 s4, s4, s6
	s_abs_i32 s6, s4
	s_waitcnt_depctr 0xfff
	v_mul_f32_e32 v0, 0x4f7ffffe, v0
	s_delay_alu instid0(VALU_DEP_1) | instskip(NEXT) | instid1(VALU_DEP_1)
	v_cvt_u32_f32_e32 v0, v0
	v_readfirstlane_b32 s5, v0
	s_delay_alu instid0(VALU_DEP_1) | instskip(NEXT) | instid1(SALU_CYCLE_1)
	s_mul_i32 s0, s0, s5
	s_mul_hi_u32 s0, s5, s0
	s_delay_alu instid0(SALU_CYCLE_1) | instskip(NEXT) | instid1(SALU_CYCLE_1)
	s_add_i32 s5, s5, s0
	s_mul_hi_u32 s0, s6, s5
	s_xor_b32 s5, s4, s9
	s_mul_i32 s7, s0, s1
	s_ashr_i32 s5, s5, 31
	s_sub_i32 s6, s6, s7
	s_add_i32 s7, s0, 1
	s_sub_i32 s8, s6, s1
	s_cmp_ge_u32 s6, s1
	s_cselect_b32 s0, s7, s0
	s_cselect_b32 s6, s8, s6
	s_add_i32 s7, s0, 1
	s_cmp_ge_u32 s6, s1
	s_cselect_b32 s0, s7, s0
	s_delay_alu instid0(SALU_CYCLE_1) | instskip(NEXT) | instid1(SALU_CYCLE_1)
	s_xor_b32 s0, s0, s5
	s_sub_i32 s0, s0, s5
	s_delay_alu instid0(SALU_CYCLE_1) | instskip(NEXT) | instid1(SALU_CYCLE_1)
	s_mul_i32 s1, s0, s9
	s_sub_i32 s1, s4, s1
	s_delay_alu instid0(SALU_CYCLE_1) | instskip(SKIP_4) | instid1(SALU_CYCLE_1)
	s_abs_i32 s4, s1
	s_ashr_i32 s1, s1, 31
	s_mul_hi_u32 s5, s4, s85
	s_xor_b32 s1, s1, s84
	s_mul_i32 s6, s5, s83
	s_sub_i32 s4, s4, s6
	s_add_i32 s6, s5, 1
	s_sub_i32 s7, s4, s83
	s_cmp_ge_u32 s4, s83
	s_cselect_b32 s5, s6, s5
	s_cselect_b32 s4, s7, s4
	s_add_i32 s6, s5, 1
	s_cmp_ge_u32 s4, s83
	s_cselect_b32 s5, s6, s5
	s_abs_i32 s4, s36
	s_xor_b32 s5, s5, s1
	v_cvt_f32_u32_e32 v0, s4
	s_sub_i32 s1, s5, s1
	s_cmp_eq_u64 s[26:27], 0
	s_delay_alu instid0(VALU_DEP_1) | instskip(SKIP_2) | instid1(VALU_DEP_1)
	v_rcp_iflag_f32_e32 v0, v0
	s_waitcnt_depctr 0xfff
	v_mul_f32_e32 v0, 0x4f7ffffe, v0
	v_cvt_u32_f32_e32 v0, v0
	s_delay_alu instid0(VALU_DEP_1)
	v_readfirstlane_b32 s7, v0
	s_cbranch_scc1 .LBB0_270
; %bb.269:
	s_mul_i32 s5, s2, s78
	v_mov_b32_e32 v0, 0
	s_add_i32 s8, s1, s5
	s_delay_alu instid0(SALU_CYCLE_1) | instskip(NEXT) | instid1(SALU_CYCLE_1)
	s_ashr_i32 s9, s8, 31
	s_lshl_b64 s[8:9], s[8:9], 2
	s_delay_alu instid0(SALU_CYCLE_1) | instskip(SKIP_4) | instid1(VALU_DEP_1)
	s_add_u32 s8, s26, s8
	s_addc_u32 s9, s27, s9
	global_load_b32 v0, v0, s[8:9]
	s_waitcnt vmcnt(0)
	v_ashrrev_i32_e32 v1, 31, v0
	v_lshrrev_b32_e32 v1, 26, v1
	s_delay_alu instid0(VALU_DEP_1) | instskip(NEXT) | instid1(VALU_DEP_1)
	v_add_nc_u32_e32 v0, v0, v1
	v_ashrrev_i32_e32 v0, 6, v0
	s_delay_alu instid0(VALU_DEP_1)
	v_min_i32_e32 v32, s10, v0
.LBB0_270:
	s_mul_i32 s5, s3, s14
	s_lshl_b32 s0, s0, 2
	s_mul_i32 s6, s2, s61
	s_add_i32 s5, s0, s5
	s_ashr_i32 s8, s6, 31
	s_mul_i32 s5, s5, s60
	s_add_u32 s6, s16, s6
	s_addc_u32 s8, s17, s8
	s_ashr_i32 s9, s5, 31
	s_add_u32 s5, s6, s5
	s_addc_u32 s6, s8, s9
	s_lshl_b32 s1, s1, 3
	v_or_b32_e32 v1, s0, v133
	v_add_nc_u32_e32 v0, s1, v141
	s_delay_alu instid0(VALU_DEP_2) | instskip(NEXT) | instid1(VALU_DEP_2)
	v_cmp_gt_i32_e32 vcc_lo, s14, v1
	v_cmp_le_i32_e64 s0, s44, v0
	s_xor_b32 s8, vcc_lo, -1
	s_delay_alu instid0(VALU_DEP_1) | instid1(SALU_CYCLE_1)
	s_or_b32 s0, s0, s8
	s_delay_alu instid0(SALU_CYCLE_1) | instskip(NEXT) | instid1(SALU_CYCLE_1)
	s_and_saveexec_b32 s9, s0
	s_xor_b32 s0, exec_lo, s9
	s_cbranch_execz .LBB0_272
; %bb.271:
	v_mad_u32_u24 v0, v129, 36, v64
	v_mov_b32_e32 v1, 0
	s_delay_alu instid0(VALU_DEP_2)
	v_lshl_add_u32 v0, v0, 2, 0
	ds_store_b32 v0, v1
                                        ; implicit-def: $vgpr0
.LBB0_272:
	s_and_not1_saveexec_b32 s0, s0
	s_cbranch_execz .LBB0_274
; %bb.273:
	v_mul_lo_u32 v0, v0, s63
	v_mul_lo_u32 v1, v133, s33
	s_delay_alu instid0(VALU_DEP_1) | instskip(NEXT) | instid1(VALU_DEP_1)
	v_add3_u32 v0, v1, v64, v0
	v_ashrrev_i32_e32 v1, 31, v0
	s_delay_alu instid0(VALU_DEP_1) | instskip(NEXT) | instid1(VALU_DEP_1)
	v_lshlrev_b64 v[0:1], 3, v[0:1]
	v_add_co_u32 v0, vcc_lo, s5, v0
	s_delay_alu instid0(VALU_DEP_2) | instskip(SKIP_4) | instid1(VALU_DEP_1)
	v_add_co_ci_u32_e32 v1, vcc_lo, s6, v1, vcc_lo
	global_load_b64 v[0:1], v[0:1], off
	s_waitcnt vmcnt(0)
	v_cvt_f16_f32_e32 v0, v0
	v_cvt_f16_f32_e32 v1, v1
	v_pack_b32_f16 v0, v0, v1
	v_mad_u32_u24 v1, v129, 36, v64
	s_delay_alu instid0(VALU_DEP_2) | instskip(NEXT) | instid1(VALU_DEP_2)
	v_pk_mul_f16 v0, v134, v0
	v_lshl_add_u32 v1, v1, 2, 0
	ds_store_b32 v1, v0
.LBB0_274:
	s_or_b32 exec_lo, exec_lo, s0
	v_lshrrev_b32_e32 v0, 2, v132
	s_delay_alu instid0(VALU_DEP_1) | instskip(NEXT) | instid1(VALU_DEP_1)
	v_add_nc_u32_e32 v0, s1, v0
	v_cmp_le_i32_e32 vcc_lo, s44, v0
	s_or_b32 s0, vcc_lo, s8
	s_delay_alu instid0(SALU_CYCLE_1) | instskip(NEXT) | instid1(SALU_CYCLE_1)
	s_and_saveexec_b32 s9, s0
	s_xor_b32 s0, exec_lo, s9
	s_cbranch_execz .LBB0_276
; %bb.275:
	v_mad_u32_u24 v0, v132, 36, v64
	v_mov_b32_e32 v1, 0
	s_delay_alu instid0(VALU_DEP_2)
	v_lshl_add_u32 v0, v0, 2, 0
	ds_store_b32 v0, v1
                                        ; implicit-def: $vgpr0
.LBB0_276:
	s_and_not1_saveexec_b32 s0, s0
	s_cbranch_execz .LBB0_278
; %bb.277:
	v_mul_lo_u32 v0, v0, s63
	v_mul_lo_u32 v1, v133, s33
	s_delay_alu instid0(VALU_DEP_1) | instskip(NEXT) | instid1(VALU_DEP_1)
	v_add3_u32 v0, v1, v64, v0
	v_ashrrev_i32_e32 v1, 31, v0
	s_delay_alu instid0(VALU_DEP_1) | instskip(NEXT) | instid1(VALU_DEP_1)
	v_lshlrev_b64 v[0:1], 3, v[0:1]
	v_add_co_u32 v0, vcc_lo, s5, v0
	s_delay_alu instid0(VALU_DEP_2) | instskip(SKIP_4) | instid1(VALU_DEP_1)
	v_add_co_ci_u32_e32 v1, vcc_lo, s6, v1, vcc_lo
	global_load_b64 v[0:1], v[0:1], off
	s_waitcnt vmcnt(0)
	v_cvt_f16_f32_e32 v0, v0
	v_cvt_f16_f32_e32 v1, v1
	v_pack_b32_f16 v0, v0, v1
	v_mad_u32_u24 v1, v132, 36, v64
	s_delay_alu instid0(VALU_DEP_2) | instskip(NEXT) | instid1(VALU_DEP_2)
	v_pk_mul_f16 v0, v134, v0
	v_lshl_add_u32 v1, v1, 2, 0
	ds_store_b32 v1, v0
.LBB0_278:
	s_or_b32 exec_lo, exec_lo, s0
	v_lshrrev_b32_e32 v0, 2, v140
	s_delay_alu instid0(VALU_DEP_1) | instskip(NEXT) | instid1(VALU_DEP_1)
	v_add_nc_u32_e32 v0, s1, v0
	v_cmp_le_i32_e32 vcc_lo, s44, v0
	s_or_b32 s0, vcc_lo, s8
	s_delay_alu instid0(SALU_CYCLE_1) | instskip(NEXT) | instid1(SALU_CYCLE_1)
	s_and_saveexec_b32 s9, s0
	s_xor_b32 s0, exec_lo, s9
	s_cbranch_execz .LBB0_280
; %bb.279:
	v_mad_u32_u24 v0, v140, 36, v64
	v_mov_b32_e32 v1, 0
                                        ; implicit-def: $vgpr140
	s_delay_alu instid0(VALU_DEP_2)
	v_lshl_add_u32 v0, v0, 2, 0
	ds_store_b32 v0, v1
                                        ; implicit-def: $vgpr0
.LBB0_280:
	s_and_not1_saveexec_b32 s0, s0
	s_cbranch_execz .LBB0_282
; %bb.281:
	v_mul_lo_u32 v0, v0, s63
	v_mul_lo_u32 v1, v133, s33
	s_delay_alu instid0(VALU_DEP_1) | instskip(NEXT) | instid1(VALU_DEP_1)
	v_add3_u32 v0, v1, v64, v0
	v_ashrrev_i32_e32 v1, 31, v0
	s_delay_alu instid0(VALU_DEP_1) | instskip(NEXT) | instid1(VALU_DEP_1)
	v_lshlrev_b64 v[0:1], 3, v[0:1]
	v_add_co_u32 v0, vcc_lo, s5, v0
	s_delay_alu instid0(VALU_DEP_2) | instskip(SKIP_4) | instid1(VALU_DEP_1)
	v_add_co_ci_u32_e32 v1, vcc_lo, s6, v1, vcc_lo
	global_load_b64 v[0:1], v[0:1], off
	s_waitcnt vmcnt(0)
	v_cvt_f16_f32_e32 v0, v0
	v_cvt_f16_f32_e32 v1, v1
	v_pack_b32_f16 v0, v0, v1
	v_mad_u32_u24 v1, v140, 36, v64
	s_delay_alu instid0(VALU_DEP_2) | instskip(NEXT) | instid1(VALU_DEP_2)
	v_pk_mul_f16 v0, v134, v0
	v_lshl_add_u32 v1, v1, 2, 0
	ds_store_b32 v1, v0
.LBB0_282:
	s_or_b32 exec_lo, exec_lo, s0
	v_lshrrev_b32_e32 v0, 2, v139
	s_delay_alu instid0(VALU_DEP_1) | instskip(NEXT) | instid1(VALU_DEP_1)
	v_add_nc_u32_e32 v0, s1, v0
	v_cmp_le_i32_e32 vcc_lo, s44, v0
	s_or_b32 s0, vcc_lo, s8
	s_delay_alu instid0(SALU_CYCLE_1) | instskip(NEXT) | instid1(SALU_CYCLE_1)
	s_and_saveexec_b32 s9, s0
	s_xor_b32 s0, exec_lo, s9
	s_cbranch_execz .LBB0_284
; %bb.283:
	v_mad_u32_u24 v0, v139, 36, v64
	v_mov_b32_e32 v1, 0
                                        ; implicit-def: $vgpr139
	s_delay_alu instid0(VALU_DEP_2)
	v_lshl_add_u32 v0, v0, 2, 0
	ds_store_b32 v0, v1
                                        ; implicit-def: $vgpr0
.LBB0_284:
	s_and_not1_saveexec_b32 s0, s0
	s_cbranch_execz .LBB0_286
; %bb.285:
	v_mul_lo_u32 v0, v0, s63
	v_mul_lo_u32 v1, v133, s33
	s_delay_alu instid0(VALU_DEP_1) | instskip(NEXT) | instid1(VALU_DEP_1)
	v_add3_u32 v0, v1, v64, v0
	v_ashrrev_i32_e32 v1, 31, v0
	s_delay_alu instid0(VALU_DEP_1) | instskip(NEXT) | instid1(VALU_DEP_1)
	v_lshlrev_b64 v[0:1], 3, v[0:1]
	v_add_co_u32 v0, vcc_lo, s5, v0
	s_delay_alu instid0(VALU_DEP_2) | instskip(SKIP_4) | instid1(VALU_DEP_1)
	v_add_co_ci_u32_e32 v1, vcc_lo, s6, v1, vcc_lo
	global_load_b64 v[0:1], v[0:1], off
	s_waitcnt vmcnt(0)
	v_cvt_f16_f32_e32 v0, v0
	v_cvt_f16_f32_e32 v1, v1
	v_pack_b32_f16 v0, v0, v1
	v_mad_u32_u24 v1, v139, 36, v64
	s_delay_alu instid0(VALU_DEP_2) | instskip(NEXT) | instid1(VALU_DEP_2)
	v_pk_mul_f16 v0, v134, v0
	v_lshl_add_u32 v1, v1, 2, 0
	ds_store_b32 v1, v0
.LBB0_286:
	s_or_b32 exec_lo, exec_lo, s0
	v_lshrrev_b32_e32 v0, 2, v138
	s_delay_alu instid0(VALU_DEP_1) | instskip(NEXT) | instid1(VALU_DEP_1)
	v_add_nc_u32_e32 v0, s1, v0
	v_cmp_le_i32_e32 vcc_lo, s44, v0
	s_or_b32 s0, vcc_lo, s8
	s_delay_alu instid0(SALU_CYCLE_1) | instskip(NEXT) | instid1(SALU_CYCLE_1)
	s_and_saveexec_b32 s9, s0
	s_xor_b32 s0, exec_lo, s9
	s_cbranch_execz .LBB0_288
; %bb.287:
	v_mad_u32_u24 v0, v138, 36, v64
	v_mov_b32_e32 v1, 0
                                        ; implicit-def: $vgpr138
	s_delay_alu instid0(VALU_DEP_2)
	v_lshl_add_u32 v0, v0, 2, 0
	ds_store_b32 v0, v1
                                        ; implicit-def: $vgpr0
.LBB0_288:
	s_and_not1_saveexec_b32 s0, s0
	s_cbranch_execz .LBB0_290
; %bb.289:
	v_mul_lo_u32 v0, v0, s63
	v_mul_lo_u32 v1, v133, s33
	s_delay_alu instid0(VALU_DEP_1) | instskip(NEXT) | instid1(VALU_DEP_1)
	v_add3_u32 v0, v1, v64, v0
	v_ashrrev_i32_e32 v1, 31, v0
	s_delay_alu instid0(VALU_DEP_1) | instskip(NEXT) | instid1(VALU_DEP_1)
	v_lshlrev_b64 v[0:1], 3, v[0:1]
	v_add_co_u32 v0, vcc_lo, s5, v0
	s_delay_alu instid0(VALU_DEP_2) | instskip(SKIP_4) | instid1(VALU_DEP_1)
	v_add_co_ci_u32_e32 v1, vcc_lo, s6, v1, vcc_lo
	global_load_b64 v[0:1], v[0:1], off
	s_waitcnt vmcnt(0)
	v_cvt_f16_f32_e32 v0, v0
	v_cvt_f16_f32_e32 v1, v1
	v_pack_b32_f16 v0, v0, v1
	v_mad_u32_u24 v1, v138, 36, v64
	s_delay_alu instid0(VALU_DEP_2) | instskip(NEXT) | instid1(VALU_DEP_2)
	v_pk_mul_f16 v0, v134, v0
	v_lshl_add_u32 v1, v1, 2, 0
	ds_store_b32 v1, v0
.LBB0_290:
	s_or_b32 exec_lo, exec_lo, s0
	v_lshrrev_b32_e32 v0, 2, v137
	s_sub_i32 s9, 0, s4
	s_delay_alu instid0(VALU_DEP_1) | instskip(NEXT) | instid1(VALU_DEP_1)
	v_add_nc_u32_e32 v0, s1, v0
	v_cmp_le_i32_e32 vcc_lo, s44, v0
	s_or_b32 s0, vcc_lo, s8
	s_delay_alu instid0(SALU_CYCLE_1) | instskip(NEXT) | instid1(SALU_CYCLE_1)
	s_and_saveexec_b32 s10, s0
	s_xor_b32 s0, exec_lo, s10
	s_cbranch_execz .LBB0_292
; %bb.291:
	v_mad_u32_u24 v0, v137, 36, v64
	v_mov_b32_e32 v1, 0
                                        ; implicit-def: $vgpr137
	s_delay_alu instid0(VALU_DEP_2)
	v_lshl_add_u32 v0, v0, 2, 0
	ds_store_b32 v0, v1
                                        ; implicit-def: $vgpr0
.LBB0_292:
	s_or_saveexec_b32 s0, s0
	s_mul_i32 s9, s9, s7
	s_xor_b32 exec_lo, exec_lo, s0
	s_cbranch_execz .LBB0_294
; %bb.293:
	v_mul_lo_u32 v0, v0, s63
	v_mul_lo_u32 v1, v133, s33
	s_delay_alu instid0(VALU_DEP_1) | instskip(NEXT) | instid1(VALU_DEP_1)
	v_add3_u32 v0, v1, v64, v0
	v_ashrrev_i32_e32 v1, 31, v0
	s_delay_alu instid0(VALU_DEP_1) | instskip(NEXT) | instid1(VALU_DEP_1)
	v_lshlrev_b64 v[0:1], 3, v[0:1]
	v_add_co_u32 v0, vcc_lo, s5, v0
	s_delay_alu instid0(VALU_DEP_2) | instskip(SKIP_4) | instid1(VALU_DEP_1)
	v_add_co_ci_u32_e32 v1, vcc_lo, s6, v1, vcc_lo
	global_load_b64 v[0:1], v[0:1], off
	s_waitcnt vmcnt(0)
	v_cvt_f16_f32_e32 v0, v0
	v_cvt_f16_f32_e32 v1, v1
	v_pack_b32_f16 v0, v0, v1
	v_mad_u32_u24 v1, v137, 36, v64
	s_delay_alu instid0(VALU_DEP_2) | instskip(NEXT) | instid1(VALU_DEP_2)
	v_pk_mul_f16 v0, v134, v0
	v_lshl_add_u32 v1, v1, 2, 0
	ds_store_b32 v1, v0
.LBB0_294:
	s_or_b32 exec_lo, exec_lo, s0
	v_lshrrev_b32_e32 v0, 2, v136
	s_mul_hi_u32 s10, s7, s9
	s_delay_alu instid0(VALU_DEP_1) | instskip(NEXT) | instid1(VALU_DEP_1)
	v_add_nc_u32_e32 v0, s1, v0
	v_cmp_le_i32_e32 vcc_lo, s44, v0
	s_or_b32 s0, vcc_lo, s8
	s_delay_alu instid0(SALU_CYCLE_1) | instskip(NEXT) | instid1(SALU_CYCLE_1)
	s_and_saveexec_b32 s9, s0
	s_xor_b32 s0, exec_lo, s9
	s_cbranch_execz .LBB0_296
; %bb.295:
	v_mad_u32_u24 v0, v136, 36, v64
	v_mov_b32_e32 v1, 0
                                        ; implicit-def: $vgpr136
	s_delay_alu instid0(VALU_DEP_2)
	v_lshl_add_u32 v0, v0, 2, 0
	ds_store_b32 v0, v1
                                        ; implicit-def: $vgpr0
.LBB0_296:
	s_or_saveexec_b32 s0, s0
	s_abs_i32 s9, s2
	s_add_i32 s7, s7, s10
	s_xor_b32 exec_lo, exec_lo, s0
	s_cbranch_execz .LBB0_298
; %bb.297:
	v_mul_lo_u32 v0, v0, s63
	v_mul_lo_u32 v1, v133, s33
	s_delay_alu instid0(VALU_DEP_1) | instskip(NEXT) | instid1(VALU_DEP_1)
	v_add3_u32 v0, v1, v64, v0
	v_ashrrev_i32_e32 v1, 31, v0
	s_delay_alu instid0(VALU_DEP_1) | instskip(NEXT) | instid1(VALU_DEP_1)
	v_lshlrev_b64 v[0:1], 3, v[0:1]
	v_add_co_u32 v0, vcc_lo, s5, v0
	s_delay_alu instid0(VALU_DEP_2) | instskip(SKIP_4) | instid1(VALU_DEP_1)
	v_add_co_ci_u32_e32 v1, vcc_lo, s6, v1, vcc_lo
	global_load_b64 v[0:1], v[0:1], off
	s_waitcnt vmcnt(0)
	v_cvt_f16_f32_e32 v0, v0
	v_cvt_f16_f32_e32 v1, v1
	v_pack_b32_f16 v0, v0, v1
	v_mad_u32_u24 v1, v136, 36, v64
	s_delay_alu instid0(VALU_DEP_2) | instskip(NEXT) | instid1(VALU_DEP_2)
	v_pk_mul_f16 v0, v134, v0
	v_lshl_add_u32 v1, v1, 2, 0
	ds_store_b32 v1, v0
.LBB0_298:
	s_or_b32 exec_lo, exec_lo, s0
	v_lshrrev_b32_e32 v0, 2, v135
	s_mul_hi_u32 s7, s9, s7
	s_delay_alu instid0(VALU_DEP_1) | instskip(NEXT) | instid1(VALU_DEP_1)
	v_add_nc_u32_e32 v0, s1, v0
	v_cmp_le_i32_e32 vcc_lo, s44, v0
	s_or_b32 s0, vcc_lo, s8
	s_delay_alu instid0(SALU_CYCLE_1) | instskip(NEXT) | instid1(SALU_CYCLE_1)
	s_and_saveexec_b32 s8, s0
	s_xor_b32 s0, exec_lo, s8
	s_cbranch_execz .LBB0_300
; %bb.299:
	v_mad_u32_u24 v0, v135, 36, v64
	v_mov_b32_e32 v1, 0
                                        ; implicit-def: $vgpr133
                                        ; implicit-def: $vgpr134
                                        ; implicit-def: $vgpr135
	s_delay_alu instid0(VALU_DEP_2)
	v_lshl_add_u32 v0, v0, 2, 0
	ds_store_b32 v0, v1
                                        ; implicit-def: $vgpr0
.LBB0_300:
	s_or_saveexec_b32 s8, s0
	s_ashr_i32 s0, s2, 31
	s_xor_b32 exec_lo, exec_lo, s8
	s_cbranch_execz .LBB0_302
; %bb.301:
	v_mul_lo_u32 v0, v0, s63
	v_mul_lo_u32 v1, v133, s33
	s_delay_alu instid0(VALU_DEP_1) | instskip(NEXT) | instid1(VALU_DEP_1)
	v_add3_u32 v0, v1, v64, v0
	v_ashrrev_i32_e32 v1, 31, v0
	s_delay_alu instid0(VALU_DEP_1) | instskip(NEXT) | instid1(VALU_DEP_1)
	v_lshlrev_b64 v[0:1], 3, v[0:1]
	v_add_co_u32 v0, vcc_lo, s5, v0
	s_delay_alu instid0(VALU_DEP_2) | instskip(SKIP_4) | instid1(VALU_DEP_1)
	v_add_co_ci_u32_e32 v1, vcc_lo, s6, v1, vcc_lo
	global_load_b64 v[0:1], v[0:1], off
	s_waitcnt vmcnt(0)
	v_cvt_f16_f32_e32 v0, v0
	v_cvt_f16_f32_e32 v1, v1
	v_pack_b32_f16 v0, v0, v1
	v_mad_u32_u24 v1, v135, 36, v64
	s_delay_alu instid0(VALU_DEP_2) | instskip(NEXT) | instid1(VALU_DEP_2)
	v_pk_mul_f16 v0, v134, v0
	v_lshl_add_u32 v1, v1, 2, 0
	ds_store_b32 v1, v0
.LBB0_302:
	s_or_b32 exec_lo, exec_lo, s8
	v_and_b32_e32 v48, 0x1ff0, v130
	v_and_b32_e32 v92, 15, v64
	s_mul_i32 s5, s2, s49
	s_mul_hi_u32 s6, s2, s48
	s_mul_i32 s8, s2, s48
	s_add_i32 s5, s6, s5
	s_mul_i32 s6, s0, s48
	v_mul_u32_u24_e32 v0, 0x90, v48
	s_add_i32 s5, s5, s6
	v_mul_u32_u24_e32 v33, 0x90, v92
	s_add_u32 s6, s18, s8
	s_mul_i32 s8, s3, s81
	s_addc_u32 s5, s19, s5
	s_ashr_i32 s10, s8, 31
	s_mul_i32 s7, s7, s4
	s_add_u32 s35, s6, s8
	s_addc_u32 s36, s5, s10
	s_sub_i32 s5, s9, s7
	v_add3_u32 v28, 0, v0, v33
	s_sub_i32 s6, s5, s4
	s_cmp_ge_u32 s5, s4
	s_waitcnt lgkmcnt(0)
	s_cselect_b32 s5, s6, s5
	s_barrier
	buffer_gl0_inv
	ds_load_b128 v[8:11], v28
	ds_load_b128 v[12:15], v28 offset:16
	ds_load_b128 v[0:3], v28 offset:32
	;; [unrolled: 1-line block ×7, first 2 shown]
	s_sub_i32 s6, s5, s4
	s_cmp_ge_u32 s5, s4
	v_add_nc_u32_e32 v113, -1, v32
	s_cselect_b32 s4, s6, s5
	s_mul_i32 s3, s3, s51
	s_xor_b32 s4, s4, s0
	v_lshlrev_b32_e32 v32, 1, v64
	s_sub_i32 s4, s4, s0
	s_mul_i32 s0, s0, s54
	s_ashr_i32 s5, s4, 31
	s_mul_i32 s6, s4, s57
	s_mul_hi_u32 s7, s4, s56
	s_mul_i32 s5, s5, s56
	s_add_i32 s6, s7, s6
	s_mul_i32 s4, s4, s56
	s_add_i32 s6, s6, s5
	s_add_u32 s37, s22, s4
	s_mul_i32 s4, s2, s55
	s_mul_hi_u32 s5, s2, s54
	s_addc_u32 s38, s23, s6
	s_add_i32 s4, s5, s4
	s_mul_i32 s2, s2, s54
	v_cmp_lt_i32_e32 vcc_lo, s70, v113
	s_add_i32 s4, s4, s0
	s_add_u32 s0, s20, s2
	s_addc_u32 s2, s21, s4
	s_ashr_i32 s4, s3, 31
	s_add_u32 s39, s0, s3
	s_addc_u32 s33, s2, s4
	s_mov_b32 s0, 0
	s_and_b32 vcc_lo, exec_lo, vcc_lo
	s_mov_b32 s3, -1
	s_waitcnt lgkmcnt(0)
	s_barrier
	buffer_gl0_inv
	s_cbranch_vccnz .LBB0_306
; %bb.303:
	v_dual_mov_b32 v75, 0 :: v_dual_add_nc_u32 v34, s1, v129
	v_add_nc_u32_e32 v35, s1, v132
	v_lshrrev_b32_e32 v38, 3, v64
	s_movk_i32 s2, 0x240
	s_delay_alu instid0(VALU_DEP_3)
	v_mul_hi_u32 v36, s12, v34
	v_mad_u32_u24 v99, 0x90, v129, s2
	v_mul_hi_u32 v37, s12, v35
	v_lshl_add_u32 v38, v129, 2, v38
	s_movk_i32 s2, 0x1b00
	s_lshl_b32 s4, s46, 4
	v_lshlrev_b32_e32 v93, 4, v129
	v_lshlrev_b32_e32 v39, 2, v64
	v_dual_mov_b32 v111, 32 :: v_dual_add_nc_u32 v36, v34, v36
	v_add_nc_u32_e32 v37, v35, v37
	v_mul_lo_u32 v56, s46, v38
	v_mul_lo_u32 v66, s34, v38
	s_delay_alu instid0(VALU_DEP_4)
	v_lshrrev_b32_e32 v36, s13, v36
	v_mad_u32_u24 v103, 0x90, v38, s2
	v_lshrrev_b32_e32 v37, s13, v37
	s_lshl_b32 s2, s34, 4
	v_and_b32_e32 v102, 16, v93
	v_mul_lo_u32 v36, v36, s44
	v_add_nc_u32_e32 v58, s4, v56
	v_mul_lo_u32 v37, v37, s44
	v_add_nc_u32_e32 v68, s2, v66
	v_mbcnt_lo_u32_b32 v110, -1, 0
	v_lshrrev_b32_e32 v94, 4, v64
	v_add_nc_u32_e32 v60, s4, v58
	s_movk_i32 s3, 0x900
	v_sub_nc_u32_e32 v34, v34, v36
	v_add_nc_u32_e32 v70, s2, v68
	v_sub_nc_u32_e32 v35, v35, v37
	v_add_nc_u32_e32 v62, s4, v60
	s_movk_i32 s5, 0x1200
	v_mad_i64_i32 v[76:77], null, v34, s52, 0
	v_and_or_b32 v34, v64, 12, v48
	v_add_nc_u32_e32 v72, s2, v70
	v_mad_i64_i32 v[78:79], null, v35, s52, 0
	s_movk_i32 s2, 0x120
	s_delay_alu instid0(VALU_DEP_3)
	v_lshrrev_b32_e32 v34, 2, v34
	v_mul_u32_u24_e32 v97, 0x90, v129
	v_and_b32_e32 v74, 28, v39
	v_mul_u32_u24_e32 v98, 0x90, v38
	v_mad_u32_u24 v100, 0x90, v38, s3
	v_mul_u32_u24_e32 v105, 0x90, v34
	v_and_b32_e32 v34, 8, v130
	v_mad_u32_u24 v101, 0x90, v38, s5
	v_ashrrev_i32_e32 v57, 31, v56
	v_ashrrev_i32_e32 v59, 31, v58
	;; [unrolled: 1-line block ×4, first 2 shown]
	v_mul_u32_u24_e32 v116, 0x90, v102
	v_or_b32_e32 v104, 32, v102
	v_mad_u32_u24 v115, 0x90, v102, s5
	v_xor_b32_e32 v112, 16, v110
	v_xor_b32_e32 v65, 1, v94
	v_ashrrev_i32_e32 v67, 31, v66
	v_ashrrev_i32_e32 v69, 31, v68
	;; [unrolled: 1-line block ×4, first 2 shown]
	v_or_b32_e32 v108, 0x90, v92
	v_or_b32_e32 v107, 0x120, v92
	;; [unrolled: 1-line block ×3, first 2 shown]
	v_mul_u32_u24_e32 v109, 0x120, v34
	v_mad_u32_u24 v96, v34, s2, 0x1200
	s_ashr_i32 s19, s46, 31
	s_ashr_i32 s17, s34, 31
	s_mov_b32 s2, 0xfeffffff
	s_mov_b32 s3, 0
	s_branch .LBB0_307
.LBB0_304:
                                        ; implicit-def: $sgpr62_sgpr63
	s_load_b64 s[60:61], s[0:1], 0x74
	v_cvt_f32_u32_e32 v2, s40
	s_branch .LBB0_2
.LBB0_305:
                                        ; implicit-def: $sgpr66_sgpr67
	s_load_b64 s[12:13], s[0:1], 0x5c
	s_branch .LBB0_5
.LBB0_306:
                                        ; implicit-def: $vgpr65_vgpr66
                                        ; implicit-def: $sgpr0
                                        ; implicit-def: $sgpr2
                                        ; implicit-def: $vgpr97
                                        ; implicit-def: $vgpr76_vgpr77
                                        ; implicit-def: $vgpr99
                                        ; implicit-def: $vgpr78_vgpr79
                                        ; implicit-def: $vgpr98
                                        ; implicit-def: $vgpr74
                                        ; implicit-def: $vgpr56_vgpr57
                                        ; implicit-def: $vgpr100
                                        ; implicit-def: $vgpr58_vgpr59
                                        ; implicit-def: $vgpr101
                                        ; implicit-def: $vgpr60_vgpr61
                                        ; implicit-def: $vgpr103
                                        ; implicit-def: $vgpr62_vgpr63
                                        ; implicit-def: $vgpr93
                                        ; implicit-def: $vgpr102
                                        ; implicit-def: $vgpr116
                                        ; implicit-def: $vgpr104
                                        ; implicit-def: $vgpr115
                                        ; implicit-def: $vgpr94
                                        ; implicit-def: $vgpr105
                                        ; implicit-def: $vgpr110
                                        ; implicit-def: $vgpr112
                                        ; implicit-def: $vgpr111
                                        ; implicit-def: $vgpr68_vgpr69
                                        ; implicit-def: $vgpr70_vgpr71
                                        ; implicit-def: $vgpr72_vgpr73
                                        ; implicit-def: $vgpr108
                                        ; implicit-def: $vgpr107
                                        ; implicit-def: $vgpr106
                                        ; implicit-def: $vgpr109
                                        ; implicit-def: $vgpr96
                                        ; implicit-def: $sgpr18_sgpr19
                                        ; implicit-def: $sgpr16_sgpr17
                                        ; implicit-def: $vgpr66_vgpr67
.LBB0_307:
	v_dual_mov_b32 v39, s0 :: v_dual_mov_b32 v80, s2
	v_dual_mov_b32 v81, s0 :: v_dual_add_nc_u32 v114, 0, v33
	v_dual_mov_b32 v38, s0 :: v_dual_lshlrev_b32 v117, 1, v32
	v_dual_mov_b32 v36, s0 :: v_dual_lshlrev_b32 v95, 2, v92
	v_dual_mov_b32 v37, s0 :: v_dual_mov_b32 v34, s0
	v_dual_mov_b32 v35, s0 :: v_dual_mov_b32 v32, s0
	;; [unrolled: 1-line block ×6, first 2 shown]
	v_mov_b32_e32 v41, s0
	s_and_not1_b32 vcc_lo, exec_lo, s3
	s_cbranch_vccnz .LBB0_310
; %bb.308:
	v_dual_mov_b32 v75, 0 :: v_dual_add_nc_u32 v32, s1, v129
	v_dual_mov_b32 v80, 0xfeffffff :: v_dual_add_nc_u32 v33, s1, v132
	v_lshrrev_b32_e32 v37, 3, v64
	s_delay_alu instid0(VALU_DEP_3) | instskip(SKIP_1) | instid1(VALU_DEP_3)
	v_mul_hi_u32 v34, s12, v32
	s_lshl_b32 s1, s46, 4
	v_mul_hi_u32 v36, s12, v33
	v_dual_mov_b32 v44, v75 :: v_dual_lshlrev_b32 v93, 4, v129
	v_lshl_add_u32 v37, v129, 2, v37
	v_mbcnt_lo_u32_b32 v110, -1, 0
	v_add_co_u32 v118, s0, s37, v117
	v_dual_mov_b32 v111, 32 :: v_dual_add_nc_u32 v34, v32, v34
	v_dual_mov_b32 v81, v75 :: v_dual_add_nc_u32 v36, v33, v36
	v_mul_lo_u32 v56, s46, v37
	s_delay_alu instid0(VALU_DEP_3) | instskip(SKIP_1) | instid1(VALU_DEP_4)
	v_lshrrev_b32_e32 v34, s13, v34
	v_mul_lo_u32 v66, s34, v37
	v_lshrrev_b32_e32 v36, s13, v36
	v_mov_b32_e32 v45, v75
	v_add_co_ci_u32_e64 v119, null, s38, 0, s0
	v_mul_lo_u32 v34, v34, s44
	s_delay_alu instid0(VALU_DEP_4) | instskip(SKIP_4) | instid1(VALU_DEP_3)
	v_mul_lo_u32 v36, v36, s44
	v_add_nc_u32_e32 v58, s1, v56
	s_movk_i32 s0, 0x240
	v_dual_mov_b32 v41, v75 :: v_dual_lshlrev_b32 v38, 2, v64
	v_and_b32_e32 v102, 16, v93
	v_dual_mov_b32 v47, v75 :: v_dual_add_nc_u32 v60, s1, v58
	v_sub_nc_u32_e32 v32, v32, v34
	v_sub_nc_u32_e32 v33, v33, v36
	v_lshrrev_b32_e32 v94, 4, v64
	v_xor_b32_e32 v112, 16, v110
	v_mad_u32_u24 v99, 0x90, v129, s0
	v_mad_i64_i32 v[76:77], null, v32, s52, 0
	v_and_or_b32 v32, v64, 12, v48
	s_movk_i32 s0, 0x900
	s_movk_i32 s2, 0x1b00
	v_mad_u32_u24 v100, 0x90, v37, s0
	s_movk_i32 s0, 0x1200
	v_lshrrev_b32_e32 v32, 2, v32
	v_add_nc_u32_e32 v62, s1, v60
	s_lshl_b32 s1, s34, 4
	v_mul_u32_u24_e32 v98, 0x90, v37
	v_mad_i64_i32 v[78:79], null, v33, s52, 0
	v_mad_u32_u24 v101, 0x90, v37, s0
	v_mad_u32_u24 v103, 0x90, v37, s2
	v_mad_u32_u24 v33, 0x90, v32, 0
	v_dual_mov_b32 v39, v75 :: v_dual_lshlrev_b32 v34, 1, v94
	v_add_nc_u32_e32 v68, s1, v66
	v_cmp_gt_i32_e32 vcc_lo, 32, v112
	v_and_b32_e32 v74, 28, v38
	v_mul_u32_u24_e32 v105, 0x90, v32
	v_dual_mov_b32 v37, v75 :: v_dual_and_b32 v32, 8, v130
	v_lshlrev_b32_e32 v36, 1, v102
	v_dual_mov_b32 v40, v75 :: v_dual_add_nc_u32 v35, 0, v117
	v_mul_u32_u24_e32 v97, 0x90, v129
	v_add_nc_u32_e32 v70, s1, v68
	s_delay_alu instid0(VALU_DEP_4)
	v_add3_u32 v124, v33, v34, v36
	v_dual_cndmask_b32 v33, v110, v112 :: v_dual_lshlrev_b32 v38, 2, v74
	v_mov_b32_e32 v43, v75
	v_mul_u32_u24_e32 v109, 0x120, v32
	v_mad_u32_u24 v115, 0x90, v102, s0
	s_movk_i32 s0, 0x120
	v_add3_u32 v120, 0, v98, v38
	v_mul_u32_u24_e32 v116, 0x90, v102
	v_lshlrev_b32_e32 v126, 2, v33
	v_add_nc_u32_e32 v72, s1, v70
	v_add3_u32 v127, 0, v109, v95
	v_add3_u32 v33, 0, 64, v109
	v_mad_u32_u24 v96, v32, s0, 0x1200
	v_add_nc_u32_e32 v32, v35, v97
	v_ashrrev_i32_e32 v57, 31, v56
	v_dual_mov_b32 v42, v75 :: v_dual_add_nc_u32 v121, 0x900, v120
	v_ashrrev_i32_e32 v59, 31, v58
	v_add_nc_u32_e32 v122, 0x1200, v120
	v_ashrrev_i32_e32 v61, 31, v60
	v_dual_mov_b32 v46, v75 :: v_dual_add_nc_u32 v123, 0x1b00, v120
	v_or_b32_e32 v104, 32, v102
	v_add_nc_u32_e32 v125, 0x2400, v124
	v_xor_b32_e32 v65, 1, v94
	v_ashrrev_i32_e32 v67, 31, v66
	v_ashrrev_i32_e32 v69, 31, v68
	;; [unrolled: 1-line block ×4, first 2 shown]
	v_or_b32_e32 v108, 0x90, v92
	v_or_b32_e32 v107, 0x120, v92
	;; [unrolled: 1-line block ×3, first 2 shown]
	v_add_nc_u32_e32 v128, 0x1200, v127
	v_add_nc_u32_e32 v132, 64, v127
	v_add3_u32 v133, v33, v95, 0x1200
	v_lshlrev_b32_e32 v134, 2, v74
	v_dual_mov_b32 v34, v75 :: v_dual_add_nc_u32 v135, v114, v116
	v_add_nc_u32_e32 v136, 0x2400, v32
	v_mov_b32_e32 v32, v75
	v_mov_b32_e32 v33, v75
	;; [unrolled: 1-line block ×3, first 2 shown]
	v_ashrrev_i32_e32 v63, 31, v62
	v_mov_b32_e32 v36, v75
	v_mov_b32_e32 v38, v75
	s_mov_b32 s20, 0
	s_ashr_i32 s19, s46, 31
	s_ashr_i32 s17, s34, 31
	s_lshl_b32 s28, s70, 6
	s_mov_b32 s21, s20
	s_mov_b32 s22, s20
	;; [unrolled: 1-line block ×7, first 2 shown]
.LBB0_309:                              ; =>This Inner Loop Header: Depth=1
	s_ashr_i32 s29, s28, 31
	s_mul_hi_i32 s1, s28, s46
	s_mul_i32 s0, s28, s46
	v_lshlrev_b64 v[86:87], 2, v[58:59]
	v_lshlrev_b64 v[88:89], 2, v[60:61]
	;; [unrolled: 1-line block ×3, first 2 shown]
	s_lshl_b64 s[4:5], s[28:29], 1
	s_lshl_b64 s[0:1], s[0:1], 2
	v_dual_mov_b32 v138, v80 :: v_dual_mov_b32 v137, v81
	v_lshlrev_b64 v[80:81], 1, v[76:77]
	v_add_co_u32 v160, vcc_lo, v118, s4
	v_lshlrev_b64 v[84:85], 2, v[56:57]
	s_add_u32 s6, s35, s0
	v_add_co_ci_u32_e32 v161, vcc_lo, s5, v119, vcc_lo
	v_lshlrev_b64 v[82:83], 1, v[78:79]
	s_addc_u32 s7, s36, s1
	v_add_co_u32 v86, vcc_lo, s6, v86
	v_add_co_u32 v88, s0, s6, v88
	v_add_co_u32 v90, s1, s6, v90
	s_mul_hi_i32 s3, s28, s34
	s_mul_i32 s2, s28, s34
	v_add_co_ci_u32_e32 v163, vcc_lo, s7, v87, vcc_lo
	v_add_co_ci_u32_e64 v89, vcc_lo, s7, v89, s0
	v_add_co_ci_u32_e64 v91, vcc_lo, s7, v91, s1
	v_lshlrev_b64 v[152:153], 2, v[66:67]
	v_lshlrev_b64 v[154:155], 2, v[68:69]
	;; [unrolled: 1-line block ×4, first 2 shown]
	v_add_co_u32 v80, vcc_lo, v160, v80
	s_lshl_b64 s[4:5], s[2:3], 2
	v_add_co_u32 v162, s2, s6, v84
	v_add_co_ci_u32_e32 v81, vcc_lo, v161, v81, vcc_lo
	v_add_co_ci_u32_e64 v85, s2, s7, v85, s2
	v_add_co_u32 v82, vcc_lo, v160, v82
	s_add_u32 s2, s39, s4
	v_add_co_ci_u32_e32 v83, vcc_lo, v161, v83, vcc_lo
	s_addc_u32 s3, s33, s5
	v_add_co_u32 v154, vcc_lo, s2, v154
	v_add_co_u32 v156, s0, s2, v156
	v_add_co_u32 v158, s1, s2, v158
	;; [unrolled: 1-line block ×3, first 2 shown]
	s_delay_alu instid0(VALU_DEP_1)
	v_add_co_ci_u32_e64 v161, s2, s3, v153, s2
	v_add_co_ci_u32_e32 v155, vcc_lo, s3, v155, vcc_lo
	v_add_co_ci_u32_e64 v157, vcc_lo, s3, v157, s0
	v_add_co_ci_u32_e64 v159, vcc_lo, s3, v159, s1
	v_add_co_u32 v84, vcc_lo, v86, v134
	v_add_co_u32 v86, s2, v162, v134
	v_add_co_u32 v88, s0, v88, v134
	;; [unrolled: 1-line block ×3, first 2 shown]
	v_add_co_ci_u32_e64 v87, s2, 0, v85, s2
	v_add_co_ci_u32_e32 v85, vcc_lo, 0, v163, vcc_lo
	v_add_co_ci_u32_e64 v89, vcc_lo, 0, v89, s0
	v_add_co_ci_u32_e64 v153, vcc_lo, 0, v91, s1
	v_add_co_u32 v208, vcc_lo, v154, v134
	s_clause 0x1
	global_load_b32 v162, v[80:81], off
	global_load_b32 v163, v[82:83], off
	v_add_co_ci_u32_e32 v209, vcc_lo, 0, v155, vcc_lo
	s_clause 0x3
	global_load_b128 v[80:83], v[86:87], off
	global_load_b128 v[84:87], v[84:85], off
	global_load_b128 v[88:91], v[88:89], off
	global_load_b128 v[152:155], v[152:153], off
	v_add_co_u32 v210, s0, v156, v134
	v_add_co_u32 v212, s1, v158, v134
	;; [unrolled: 1-line block ×3, first 2 shown]
	s_delay_alu instid0(VALU_DEP_1)
	v_add_co_ci_u32_e64 v215, s2, 0, v161, s2
	v_add_co_ci_u32_e64 v211, vcc_lo, 0, v157, s0
	v_add_co_ci_u32_e64 v213, vcc_lo, 0, v159, s1
	v_dual_mov_b32 v55, s27 :: v_dual_mov_b32 v54, s26
	v_dual_mov_b32 v53, s25 :: v_dual_mov_b32 v52, s24
	;; [unrolled: 1-line block ×4, first 2 shown]
	s_add_i32 s70, s70, 1
	s_add_i32 s28, s28, 64
	s_waitcnt vmcnt(4)
	ds_store_2addr_b32 v136, v162, v163 offset1:144
	s_waitcnt vmcnt(3)
	ds_store_b128 v120, v[80:83]
	s_waitcnt vmcnt(2)
	ds_store_b128 v121, v[84:87]
	;; [unrolled: 2-line block ×4, first 2 shown]
	s_waitcnt lgkmcnt(0)
	s_barrier
	buffer_gl0_inv
	ds_load_b128 v[80:83], v135
	ds_load_b128 v[84:87], v135 offset:16
	ds_load_b128 v[152:155], v135 offset:32
	;; [unrolled: 1-line block ×15, first 2 shown]
	s_waitcnt lgkmcnt(0)
	s_barrier
	buffer_gl0_inv
	ds_load_u16 v88, v124 offset:9216
	ds_load_u16 v89, v124 offset:9220
	;; [unrolled: 1-line block ×16, first 2 shown]
	s_clause 0x3
	global_load_b128 v[216:219], v[214:215], off
	global_load_b128 v[220:223], v[208:209], off
	;; [unrolled: 1-line block ×4, first 2 shown]
	v_wmma_f32_16x16x16_f16 v[208:215], v[80:87], v[8:15], v[48:55]
	s_waitcnt vmcnt(3)
	ds_store_b128 v120, v[216:219]
	s_waitcnt vmcnt(2)
	ds_store_b128 v121, v[220:223]
	;; [unrolled: 2-line block ×4, first 2 shown]
	v_wmma_f32_16x16x16_f16 v[80:87], v[176:183], v[8:15], v[48:55]
	v_wmma_f32_16x16x16_f16 v[208:215], v[152:159], v[0:7], v[208:215]
	s_waitcnt lgkmcnt(19)
	v_cvt_f32_f16_e32 v48, v88
	s_waitcnt lgkmcnt(18)
	v_cvt_f32_f16_e32 v49, v89
	v_wmma_f32_16x16x16_f16 v[80:87], v[184:191], v[0:7], v[80:87]
	s_waitcnt lgkmcnt(17)
	v_cvt_f32_f16_e32 v50, v90
	v_wmma_f32_16x16x16_f16 v[208:215], v[160:167], v[16:23], v[208:215]
	s_waitcnt lgkmcnt(16)
	v_cvt_f32_f16_e32 v51, v91
	s_waitcnt lgkmcnt(11)
	v_cvt_f32_f16_e64 v88, v236
	v_wmma_f32_16x16x16_f16 v[80:87], v[192:199], v[16:23], v[80:87]
	s_waitcnt lgkmcnt(10)
	v_cvt_f32_f16_e64 v89, v237
	v_wmma_f32_16x16x16_f16 v[208:215], v[168:175], v[24:31], v[208:215]
	v_add_nc_u32_e32 v139, 0x400, v127
	v_add_nc_u32_e32 v140, 0x800, v127
	s_waitcnt lgkmcnt(4)
	v_cvt_f32_f16_e64 v179, v243
	v_wmma_f32_16x16x16_f16 v[80:87], v[200:207], v[24:31], v[80:87]
	v_dual_add_f32 v49, v209, v49 :: v_dual_add_f32 v48, v208, v48
	v_dual_add_f32 v50, v210, v50 :: v_dual_add_nc_u32 v141, 0x1000, v127
	s_delay_alu instid0(VALU_DEP_3)
	v_dual_add_f32 v81, v81, v89 :: v_dual_add_nc_u32 v144, 0x1600, v127
	v_dual_add_f32 v51, v211, v51 :: v_dual_add_nc_u32 v146, 0x200, v132
	;; [unrolled: 1-line block ×3, first 2 shown]
	v_cvt_f32_f16_e64 v52, v232
	v_cvt_f32_f16_e64 v53, v233
	;; [unrolled: 1-line block ×4, first 2 shown]
	v_dual_add_f32 v87, v87, v179 :: v_dual_add_f32 v80, 0x40051340, v48
	v_add_f32_e32 v89, 0x40051340, v49
	v_dual_add_f32 v53, v213, v53 :: v_dual_add_nc_u32 v142, 0x1400, v127
	v_dual_add_f32 v52, v212, v52 :: v_dual_add_nc_u32 v145, 0x1800, v127
	;; [unrolled: 1-line block ×4, first 2 shown]
	v_cvt_f32_f16_e64 v54, v234
	v_cvt_f32_f16_e64 v55, v235
	v_dual_add_f32 v90, 0x40051340, v50 :: v_dual_add_f32 v91, 0x40051340, v51
	v_add_f32_e32 v152, 0x40051340, v52
	v_max3_f32 v80, v138, v80, v89
	v_dual_add_f32 v54, v214, v54 :: v_dual_add_nc_u32 v143, 0x200, v128
	v_dual_add_f32 v55, v215, v55 :: v_dual_add_nc_u32 v148, 0x1400, v132
	v_add_f32_e32 v153, 0x40051340, v53
	s_delay_alu instid0(VALU_DEP_4) | instskip(NEXT) | instid1(VALU_DEP_4)
	v_max3_f32 v80, v80, v90, v91
	v_add_f32_e32 v154, 0x40051340, v54
	v_cvt_f32_f16_e64 v176, v240
	v_dual_add_f32 v155, 0x40051340, v55 :: v_dual_add_f32 v156, 0x40051340, v88
	s_delay_alu instid0(VALU_DEP_4) | instskip(SKIP_3) | instid1(VALU_DEP_4)
	v_max3_f32 v80, v80, v152, v153
	v_cvt_f32_f16_e64 v177, v241
	v_dual_add_f32 v157, 0x40051340, v81 :: v_dual_add_f32 v158, 0x40051340, v82
	v_cvt_f32_f16_e64 v178, v242
	v_max3_f32 v80, v80, v154, v155
	s_delay_alu instid0(VALU_DEP_4) | instskip(SKIP_1) | instid1(VALU_DEP_4)
	v_dual_add_f32 v84, v84, v176 :: v_dual_add_f32 v85, v85, v177
	v_add_f32_e32 v159, 0x40051340, v83
	v_dual_add_f32 v86, v86, v178 :: v_dual_add_nc_u32 v151, 0x1800, v132
	s_delay_alu instid0(VALU_DEP_4) | instskip(NEXT) | instid1(VALU_DEP_4)
	v_max3_f32 v80, v80, v156, v157
	v_dual_add_f32 v160, 0x40051340, v84 :: v_dual_add_f32 v161, 0x40051340, v85
	s_delay_alu instid0(VALU_DEP_3) | instskip(NEXT) | instid1(VALU_DEP_3)
	v_dual_add_f32 v163, 0x40051340, v87 :: v_dual_add_f32 v162, 0x40051340, v86
	v_max3_f32 v80, v80, v158, v159
	s_waitcnt lgkmcnt(0)
	s_barrier
	buffer_gl0_inv
	v_max3_f32 v80, v80, v160, v161
	s_delay_alu instid0(VALU_DEP_1) | instskip(SKIP_3) | instid1(VALU_DEP_1)
	v_max3_f32 v80, v80, v162, v163
	ds_bpermute_b32 v89, v126, v80
	s_waitcnt lgkmcnt(0)
	v_max_f32_e32 v89, v89, v89
	v_max_f32_e32 v80, v80, v89
	s_delay_alu instid0(VALU_DEP_1)
	v_sub_f32_e32 v48, v48, v80
	v_sub_f32_e32 v50, v50, v80
	v_sub_f32_e32 v49, v49, v80
	v_sub_f32_e32 v53, v53, v80
	v_sub_f32_e32 v51, v51, v80
	v_mul_f32_e32 v90, 0x3fb8aa3b, v48
	v_sub_f32_e32 v81, v81, v80
	s_delay_alu instid0(VALU_DEP_4) | instskip(NEXT) | instid1(VALU_DEP_4)
	v_dual_sub_f32 v55, v55, v80 :: v_dual_mul_f32 v154, 0x3fb8aa3b, v53
	v_mul_f32_e32 v152, 0x3fb8aa3b, v51
	s_delay_alu instid0(VALU_DEP_4) | instskip(NEXT) | instid1(VALU_DEP_4)
	v_rndne_f32_e32 v167, v90
	v_dual_mul_f32 v158, 0x3fb8aa3b, v81 :: v_dual_sub_f32 v87, v87, v80
	v_fma_f32 v166, 0x3fb8aa3b, v48, -v90
	v_rndne_f32_e32 v177, v154
	s_delay_alu instid0(VALU_DEP_4) | instskip(NEXT) | instid1(VALU_DEP_4)
	v_sub_f32_e32 v90, v90, v167
	v_dual_sub_f32 v89, v138, v80 :: v_dual_mul_f32 v164, 0x3fb8aa3b, v87
	v_dual_mul_f32 v138, 0x3fb8aa3b, v50 :: v_dual_mul_f32 v91, 0x3fb8aa3b, v49
	s_delay_alu instid0(VALU_DEP_2) | instskip(SKIP_1) | instid1(VALU_DEP_3)
	v_dual_sub_f32 v82, v82, v80 :: v_dual_mul_f32 v165, 0x3fb8aa3b, v89
	v_sub_f32_e32 v54, v54, v80
	v_fma_f32 v170, 0x3fb8aa3b, v50, -v138
	s_delay_alu instid0(VALU_DEP_4) | instskip(NEXT) | instid1(VALU_DEP_4)
	v_rndne_f32_e32 v169, v91
	v_dual_mul_f32 v159, 0x3fb8aa3b, v82 :: v_dual_sub_f32 v84, v84, v80
	s_delay_alu instid0(VALU_DEP_4)
	v_dual_sub_f32 v52, v52, v80 :: v_dual_mul_f32 v155, 0x3fb8aa3b, v54
	v_fma_f32 v168, 0x3fb8aa3b, v49, -v91
	v_rndne_f32_e32 v171, v138
	v_sub_f32_e32 v91, v91, v169
	v_mul_f32_e32 v161, 0x3fb8aa3b, v84
	v_mul_f32_e32 v153, 0x3fb8aa3b, v52
	v_fma_f32 v172, 0x3fb8aa3b, v51, -v152
	v_sub_f32_e32 v138, v138, v171
	v_fma_f32 v176, 0x3fb8aa3b, v53, -v154
	v_rndne_f32_e32 v187, v159
	v_fmac_f32_e32 v168, 0x32a5705f, v49
	v_sub_f32_e32 v154, v154, v177
	v_rndne_f32_e32 v191, v161
	v_fmac_f32_e32 v170, 0x32a5705f, v50
	v_fma_f32 v186, 0x3fb8aa3b, v82, -v159
	v_fma_f32 v190, 0x3fb8aa3b, v84, -v161
	v_sub_f32_e32 v159, v159, v187
	v_sub_f32_e32 v161, v161, v191
	v_dual_fmac_f32 v172, 0x32a5705f, v51 :: v_dual_add_f32 v91, v91, v168
	v_add_f32_e32 v138, v138, v170
	v_rndne_f32_e32 v175, v153
	v_sub_f32_e32 v86, v86, v80
	v_fma_f32 v174, 0x3fb8aa3b, v52, -v153
	v_exp_f32_e32 v91, v91
	v_exp_f32_e32 v138, v138
	v_dual_sub_f32 v153, v153, v175 :: v_dual_sub_f32 v88, v88, v80
	v_mul_f32_e32 v163, 0x3fb8aa3b, v86
	v_cvt_i32_f32_e32 v169, v169
	v_cvt_i32_f32_e32 v171, v171
	v_mul_f32_e32 v156, 0x3fb8aa3b, v55
	v_rndne_f32_e32 v173, v152
	v_mul_f32_e32 v157, 0x3fb8aa3b, v88
	v_fma_f32 v178, 0x3fb8aa3b, v54, -v155
	v_ldexp_f32 v91, v91, v169
	v_cmp_ngt_f32_e32 vcc_lo, 0xc2ce8ed0, v49
	v_sub_f32_e32 v152, v152, v173
	v_ldexp_f32 v138, v138, v171
	v_cmp_ngt_f32_e64 s0, 0xc2ce8ed0, v50
	v_rndne_f32_e32 v179, v155
	v_fma_f32 v180, 0x3fb8aa3b, v55, -v156
	v_rndne_f32_e32 v181, v156
	v_fma_f32 v182, 0x3fb8aa3b, v88, -v157
	v_rndne_f32_e32 v183, v157
	v_rndne_f32_e32 v195, v163
	v_dual_fmac_f32 v178, 0x32a5705f, v54 :: v_dual_cndmask_b32 v91, 0, v91
	v_cmp_nlt_f32_e32 vcc_lo, 0x42b17218, v49
	v_cndmask_b32_e64 v49, 0, v138, s0
	v_cmp_nlt_f32_e64 s0, 0x42b17218, v50
	v_fma_f32 v184, 0x3fb8aa3b, v81, -v158
	v_fma_f32 v194, 0x3fb8aa3b, v86, -v163
	v_rndne_f32_e32 v199, v165
	v_dual_fmac_f32 v166, 0x32a5705f, v48 :: v_dual_sub_f32 v157, v157, v183
	v_dual_fmac_f32 v174, 0x32a5705f, v52 :: v_dual_sub_f32 v163, v163, v195
	;; [unrolled: 1-line block ×3, first 2 shown]
	s_delay_alu instid0(VALU_DEP_2) | instskip(SKIP_2) | instid1(VALU_DEP_4)
	v_dual_fmac_f32 v180, 0x32a5705f, v55 :: v_dual_add_f32 v153, v153, v174
	v_sub_f32_e32 v156, v156, v181
	v_cndmask_b32_e64 v49, 0x7f800000, v49, s0
	v_add_f32_e32 v155, v155, v178
	v_fmac_f32_e32 v186, 0x32a5705f, v82
	v_fmac_f32_e32 v182, 0x32a5705f, v88
	v_fma_f32 v198, 0x3fb8aa3b, v89, -v165
	v_dual_sub_f32 v165, v165, v199 :: v_dual_add_f32 v152, v152, v172
	v_add_f32_e32 v154, v154, v176
	v_dual_add_f32 v156, v156, v180 :: v_dual_add_f32 v159, v159, v186
	v_dual_fmac_f32 v184, 0x32a5705f, v81 :: v_dual_add_f32 v157, v157, v182
	s_delay_alu instid0(VALU_DEP_4)
	v_exp_f32_e32 v152, v152
	v_exp_f32_e32 v153, v153
	;; [unrolled: 1-line block ×6, first 2 shown]
	v_cvt_i32_f32_e32 v173, v173
	v_cvt_i32_f32_e32 v175, v175
	;; [unrolled: 1-line block ×6, first 2 shown]
	v_ldexp_f32 v152, v152, v173
	v_cmp_ngt_f32_e64 s1, 0xc2ce8ed0, v51
	v_ldexp_f32 v153, v153, v175
	v_cmp_ngt_f32_e64 s2, 0xc2ce8ed0, v52
	;; [unrolled: 2-line block ×6, first 2 shown]
	v_cndmask_b32_e64 v50, 0, v152, s1
	v_cmp_nlt_f32_e64 s1, 0x42b17218, v51
	v_cndmask_b32_e64 v51, 0, v153, s2
	v_cmp_nlt_f32_e64 s2, 0x42b17218, v52
	;; [unrolled: 2-line block ×6, first 2 shown]
	v_sub_f32_e32 v85, v85, v80
	v_sub_f32_e32 v83, v83, v80
	v_cvt_i32_f32_e32 v167, v167
	v_cmp_ngt_f32_e64 s16, 0xc2ce8ed0, v48
	v_cndmask_b32_e64 v55, 0x7f800000, v55, s6
	v_mul_f32_e32 v162, 0x3fb8aa3b, v85
	v_add_f32_e32 v90, v90, v166
	v_mul_f32_e32 v160, 0x3fb8aa3b, v83
	v_rndne_f32_e32 v185, v158
	v_cndmask_b32_e64 v50, 0x7f800000, v50, s1
	v_fmac_f32_e32 v194, 0x32a5705f, v86
	v_exp_f32_e32 v90, v90
	v_fma_f32 v188, 0x3fb8aa3b, v83, -v160
	v_rndne_f32_e32 v189, v160
	v_cndmask_b32_e64 v52, 0x7f800000, v52, s3
	v_dual_fmac_f32 v198, 0x32a5705f, v89 :: v_dual_add_f32 v163, v163, v194
	s_delay_alu instid0(VALU_DEP_4) | instskip(NEXT) | instid1(VALU_DEP_4)
	v_fmac_f32_e32 v188, 0x32a5705f, v83
	v_sub_f32_e32 v160, v160, v189
	v_exp_f32_e32 v159, v159
	s_delay_alu instid0(VALU_DEP_3) | instskip(NEXT) | instid1(TRANS32_DEP_2)
	v_add_f32_e32 v165, v165, v198
	v_ldexp_f32 v90, v90, v167
	v_cvt_i32_f32_e32 v187, v187
	v_add_f32_e32 v160, v160, v188
	v_cvt_i32_f32_e32 v189, v189
	v_cvt_i32_f32_e32 v191, v191
	v_cndmask_b32_e64 v90, 0, v90, s16
	v_cmp_nlt_f32_e64 s16, 0x42b17218, v48
	v_exp_f32_e32 v160, v160
	v_cmp_ngt_f32_e64 s7, 0xc2ce8ed0, v81
	v_ldexp_f32 v159, v159, v187
	v_cmp_ngt_f32_e64 s8, 0xc2ce8ed0, v82
	v_cndmask_b32_e64 v48, 0x7f800000, v90, s16
	v_cndmask_b32_e32 v90, 0x7f800000, v91, vcc_lo
	v_fmac_f32_e32 v190, 0x32a5705f, v84
	v_sub_f32_e32 v158, v158, v185
	v_cvt_i32_f32_e32 v185, v185
	v_cmp_ngt_f32_e64 s9, 0xc2ce8ed0, v83
	v_ldexp_f32 v160, v160, v189
	s_delay_alu instid0(VALU_DEP_4) | instskip(SKIP_3) | instid1(VALU_DEP_4)
	v_dual_add_f32 v161, v161, v190 :: v_dual_add_f32 v158, v158, v184
	v_cmp_ngt_f32_e64 s10, 0xc2ce8ed0, v84
	v_rndne_f32_e32 v193, v162
	v_cndmask_b32_e64 v51, 0x7f800000, v51, s2
	v_exp_f32_e32 v161, v161
	v_exp_f32_e32 v158, v158
	v_fma_f32 v192, 0x3fb8aa3b, v85, -v162
	v_fma_f32 v196, 0x3fb8aa3b, v87, -v164
	v_rndne_f32_e32 v197, v164
	v_cndmask_b32_e64 v53, 0x7f800000, v53, s4
	v_cmp_le_f32_e32 vcc_lo, 0xc1a00000, v89
	v_fmac_f32_e32 v192, 0x32a5705f, v85
	ds_bpermute_b32 v157, v126, v55
	v_fmac_f32_e32 v196, 0x32a5705f, v87
	v_ldexp_f32 v161, v161, v191
	v_ldexp_f32 v158, v158, v185
	v_exp_f32_e32 v163, v163
	v_exp_f32_e32 v165, v165
	v_cvt_i32_f32_e32 v195, v195
	v_cvt_i32_f32_e32 v199, v199
	v_cndmask_b32_e64 v88, 0, v158, s7
	v_cmp_nlt_f32_e64 s7, 0x42b17218, v81
	v_cndmask_b32_e64 v81, 0, v159, s8
	v_cmp_nlt_f32_e64 s8, 0x42b17218, v82
	;; [unrolled: 2-line block ×4, first 2 shown]
	v_cmp_ngt_f32_e64 s11, 0xc2ce8ed0, v85
	v_ldexp_f32 v163, v163, v195
	v_cmp_ngt_f32_e64 s12, 0xc2ce8ed0, v86
	v_cmp_ngt_f32_e64 s13, 0xc2ce8ed0, v87
	v_cndmask_b32_e64 v138, 0x7f800000, v83, s10
	v_add_f32_e32 v83, v48, v90
	v_ldexp_f32 v165, v165, v199
	v_cmp_ngt_f32_e64 s14, 0xc2ce8ed0, v89
	v_cndmask_b32_e64 v91, 0x7f800000, v82, s9
	v_cndmask_b32_e64 v88, 0x7f800000, v88, s7
	v_add_f32_e32 v83, v49, v83
	v_cndmask_b32_e64 v81, 0x7f800000, v81, s8
	v_cmp_eq_u32_e64 s0, 1, v65
	v_cmp_eq_u32_e64 s1, 1, v94
	ds_bpermute_b32 v158, v126, v88
	v_add_f32_e32 v83, v50, v83
	v_sub_f32_e32 v162, v162, v193
	v_cvt_i32_f32_e32 v193, v193
	ds_bpermute_b32 v159, v126, v81
	v_cmp_eq_u32_e64 s2, 0, v94
	v_dual_add_f32 v83, v51, v83 :: v_dual_add_f32 v162, v162, v192
	v_cndmask_b32_e64 v54, 0x7f800000, v54, s5
	ds_bpermute_b32 v154, v126, v52
	ds_bpermute_b32 v160, v126, v91
	v_add_f32_e32 v83, v52, v83
	v_sub_f32_e32 v164, v164, v197
	v_exp_f32_e32 v162, v162
	v_cvt_i32_f32_e32 v197, v197
	ds_bpermute_b32 v155, v126, v53
	v_dual_add_f32 v83, v53, v83 :: v_dual_add_f32 v164, v164, v196
	ds_bpermute_b32 v156, v126, v54
	ds_bpermute_b32 v161, v126, v138
	v_add_f32_e32 v83, v54, v83
	v_exp_f32_e32 v164, v164
	v_ldexp_f32 v162, v162, v193
	s_delay_alu instid0(VALU_DEP_1)
	v_cndmask_b32_e64 v84, 0, v162, s11
	v_cmp_nlt_f32_e64 s11, 0x42b17218, v85
	v_cndmask_b32_e64 v85, 0, v163, s12
	v_cmp_nlt_f32_e64 s12, 0x42b17218, v86
	s_waitcnt_depctr 0xfff
	v_ldexp_f32 v164, v164, v197
	v_cndmask_b32_e64 v152, 0x7f800000, v84, s11
	ds_bpermute_b32 v84, v126, v90
	v_cndmask_b32_e64 v86, 0, v164, s13
	v_cmp_nlt_f32_e64 s13, 0x42b17218, v87
	v_cndmask_b32_e64 v87, 0, v165, s14
	v_cmp_nlt_f32_e64 s14, 0x42b17218, v89
	ds_bpermute_b32 v89, v126, v51
	ds_bpermute_b32 v162, v126, v152
	v_cndmask_b32_e64 v153, 0x7f800000, v86, s13
	ds_bpermute_b32 v86, v126, v50
	v_cndmask_b32_e64 v82, 0x7f800000, v87, s14
	v_cndmask_b32_e64 v87, 0x7f800000, v85, s12
	ds_bpermute_b32 v85, v126, v49
	ds_bpermute_b32 v164, v126, v153
	v_cndmask_b32_e32 v211, 0, v82, vcc_lo
	ds_bpermute_b32 v82, v126, v48
	v_cmp_eq_u32_e32 vcc_lo, 0, v65
	ds_bpermute_b32 v163, v126, v87
	v_cvt_f16_f32_e64 v165, v211
	s_delay_alu instid0(VALU_DEP_1)
	v_pk_mul_f16 v40, v165, v40 op_sel_hi:[0,1]
	v_pk_mul_f16 v41, v165, v41 op_sel_hi:[0,1]
	;; [unrolled: 1-line block ×16, first 2 shown]
	s_waitcnt lgkmcnt(1)
	v_cndmask_b32_e64 v165, v48, v82, s0
	v_cndmask_b32_e32 v48, v48, v82, vcc_lo
	v_cndmask_b32_e64 v82, v55, v157, s0
	v_cndmask_b32_e32 v157, v55, v157, vcc_lo
	v_add_f32_e32 v55, v55, v83
	v_cvt_f16_f32_e64 v167, v165
	v_cndmask_b32_e64 v168, v48, v90, s2
	v_cndmask_b32_e64 v90, v165, v90, s1
	v_cvt_f16_f32_e64 v165, v157
	v_cvt_f16_f32_e64 v169, v82
	v_cndmask_b32_e64 v157, v157, v88, s2
	v_cndmask_b32_e64 v170, v82, v88, s1
	v_cvt_f16_f32_e64 v166, v48
	v_cndmask_b32_e64 v90, v90, v84, s0
	v_cndmask_b32_e32 v84, v168, v84, vcc_lo
	v_pack_b32_f16 v82, v165, v169
	v_cndmask_b32_e64 v165, v170, v158, s0
	v_cndmask_b32_e32 v157, v157, v158, vcc_lo
	v_pack_b32_f16 v48, v166, v167
	v_cvt_f16_f32_e32 v83, v84
	v_cvt_f16_f32_e64 v158, v90
	v_cndmask_b32_e64 v84, v84, v49, s2
	v_cndmask_b32_e64 v90, v90, v49, s1
	v_cvt_f16_f32_e64 v166, v157
	v_cvt_f16_f32_e64 v167, v165
	v_cndmask_b32_e64 v157, v157, v81, s2
	v_cndmask_b32_e64 v165, v165, v81, s1
	v_add_f32_e32 v55, v88, v55
	v_cndmask_b32_e64 v88, v90, v85, s0
	v_cndmask_b32_e32 v84, v84, v85, vcc_lo
	v_cndmask_b32_e32 v90, v157, v159, vcc_lo
	v_cndmask_b32_e64 v85, v165, v159, s0
	v_pack_b32_f16 v49, v83, v158
	v_add_f32_e32 v55, v81, v55
	v_cvt_f16_f32_e32 v81, v84
	v_cvt_f16_f32_e64 v157, v88
	v_cndmask_b32_e64 v84, v84, v50, s2
	v_cndmask_b32_e64 v88, v88, v50, s1
	v_cvt_f16_f32_e64 v158, v90
	v_cvt_f16_f32_e64 v159, v85
	v_cndmask_b32_e64 v90, v90, v91, s2
	v_cndmask_b32_e64 v85, v85, v91, s1
	v_add_f32_e32 v55, v91, v55
	v_pack_b32_f16 v50, v81, v157
	v_cndmask_b32_e64 v81, v88, v86, s0
	v_cndmask_b32_e32 v86, v84, v86, vcc_lo
	v_cndmask_b32_e64 v85, v85, v160, s0
	v_cndmask_b32_e32 v88, v90, v160, vcc_lo
	v_add_f32_e32 v55, v138, v55
	v_cvt_f16_f32_e32 v91, v81
	v_cvt_f16_f32_e32 v90, v86
	v_cndmask_b32_e64 v86, v86, v51, s2
	v_cndmask_b32_e64 v81, v81, v51, s1
	v_cvt_f16_f32_e64 v157, v88
	v_cndmask_b32_e64 v88, v88, v138, s2
	v_cndmask_b32_e64 v138, v85, v138, s1
	v_pack_b32_f16 v84, v158, v159
	v_cvt_f16_f32_e64 v158, v85
	v_add_f32_e32 v55, v152, v55
	v_cndmask_b32_e64 v81, v81, v89, s0
	v_cndmask_b32_e32 v86, v86, v89, vcc_lo
	v_cndmask_b32_e64 v89, v138, v161, s0
	v_cndmask_b32_e32 v88, v88, v161, vcc_lo
	v_pack_b32_f16 v51, v90, v91
	v_pack_b32_f16 v85, v157, v158
	v_add_f32_e32 v55, v87, v55
	v_cvt_f16_f32_e32 v90, v86
	v_cvt_f16_f32_e32 v91, v81
	v_cndmask_b32_e64 v86, v86, v52, s2
	v_cndmask_b32_e64 v138, v81, v52, s1
	v_cvt_f16_f32_e64 v157, v88
	v_cvt_f16_f32_e64 v158, v89
	v_cndmask_b32_e64 v88, v88, v152, s2
	v_cndmask_b32_e64 v89, v89, v152, s1
	v_add_f32_e32 v81, v153, v55
	v_pack_b32_f16 v52, v90, v91
	v_cndmask_b32_e32 v55, v86, v154, vcc_lo
	v_cndmask_b32_e64 v90, v138, v154, s0
	v_cndmask_b32_e64 v89, v89, v162, s0
	v_cndmask_b32_e32 v88, v88, v162, vcc_lo
	v_pack_b32_f16 v83, v166, v167
	v_cvt_f16_f32_e32 v91, v55
	v_cvt_f16_f32_e64 v138, v90
	v_cndmask_b32_e64 v55, v55, v53, s2
	v_cndmask_b32_e64 v90, v90, v53, s1
	v_cvt_f16_f32_e64 v152, v88
	v_cvt_f16_f32_e64 v154, v89
	v_cndmask_b32_e64 v88, v88, v87, s2
	v_cndmask_b32_e64 v89, v89, v87, s1
	v_cndmask_b32_e32 v55, v55, v155, vcc_lo
	v_cndmask_b32_e64 v90, v90, v155, s0
	v_pack_b32_f16 v53, v91, v138
	s_waitcnt lgkmcnt(0)
	v_cndmask_b32_e32 v88, v88, v163, vcc_lo
	v_cndmask_b32_e64 v89, v89, v163, s0
	v_pack_b32_f16 v87, v152, v154
	v_cvt_f16_f32_e32 v91, v55
	v_cvt_f16_f32_e64 v138, v90
	v_cndmask_b32_e64 v55, v55, v54, s2
	v_cndmask_b32_e64 v90, v90, v54, s1
	v_cvt_f16_f32_e64 v152, v88
	v_cvt_f16_f32_e64 v154, v89
	v_cndmask_b32_e64 v88, v88, v153, s2
	v_cndmask_b32_e64 v89, v89, v153, s1
	v_pack_b32_f16 v54, v91, v138
	v_cndmask_b32_e32 v55, v55, v156, vcc_lo
	v_cndmask_b32_e64 v90, v90, v156, s0
	v_cndmask_b32_e32 v91, v88, v164, vcc_lo
	v_cndmask_b32_e64 v89, v89, v164, s0
	v_pack_b32_f16 v86, v157, v158
	v_cvt_f16_f32_e32 v55, v55
	v_cvt_f16_f32_e32 v90, v90
	;; [unrolled: 1-line block ×4, first 2 shown]
	v_pack_b32_f16 v88, v152, v154
	v_cmp_lt_i32_e32 vcc_lo, s70, v113
	v_pack_b32_f16 v55, v55, v90
	v_fmac_f32_e32 v81, v137, v211
	v_pack_b32_f16 v89, v91, v89
	ds_load_2addr_b32 v[90:91], v127 offset1:16
	ds_load_2addr_b32 v[170:171], v127 offset0:36 offset1:52
	ds_load_2addr_b32 v[172:173], v127 offset0:72 offset1:88
	;; [unrolled: 1-line block ×21, first 2 shown]
	ds_load_b32 v212, v132 offset:1728
	ds_load_b32 v213, v133 offset:1728
	;; [unrolled: 1-line block ×6, first 2 shown]
	ds_load_2addr_b32 v[197:198], v147 offset0:128 offset1:164
	ds_load_2addr_b32 v[199:200], v147 offset0:200 offset1:236
	;; [unrolled: 1-line block ×7, first 2 shown]
	s_waitcnt lgkmcnt(33)
	v_perm_b32 v138, v170, v90, 0x5040100
	v_perm_b32 v146, v170, v90, 0x7060302
	s_waitcnt lgkmcnt(31)
	v_perm_b32 v139, v174, v172, 0x5040100
	v_perm_b32 v147, v174, v172, 0x7060302
	;; [unrolled: 3-line block ×4, first 2 shown]
	s_waitcnt lgkmcnt(26)
	v_perm_b32 v142, v185, v184, 0x5040100
	s_waitcnt lgkmcnt(24)
	v_perm_b32 v143, v189, v187, 0x5040100
	;; [unrolled: 2-line block ×3, first 2 shown]
	v_perm_b32 v152, v155, v154, 0x7060302
	s_waitcnt lgkmcnt(21)
	v_perm_b32 v145, v194, v192, 0x5040100
	s_waitcnt lgkmcnt(20)
	v_perm_b32 v154, v157, v156, 0x5040100
	v_perm_b32 v162, v157, v156, 0x7060302
	s_waitcnt lgkmcnt(19)
	v_perm_b32 v155, v159, v158, 0x5040100
	;; [unrolled: 3-line block ×4, first 2 shown]
	v_perm_b32 v165, v166, v165, 0x7060302
	v_perm_b32 v158, v167, v161, 0x5040100
	;; [unrolled: 1-line block ×3, first 2 shown]
	s_waitcnt lgkmcnt(15)
	v_perm_b32 v159, v169, v168, 0x5040100
	v_perm_b32 v167, v169, v168, 0x7060302
	s_waitcnt lgkmcnt(9)
	v_perm_b32 v160, v178, v180, 0x5040100
	v_perm_b32 v168, v178, v180, 0x7060302
	;; [unrolled: 3-line block ×3, first 2 shown]
	v_perm_b32 v170, v171, v91, 0x5040100
	v_perm_b32 v178, v171, v91, 0x7060302
	;; [unrolled: 1-line block ×10, first 2 shown]
	s_waitcnt lgkmcnt(7)
	v_perm_b32 v177, v216, v193, 0x5040100
	v_perm_b32 v150, v185, v184, 0x7060302
	;; [unrolled: 1-line block ×9, first 2 shown]
	v_wmma_f16_16x16x16_f16 v[40:47], v[138:145], v[48:55], v[40:47]
	v_wmma_f16_16x16x16_f16 v[32:39], v[170:177], v[48:55], v[32:39]
	s_waitcnt lgkmcnt(6)
	v_perm_b32 v186, v198, v197, 0x5040100
	s_waitcnt lgkmcnt(5)
	v_perm_b32 v187, v200, v199, 0x5040100
	;; [unrolled: 2-line block ×4, first 2 shown]
	v_perm_b32 v190, v206, v202, 0x5040100
	s_waitcnt lgkmcnt(1)
	v_perm_b32 v191, v208, v207, 0x5040100
	s_waitcnt lgkmcnt(0)
	v_perm_b32 v192, v209, v213, 0x5040100
	v_perm_b32 v193, v214, v210, 0x5040100
	v_wmma_f16_16x16x16_f16 v[40:47], v[146:153], v[48:55], v[40:47] op_sel:[0,0,1]
	v_wmma_f16_16x16x16_f16 v[32:39], v[178:185], v[48:55], v[32:39] op_sel:[0,0,1]
	v_perm_b32 v194, v198, v197, 0x7060302
	v_perm_b32 v195, v200, v199, 0x7060302
	;; [unrolled: 1-line block ×8, first 2 shown]
	v_wmma_f16_16x16x16_f16 v[40:47], v[154:161], v[82:89], v[40:47]
	v_wmma_f16_16x16x16_f16 v[32:39], v[186:193], v[82:89], v[32:39]
	s_and_b32 vcc_lo, exec_lo, vcc_lo
	s_barrier
	s_delay_alu instid0(VALU_DEP_2) | instskip(NEXT) | instid1(VALU_DEP_2)
	v_wmma_f16_16x16x16_f16 v[40:47], v[162:169], v[82:89], v[40:47] op_sel:[0,0,1]
	v_wmma_f16_16x16x16_f16 v[32:39], v[194:201], v[82:89], v[32:39] op_sel:[0,0,1]
	buffer_gl0_inv
	s_cbranch_vccnz .LBB0_309
.LBB0_310:
	s_lshl_b32 s8, s70, 6
	v_lshlrev_b64 v[48:49], 1, v[76:77]
	s_ashr_i32 s9, s8, 31
	v_lshlrev_b64 v[50:51], 1, v[78:79]
	s_lshl_b64 s[0:1], s[8:9], 1
	s_mul_i32 s2, s46, s9
	s_add_u32 s0, s37, s0
	s_addc_u32 s1, s38, s1
	v_add_co_u32 v54, s0, s0, v117
	s_delay_alu instid0(VALU_DEP_1)
	v_add_co_ci_u32_e64 v55, null, s1, 0, s0
	s_mul_hi_u32 s0, s46, s8
	s_mul_i32 s1, s19, s8
	s_add_i32 s0, s0, s2
	v_add_co_u32 v48, vcc_lo, v54, v48
	s_add_i32 s1, s0, s1
	s_mul_i32 s0, s46, s8
	v_lshlrev_b64 v[52:53], 2, v[56:57]
	v_add_co_ci_u32_e32 v49, vcc_lo, v55, v49, vcc_lo
	s_lshl_b64 s[0:1], s[0:1], 2
	v_add_co_u32 v50, vcc_lo, v54, v50
	s_add_u32 s0, s35, s0
	v_add_co_ci_u32_e32 v51, vcc_lo, v55, v51, vcc_lo
	v_lshlrev_b64 v[75:76], 2, v[74:75]
	s_addc_u32 s1, s36, s1
	v_add_co_u32 v54, vcc_lo, s0, v52
	v_add_co_ci_u32_e32 v55, vcc_lo, s1, v53, vcc_lo
	v_lshlrev_b64 v[52:53], 2, v[58:59]
	s_delay_alu instid0(VALU_DEP_3) | instskip(NEXT) | instid1(VALU_DEP_3)
	v_add_co_u32 v54, vcc_lo, v54, v75
	v_add_co_ci_u32_e32 v55, vcc_lo, v55, v76, vcc_lo
	v_lshlrev_b64 v[58:59], 2, v[62:63]
	s_delay_alu instid0(VALU_DEP_4) | instskip(SKIP_2) | instid1(VALU_DEP_3)
	v_add_co_u32 v56, vcc_lo, s0, v52
	v_add_co_ci_u32_e32 v57, vcc_lo, s1, v53, vcc_lo
	v_lshlrev_b64 v[52:53], 2, v[60:61]
	v_add_co_u32 v56, vcc_lo, v56, v75
	s_delay_alu instid0(VALU_DEP_3) | instskip(SKIP_1) | instid1(VALU_DEP_4)
	v_add_co_ci_u32_e32 v57, vcc_lo, v57, v76, vcc_lo
	v_lshlrev_b64 v[90:91], 2, v[66:67]
	v_add_co_u32 v52, vcc_lo, s0, v52
	v_add_co_ci_u32_e32 v53, vcc_lo, s1, v53, vcc_lo
	v_add_co_u32 v60, vcc_lo, s0, v58
	v_add_co_ci_u32_e32 v61, vcc_lo, s1, v59, vcc_lo
	s_delay_alu instid0(VALU_DEP_4) | instskip(NEXT) | instid1(VALU_DEP_4)
	v_add_co_u32 v58, vcc_lo, v52, v75
	v_add_co_ci_u32_e32 v59, vcc_lo, v53, v76, vcc_lo
	s_delay_alu instid0(VALU_DEP_4) | instskip(NEXT) | instid1(VALU_DEP_4)
	v_add_co_u32 v60, vcc_lo, v60, v75
	v_add_co_ci_u32_e32 v61, vcc_lo, v61, v76, vcc_lo
	s_clause 0x1
	global_load_b32 v77, v[48:49], off
	global_load_b32 v78, v[50:51], off
	s_clause 0x3
	global_load_b128 v[48:51], v[54:55], off
	global_load_b128 v[52:55], v[56:57], off
	global_load_b128 v[56:59], v[58:59], off
	global_load_b128 v[60:63], v[60:61], off
	s_mov_b32 s0, 0
	v_cmp_lt_i32_e32 vcc_lo, v112, v111
	v_add_nc_u32_e32 v82, 0, v117
	s_mov_b32 s1, s0
	s_mov_b32 s2, s0
	s_mov_b32 s3, s0
	v_cndmask_b32_e32 v85, v110, v112, vcc_lo
	s_mov_b32 s4, s0
	s_mov_b32 s5, s0
	s_mov_b32 s6, s0
	s_mov_b32 s7, s0
	v_lshlrev_b32_e32 v84, 1, v94
	v_lshlrev_b32_e32 v79, 2, v74
	v_add_nc_u32_e32 v74, v114, v116
	v_lshlrev_b64 v[122:123], 2, v[68:69]
	v_lshlrev_b64 v[124:125], 2, v[70:71]
	v_add_nc_u32_e32 v71, 0, v109
	v_lshlrev_b32_e32 v69, 2, v108
	v_lshlrev_b32_e32 v68, 2, v107
	v_lshlrev_b32_e32 v67, 2, v106
	v_mov_b32_e32 v113, s7
	v_lshlrev_b64 v[126:127], 2, v[72:73]
	v_mov_b32_e32 v111, s5
	v_add_nc_u32_e32 v97, v82, v97
	v_add3_u32 v72, 0, v105, v84
	v_dual_mov_b32 v112, s6 :: v_dual_add_nc_u32 v99, v82, v99
	v_add3_u32 v86, 0, v98, v79
	v_add3_u32 v87, 0, v100, v79
	;; [unrolled: 1-line block ×3, first 2 shown]
	v_dual_mov_b32 v110, s4 :: v_dual_add_nc_u32 v83, v114, v115
	v_dual_mov_b32 v107, s1 :: v_dual_lshlrev_b32 v66, 2, v85
	v_add3_u32 v89, 0, v103, v79
	v_lshl_add_u32 v84, v102, 1, v72
	v_lshl_add_u32 v85, v104, 1, v72
	v_dual_mov_b32 v109, s3 :: v_dual_mov_b32 v108, s2
	v_mov_b32_e32 v106, s0
	s_mul_hi_u32 s10, s34, s8
	s_mul_i32 s0, s34, s9
	s_mul_i32 s11, s17, s8
	s_add_i32 s0, s10, s0
	s_mul_i32 s8, s34, s8
	s_add_i32 s9, s0, s11
	v_cmp_eq_u32_e64 s2, 1, v94
	s_lshl_b64 s[0:1], s[8:9], 2
	s_waitcnt vmcnt(5)
	ds_store_b32 v97, v77 offset:9216
	s_waitcnt vmcnt(4)
	ds_store_b32 v99, v78 offset:9216
	s_waitcnt vmcnt(3)
	ds_store_b128 v86, v[48:51]
	s_waitcnt vmcnt(2)
	ds_store_b128 v87, v[52:55]
	;; [unrolled: 2-line block ×4, first 2 shown]
	s_waitcnt lgkmcnt(0)
	s_barrier
	buffer_gl0_inv
	ds_load_b128 v[48:51], v74
	ds_load_b128 v[52:55], v74 offset:16
	ds_load_b128 v[56:59], v74 offset:32
	;; [unrolled: 1-line block ×7, first 2 shown]
	ds_load_b128 v[132:135], v83
	ds_load_b128 v[136:139], v83 offset:16
	ds_load_b128 v[140:143], v83 offset:32
	;; [unrolled: 1-line block ×7, first 2 shown]
	s_waitcnt lgkmcnt(0)
	s_barrier
	buffer_gl0_inv
	ds_load_u16 v74, v84 offset:9216
	ds_load_u16 v77, v84 offset:9220
	;; [unrolled: 1-line block ×16, first 2 shown]
	v_wmma_f32_16x16x16_f16 v[164:171], v[48:55], v[8:15], v[106:113]
	s_add_u32 s0, s39, s0
	s_addc_u32 s1, s33, s1
	s_delay_alu instid0(VALU_DEP_1) | instskip(SKIP_1) | instid1(VALU_DEP_2)
	v_wmma_f32_16x16x16_f16 v[164:171], v[56:63], v[0:7], v[164:171]
	v_wmma_f32_16x16x16_f16 v[106:113], v[132:139], v[8:15], v[106:113]
	;; [unrolled: 1-line block ×3, first 2 shown]
	s_waitcnt lgkmcnt(9)
	v_cvt_f32_f16_e64 v14, v172
	s_waitcnt lgkmcnt(8)
	v_cvt_f32_f16_e32 v15, v84
	v_cvt_f32_f16_e32 v8, v74
	;; [unrolled: 1-line block ×3, first 2 shown]
	v_wmma_f32_16x16x16_f16 v[106:113], v[140:147], v[0:7], v[106:113]
	v_wmma_f32_16x16x16_f16 v[164:171], v[114:121], v[24:31], v[164:171]
	v_add_nc_u32_e32 v70, v71, v95
	v_cvt_f32_f16_e32 v10, v78
	v_cvt_f32_f16_e32 v11, v83
	v_wmma_f32_16x16x16_f16 v[106:113], v[148:155], v[16:23], v[106:113]
	v_dual_add_f32 v9, v165, v9 :: v_dual_add_f32 v8, v164, v8
	s_delay_alu instid0(VALU_DEP_4) | instskip(NEXT) | instid1(VALU_DEP_4)
	v_dual_add_f32 v10, v166, v10 :: v_dual_add_nc_u32 v79, v71, v69
	v_dual_add_f32 v11, v167, v11 :: v_dual_add_nc_u32 v82, 0x200, v70
	v_cvt_f32_f16_e32 v12, v105
	v_cvt_f32_f16_e64 v13, v128
	s_waitcnt lgkmcnt(6)
	v_cvt_f32_f16_e64 v49, v174
	v_wmma_f32_16x16x16_f16 v[106:113], v[156:163], v[24:31], v[106:113]
	v_dual_add_f32 v5, 0x40051340, v8 :: v_dual_add_f32 v6, 0x40051340, v9
	v_dual_add_f32 v16, 0x40051340, v11 :: v_dual_add_nc_u32 v73, v71, v68
	v_dual_add_f32 v13, v169, v13 :: v_dual_add_nc_u32 v72, 0x400, v70
	v_dual_add_f32 v12, v168, v12 :: v_dual_add_f32 v7, 0x40051340, v10
	v_add_f32_e32 v18, v107, v49
	v_max3_f32 v5, v80, v5, v6
	v_dual_add_f32 v14, v170, v14 :: v_dual_add_nc_u32 v71, v71, v67
	v_cvt_f32_f16_e64 v48, v173
	s_waitcnt lgkmcnt(4)
	v_cvt_f32_f16_e64 v0, v176
	v_dual_add_f32 v15, v171, v15 :: v_dual_add_f32 v6, 0x40051340, v12
	v_add_f32_e32 v17, 0x40051340, v13
	v_max3_f32 v5, v5, v7, v16
	s_delay_alu instid0(VALU_DEP_4)
	v_add_f32_e32 v52, v109, v0
	v_cvt_f32_f16_e64 v50, v175
	v_dual_add_f32 v16, v106, v48 :: v_dual_add_f32 v7, 0x40051340, v14
	v_add_f32_e32 v19, 0x40051340, v15
	v_max3_f32 v5, v5, v6, v17
	v_add_f32_e32 v6, 0x40051340, v18
	s_waitcnt lgkmcnt(3)
	v_cvt_f32_f16_e64 v1, v177
	s_waitcnt lgkmcnt(2)
	v_cvt_f32_f16_e64 v2, v178
	s_waitcnt lgkmcnt(0)
	v_cvt_f32_f16_e32 v4, v85
	v_dual_add_f32 v17, v108, v50 :: v_dual_add_f32 v0, 0x40051340, v16
	v_max3_f32 v5, v5, v7, v19
	v_cvt_f32_f16_e64 v3, v179
	v_add_f32_e32 v19, v110, v1
	v_add_f32_e32 v55, v113, v4
	v_dual_add_f32 v53, v111, v2 :: v_dual_add_f32 v2, 0x40051340, v52
	v_add_f32_e32 v1, 0x40051340, v17
	v_max3_f32 v0, v5, v0, v6
	v_add_f32_e32 v54, v112, v3
	v_add_f32_e32 v3, 0x40051340, v19
	s_delay_alu instid0(VALU_DEP_3) | instskip(SKIP_1) | instid1(VALU_DEP_4)
	v_max3_f32 v0, v0, v1, v2
	v_add_f32_e32 v2, 0x40051340, v55
	v_dual_add_f32 v4, 0x40051340, v53 :: v_dual_add_f32 v1, 0x40051340, v54
	s_delay_alu instid0(VALU_DEP_1) | instskip(SKIP_2) | instid1(VALU_DEP_3)
	v_max3_f32 v0, v0, v3, v4
	v_add_co_u32 v3, vcc_lo, s0, v90
	v_add_co_ci_u32_e32 v4, vcc_lo, s1, v91, vcc_lo
	v_max3_f32 v20, v0, v1, v2
	v_add_co_u32 v2, vcc_lo, s0, v122
	v_add_co_ci_u32_e32 v5, vcc_lo, s1, v123, vcc_lo
	ds_bpermute_b32 v6, v66, v20
	v_add_co_u32 v7, vcc_lo, s0, v124
	v_add_co_ci_u32_e32 v21, vcc_lo, s1, v125, vcc_lo
	v_add_co_u32 v22, vcc_lo, s0, v126
	v_add_co_ci_u32_e32 v23, vcc_lo, s1, v127, vcc_lo
	v_add_co_u32 v0, vcc_lo, v3, v75
	v_add_co_ci_u32_e32 v1, vcc_lo, v4, v76, vcc_lo
	v_add_co_u32 v2, vcc_lo, v2, v75
	v_add_co_ci_u32_e32 v3, vcc_lo, v5, v76, vcc_lo
	v_add_co_u32 v4, vcc_lo, v7, v75
	v_add_co_ci_u32_e32 v5, vcc_lo, v21, v76, vcc_lo
	s_waitcnt lgkmcnt(0)
	v_max_f32_e32 v21, v6, v6
	v_add_co_u32 v6, vcc_lo, v22, v75
	v_add_co_ci_u32_e32 v7, vcc_lo, v23, v76, vcc_lo
	s_delay_alu instid0(VALU_DEP_3)
	v_max_f32_e32 v56, v20, v21
	s_clause 0x3
	global_load_b128 v[20:23], v[0:1], off
	global_load_b128 v[24:27], v[2:3], off
	;; [unrolled: 1-line block ×4, first 2 shown]
	v_cmp_eq_u32_e64 s0, 0, v65
	v_cmp_eq_u32_e64 s1, 0, v94
	s_waitcnt vmcnt(3)
	ds_store_b128 v86, v[20:23]
	s_waitcnt vmcnt(2)
	ds_store_b128 v87, v[24:27]
	;; [unrolled: 2-line block ×4, first 2 shown]
	v_sub_f32_e32 v4, v12, v56
	v_sub_f32_e32 v3, v11, v56
	;; [unrolled: 1-line block ×8, first 2 shown]
	v_dual_sub_f32 v9, v18, v56 :: v_dual_mul_f32 v52, 0x3fb8aa3b, v3
	v_mul_f32_e32 v18, 0x3fb8aa3b, v1
	v_sub_f32_e32 v0, v8, v56
	s_delay_alu instid0(VALU_DEP_4)
	v_dual_mul_f32 v74, 0x3fb8aa3b, v14 :: v_dual_sub_f32 v5, v13, v56
	v_dual_mul_f32 v60, 0x3fb8aa3b, v10 :: v_dual_sub_f32 v7, v15, v56
	v_dual_sub_f32 v12, v19, v56 :: v_dual_mul_f32 v59, 0x3fb8aa3b, v9
	v_dual_mul_f32 v19, 0x3fb8aa3b, v2 :: v_dual_sub_f32 v8, v16, v56
	v_rndne_f32_e32 v83, v18
	v_sub_f32_e32 v13, v53, v56
	v_sub_f32_e32 v16, v80, v56
	v_dual_mul_f32 v54, 0x3fb8aa3b, v5 :: v_dual_mul_f32 v57, 0x3fb8aa3b, v7
	v_fma_f32 v80, 0x3fb8aa3b, v1, -v18
	v_rndne_f32_e32 v85, v19
	v_rndne_f32_e32 v91, v52
	v_dual_mul_f32 v17, 0x3fb8aa3b, v0 :: v_dual_sub_f32 v18, v18, v83
	v_dual_mul_f32 v63, 0x3fb8aa3b, v13 :: v_dual_mul_f32 v76, 0x3fb8aa3b, v16
	v_fma_f32 v84, 0x3fb8aa3b, v2, -v19
	v_sub_f32_e32 v19, v19, v85
	v_fma_f32 v90, 0x3fb8aa3b, v3, -v52
	v_rndne_f32_e32 v104, v57
	v_fma_f32 v121, 0x3fb8aa3b, v16, -v76
	v_rndne_f32_e32 v122, v76
	v_sub_f32_e32 v52, v52, v91
	v_rndne_f32_e32 v78, v17
	v_mul_f32_e32 v62, 0x3fb8aa3b, v12
	v_fma_f32 v77, 0x3fb8aa3b, v0, -v17
	v_fma_f32 v103, 0x3fb8aa3b, v7, -v57
	v_dual_sub_f32 v57, v57, v104 :: v_dual_sub_f32 v76, v76, v122
	v_sub_f32_e32 v17, v17, v78
	v_fma_f32 v113, 0x3fb8aa3b, v12, -v62
	v_fmac_f32_e32 v121, 0x32a5705f, v16
	v_dual_sub_f32 v15, v55, v56 :: v_dual_fmac_f32 v84, 0x32a5705f, v2
	v_mul_f32_e32 v55, 0x3fb8aa3b, v6
	s_delay_alu instid0(VALU_DEP_3) | instskip(SKIP_2) | instid1(VALU_DEP_4)
	v_dual_fmac_f32 v113, 0x32a5705f, v12 :: v_dual_add_f32 v76, v76, v121
	v_dual_fmac_f32 v77, 0x32a5705f, v0 :: v_dual_fmac_f32 v90, 0x32a5705f, v3
	v_cvt_i32_f32_e32 v122, v122
	v_fma_f32 v101, 0x3fb8aa3b, v6, -v55
	s_delay_alu instid0(VALU_DEP_4)
	v_exp_f32_e32 v76, v76
	v_fmac_f32_e32 v80, 0x32a5705f, v1
	v_cvt_i32_f32_e32 v78, v78
	v_cvt_i32_f32_e32 v83, v83
	v_fmac_f32_e32 v101, 0x32a5705f, v6
	v_cmp_ngt_f32_e32 vcc_lo, 0xc2ce8ed0, v0
	v_add_f32_e32 v18, v18, v80
	v_dual_mul_f32 v58, 0x3fb8aa3b, v8 :: v_dual_mul_f32 v75, 0x3fb8aa3b, v15
	v_fma_f32 v107, 0x3fb8aa3b, v9, -v59
	s_delay_alu instid0(TRANS32_DEP_1)
	v_ldexp_f32 v76, v76, v122
	v_add_f32_e32 v17, v17, v77
	v_exp_f32_e32 v18, v18
	v_fma_f32 v105, 0x3fb8aa3b, v8, -v58
	v_add_f32_e32 v52, v52, v90
	v_rndne_f32_e32 v106, v58
	v_exp_f32_e32 v17, v17
	v_mul_f32_e32 v53, 0x3fb8aa3b, v4
	v_fmac_f32_e32 v105, 0x32a5705f, v8
	v_cvt_i32_f32_e32 v85, v85
	v_exp_f32_e32 v52, v52
	v_cvt_i32_f32_e32 v91, v91
	v_ldexp_f32 v18, v18, v83
	v_sub_f32_e32 v58, v58, v106
	v_fma_f32 v97, 0x3fb8aa3b, v4, -v53
	v_rndne_f32_e32 v98, v53
	v_ldexp_f32 v17, v17, v78
	v_fma_f32 v99, 0x3fb8aa3b, v5, -v54
	v_rndne_f32_e32 v100, v54
	v_rndne_f32_e32 v110, v60
	v_fma_f32 v115, 0x3fb8aa3b, v13, -v63
	v_cndmask_b32_e32 v17, 0, v17, vcc_lo
	v_cmp_ngt_f32_e32 vcc_lo, 0xc2ce8ed0, v1
	v_fmac_f32_e32 v107, 0x32a5705f, v9
	v_fmac_f32_e32 v97, 0x32a5705f, v4
	v_dual_sub_f32 v53, v53, v98 :: v_dual_sub_f32 v54, v54, v100
	v_dual_cndmask_b32 v18, 0, v18 :: v_dual_add_f32 v19, v19, v84
	v_cmp_ngt_f32_e32 vcc_lo, 0xc2ce8ed0, v2
	v_ldexp_f32 v52, v52, v91
	v_rndne_f32_e32 v102, v55
	v_fma_f32 v109, 0x3fb8aa3b, v10, -v60
	v_exp_f32_e32 v19, v19
	v_rndne_f32_e32 v114, v62
	v_dual_fmac_f32 v99, 0x32a5705f, v5 :: v_dual_sub_f32 v60, v60, v110
	v_cvt_i32_f32_e32 v98, v98
	v_cvt_i32_f32_e32 v100, v100
	s_delay_alu instid0(VALU_DEP_4) | instskip(NEXT) | instid1(VALU_DEP_4)
	v_sub_f32_e32 v62, v62, v114
	v_dual_sub_f32 v55, v55, v102 :: v_dual_add_f32 v54, v54, v99
	v_rndne_f32_e32 v116, v63
	s_delay_alu instid0(TRANS32_DEP_1)
	v_ldexp_f32 v19, v19, v85
	v_rndne_f32_e32 v118, v74
	v_fmac_f32_e32 v103, 0x32a5705f, v7
	v_exp_f32_e32 v54, v54
	v_mul_f32_e32 v61, 0x3fb8aa3b, v11
	v_cndmask_b32_e32 v19, 0, v19, vcc_lo
	v_cmp_ngt_f32_e32 vcc_lo, 0xc2ce8ed0, v3
	v_fmac_f32_e32 v115, 0x32a5705f, v13
	v_rndne_f32_e32 v108, v59
	v_fma_f32 v117, 0x3fb8aa3b, v14, -v74
	v_sub_f32_e32 v74, v74, v118
	v_dual_cndmask_b32 v52, 0, v52 :: v_dual_add_f32 v53, v53, v97
	v_cmp_ngt_f32_e32 vcc_lo, 0xc2ce8ed0, v4
	v_ldexp_f32 v54, v54, v100
	v_add_f32_e32 v57, v57, v103
	v_cvt_i32_f32_e32 v102, v102
	v_exp_f32_e32 v53, v53
	v_dual_sub_f32 v59, v59, v108 :: v_dual_add_f32 v58, v58, v105
	s_delay_alu instid0(VALU_DEP_3)
	v_exp_f32_e32 v57, v57
	v_fma_f32 v111, 0x3fb8aa3b, v11, -v61
	v_cvt_i32_f32_e32 v104, v104
	v_dual_fmac_f32 v109, 0x32a5705f, v10 :: v_dual_add_f32 v62, v62, v113
	v_add_f32_e32 v59, v59, v107
	v_exp_f32_e32 v58, v58
	s_delay_alu instid0(TRANS32_DEP_3) | instskip(SKIP_3) | instid1(VALU_DEP_3)
	v_ldexp_f32 v53, v53, v98
	v_cvt_i32_f32_e32 v106, v106
	v_dual_fmac_f32 v111, 0x32a5705f, v11 :: v_dual_add_f32 v60, v60, v109
	v_exp_f32_e32 v59, v59
	v_cndmask_b32_e32 v53, 0, v53, vcc_lo
	v_cmp_ngt_f32_e32 vcc_lo, 0xc2ce8ed0, v5
	v_sub_f32_e32 v63, v63, v116
	v_ldexp_f32 v57, v57, v104
	v_fma_f32 v119, 0x3fb8aa3b, v15, -v75
	v_cvt_i32_f32_e32 v108, v108
	v_dual_cndmask_b32 v54, 0, v54 :: v_dual_add_f32 v55, v55, v101
	v_cmp_ngt_f32_e32 vcc_lo, 0xc2ce8ed0, v6
	v_exp_f32_e32 v60, v60
	v_ldexp_f32 v58, v58, v106
	v_cvt_i32_f32_e32 v110, v110
	v_exp_f32_e32 v55, v55
	v_ldexp_f32 v59, v59, v108
	v_rndne_f32_e32 v112, v61
	v_exp_f32_e32 v62, v62
	v_rndne_f32_e32 v120, v75
	v_cvt_i32_f32_e32 v114, v114
	v_add_f32_e32 v63, v63, v115
	v_ldexp_f32 v60, v60, v110
	v_cvt_i32_f32_e32 v116, v116
	v_cvt_i32_f32_e32 v118, v118
	v_ldexp_f32 v55, v55, v102
	v_exp_f32_e32 v63, v63
	s_waitcnt lgkmcnt(0)
	v_ldexp_f32 v62, v62, v114
	s_barrier
	v_cndmask_b32_e32 v55, 0, v55, vcc_lo
	v_cmp_ngt_f32_e32 vcc_lo, 0xc2ce8ed0, v7
	buffer_gl0_inv
	v_add_nc_u32_e32 v25, 0x600, v70
	v_dual_cndmask_b32 v57, 0, v57 :: v_dual_add_nc_u32 v26, 0x800, v70
	v_cmp_ngt_f32_e32 vcc_lo, 0xc2ce8ed0, v8
	v_fmac_f32_e32 v119, 0x32a5705f, v15
	v_ldexp_f32 v63, v63, v116
	v_cndmask_b32_e32 v58, 0, v58, vcc_lo
	v_cmp_ngt_f32_e32 vcc_lo, 0xc2ce8ed0, v9
	v_cndmask_b32_e32 v59, 0, v59, vcc_lo
	v_cmp_ngt_f32_e32 vcc_lo, 0xc2ce8ed0, v10
	v_dual_fmac_f32 v117, 0x32a5705f, v14 :: v_dual_cndmask_b32 v60, 0, v60
	s_delay_alu instid0(VALU_DEP_1) | instskip(SKIP_2) | instid1(VALU_DEP_3)
	v_dual_sub_f32 v61, v61, v112 :: v_dual_add_f32 v74, v74, v117
	v_cvt_i32_f32_e32 v112, v112
	v_cmp_ngt_f32_e32 vcc_lo, 0xc2ce8ed0, v11
	v_add_f32_e32 v61, v61, v111
	s_delay_alu instid0(VALU_DEP_4) | instskip(NEXT) | instid1(VALU_DEP_1)
	v_exp_f32_e32 v74, v74
	v_exp_f32_e32 v61, v61
	s_waitcnt_depctr 0xfff
	v_ldexp_f32 v74, v74, v118
	v_ldexp_f32 v61, v61, v112
	s_delay_alu instid0(VALU_DEP_1) | instskip(SKIP_3) | instid1(VALU_DEP_2)
	v_cndmask_b32_e32 v61, 0, v61, vcc_lo
	v_cmp_ngt_f32_e32 vcc_lo, 0xc2ce8ed0, v12
	v_sub_f32_e32 v75, v75, v120
	v_cvt_i32_f32_e32 v120, v120
	v_dual_cndmask_b32 v62, 0, v62 :: v_dual_add_f32 v75, v75, v119
	v_cmp_ngt_f32_e32 vcc_lo, 0xc2ce8ed0, v13
	s_delay_alu instid0(VALU_DEP_2)
	v_exp_f32_e32 v75, v75
	v_cndmask_b32_e32 v63, 0, v63, vcc_lo
	v_cmp_ngt_f32_e32 vcc_lo, 0xc2ce8ed0, v14
	v_cndmask_b32_e32 v74, 0, v74, vcc_lo
	v_cmp_ngt_f32_e32 vcc_lo, 0xc2ce8ed0, v15
	s_waitcnt_depctr 0xfff
	v_ldexp_f32 v75, v75, v120
	s_delay_alu instid0(VALU_DEP_1)
	v_cndmask_b32_e32 v75, 0, v75, vcc_lo
	v_cmp_ngt_f32_e32 vcc_lo, 0xc2ce8ed0, v16
	v_cndmask_b32_e32 v76, 0, v76, vcc_lo
	v_cmp_nlt_f32_e32 vcc_lo, 0x42b17218, v0
	v_cndmask_b32_e32 v17, 0x7f800000, v17, vcc_lo
	v_cmp_nlt_f32_e32 vcc_lo, 0x42b17218, v1
	;; [unrolled: 2-line block ×3, first 2 shown]
	s_delay_alu instid0(VALU_DEP_2)
	v_add_f32_e32 v1, v17, v18
	v_cndmask_b32_e32 v19, 0x7f800000, v19, vcc_lo
	v_cmp_nlt_f32_e32 vcc_lo, 0x42b17218, v3
	v_cndmask_b32_e32 v52, 0x7f800000, v52, vcc_lo
	v_cmp_nlt_f32_e32 vcc_lo, 0x42b17218, v4
	ds_bpermute_b32 v80, v66, v52
	v_cndmask_b32_e32 v53, 0x7f800000, v53, vcc_lo
	v_cmp_nlt_f32_e32 vcc_lo, 0x42b17218, v5
	ds_bpermute_b32 v83, v66, v53
	;; [unrolled: 3-line block ×10, first 2 shown]
	v_cndmask_b32_e32 v62, 0x7f800000, v63, vcc_lo
	v_cmp_nlt_f32_e32 vcc_lo, 0x42b17218, v14
	v_cndmask_b32_e32 v63, 0x7f800000, v74, vcc_lo
	v_cmp_nlt_f32_e32 vcc_lo, 0x42b17218, v16
	ds_bpermute_b32 v102, v66, v63
	v_cndmask_b32_e32 v0, 0x7f800000, v76, vcc_lo
	v_cmp_nlt_f32_e32 vcc_lo, 0x42b17218, v15
	ds_bpermute_b32 v76, v66, v18
	v_cndmask_b32_e32 v74, 0x7f800000, v75, vcc_lo
	v_cmp_le_f32_e32 vcc_lo, 0xc1a00000, v16
	ds_bpermute_b32 v103, v66, v74
	v_dual_cndmask_b32 v75, 0, v0 :: v_dual_add_f32 v0, v19, v1
	v_cmp_eq_u32_e32 vcc_lo, 1, v65
	s_delay_alu instid0(VALU_DEP_2) | instskip(NEXT) | instid1(VALU_DEP_3)
	v_cvt_f16_f32_e32 v15, v75
	v_add_f32_e32 v13, v52, v0
	ds_bpermute_b32 v101, v66, v62
	v_pk_mul_f16 v8, v15, v32 op_sel_hi:[0,1]
	v_add_f32_e32 v32, v53, v13
	v_pk_mul_f16 v9, v15, v33 op_sel_hi:[0,1]
	v_pk_mul_f16 v10, v15, v34 op_sel_hi:[0,1]
	;; [unrolled: 1-line block ×4, first 2 shown]
	v_add_f32_e32 v32, v54, v32
	v_pk_mul_f16 v13, v15, v37 op_sel_hi:[0,1]
	s_waitcnt lgkmcnt(8)
	v_cndmask_b32_e64 v34, v57, v91, s0
	v_pk_mul_f16 v0, v15, v40 op_sel_hi:[0,1]
	v_pk_mul_f16 v14, v15, v38 op_sel_hi:[0,1]
	v_add_f32_e32 v32, v55, v32
	v_pk_mul_f16 v1, v15, v41 op_sel_hi:[0,1]
	v_pk_mul_f16 v2, v15, v42 op_sel_hi:[0,1]
	;; [unrolled: 1-line block ×4, first 2 shown]
	v_add_f32_e32 v32, v77, v32
	v_pk_mul_f16 v5, v15, v45 op_sel_hi:[0,1]
	v_pk_mul_f16 v6, v15, v46 op_sel_hi:[0,1]
	;; [unrolled: 1-line block ×4, first 2 shown]
	v_add_f32_e32 v32, v57, v32
	s_delay_alu instid0(VALU_DEP_1) | instskip(NEXT) | instid1(VALU_DEP_1)
	v_add_f32_e32 v32, v58, v32
	v_add_f32_e32 v32, v59, v32
	s_delay_alu instid0(VALU_DEP_1) | instskip(NEXT) | instid1(VALU_DEP_1)
	v_add_f32_e32 v32, v60, v32
	v_add_f32_e32 v32, v61, v32
	s_delay_alu instid0(VALU_DEP_1)
	v_add_f32_e32 v32, v62, v32
	ds_bpermute_b32 v16, v66, v17
	v_add_f32_e32 v32, v63, v32
	ds_bpermute_b32 v78, v66, v19
	s_waitcnt lgkmcnt(1)
	v_cndmask_b32_e64 v33, v17, v16, s0
	v_cndmask_b32_e32 v16, v17, v16, vcc_lo
	v_cndmask_b32_e32 v17, v57, v91, vcc_lo
	v_add_f32_e32 v57, v74, v32
	s_delay_alu instid0(VALU_DEP_4) | instskip(NEXT) | instid1(VALU_DEP_4)
	v_cvt_f16_f32_e32 v35, v33
	v_cvt_f16_f32_e32 v36, v16
	v_cndmask_b32_e64 v33, v33, v18, s1
	v_cndmask_b32_e64 v16, v16, v18, s2
	v_cvt_f16_f32_e32 v37, v17
	v_cndmask_b32_e64 v17, v17, v58, s2
	v_cvt_f16_f32_e32 v18, v34
	v_cndmask_b32_e64 v34, v34, v58, s1
	v_pack_b32_f16 v40, v35, v36
	v_cndmask_b32_e32 v35, v16, v76, vcc_lo
	v_cndmask_b32_e64 v33, v33, v76, s0
	v_cndmask_b32_e32 v17, v17, v97, vcc_lo
	v_pack_b32_f16 v16, v18, v37
	v_cndmask_b32_e64 v18, v34, v97, s0
	v_cvt_f16_f32_e32 v36, v35
	v_cvt_f16_f32_e32 v34, v33
	v_cndmask_b32_e64 v38, v17, v59, s2
	v_cndmask_b32_e64 v33, v33, v19, s1
	;; [unrolled: 1-line block ×3, first 2 shown]
	v_cvt_f16_f32_e32 v35, v18
	v_cndmask_b32_e64 v18, v18, v59, s1
	v_pack_b32_f16 v41, v34, v36
	v_cndmask_b32_e32 v34, v38, v98, vcc_lo
	v_cvt_f16_f32_e32 v37, v17
	s_waitcnt lgkmcnt(0)
	v_cndmask_b32_e32 v19, v19, v78, vcc_lo
	v_cndmask_b32_e64 v33, v33, v78, s0
	v_cndmask_b32_e64 v18, v18, v98, s0
	v_cvt_f16_f32_e32 v38, v34
	v_cndmask_b32_e64 v34, v34, v60, s2
	v_pack_b32_f16 v17, v35, v37
	v_cvt_f16_f32_e32 v35, v33
	v_cvt_f16_f32_e32 v36, v19
	v_cndmask_b32_e64 v39, v18, v60, s1
	v_cndmask_b32_e32 v34, v34, v99, vcc_lo
	v_cndmask_b32_e64 v33, v33, v52, s1
	v_cvt_f16_f32_e32 v37, v18
	v_pack_b32_f16 v42, v35, v36
	v_cndmask_b32_e64 v35, v39, v99, s0
	v_cvt_f16_f32_e32 v39, v34
	v_cndmask_b32_e64 v34, v34, v61, s2
	v_cndmask_b32_e64 v33, v33, v80, s0
	v_pack_b32_f16 v18, v37, v38
	v_cvt_f16_f32_e32 v38, v35
	v_cndmask_b32_e64 v35, v35, v61, s1
	v_cndmask_b32_e32 v34, v34, v100, vcc_lo
	v_cvt_f16_f32_e32 v36, v33
	v_cndmask_b32_e64 v33, v33, v53, s1
	s_delay_alu instid0(VALU_DEP_4) | instskip(NEXT) | instid1(VALU_DEP_4)
	v_cndmask_b32_e64 v35, v35, v100, s0
	v_cvt_f16_f32_e32 v65, v34
	v_cndmask_b32_e64 v34, v34, v62, s2
	s_delay_alu instid0(VALU_DEP_4) | instskip(NEXT) | instid1(VALU_DEP_2)
	v_cndmask_b32_e64 v33, v33, v83, s0
	v_cndmask_b32_e32 v34, v34, v101, vcc_lo
	v_cndmask_b32_e64 v19, v19, v52, s2
	s_delay_alu instid0(VALU_DEP_2) | instskip(SKIP_1) | instid1(VALU_DEP_1)
	v_cvt_f16_f32_e32 v117, v34
	v_cndmask_b32_e64 v34, v34, v63, s2
	v_cndmask_b32_e32 v34, v34, v102, vcc_lo
	s_delay_alu instid0(VALU_DEP_1) | instskip(SKIP_1) | instid1(VALU_DEP_1)
	v_cvt_f16_f32_e32 v119, v34
	v_cndmask_b32_e64 v34, v34, v74, s2
	v_dual_cndmask_b32 v19, v19, v80 :: v_dual_cndmask_b32 v20, v34, v103
	s_delay_alu instid0(VALU_DEP_1) | instskip(SKIP_1) | instid1(VALU_DEP_3)
	v_cvt_f16_f32_e32 v37, v19
	v_cndmask_b32_e64 v19, v19, v53, s2
	v_cvt_f16_f32_e32 v120, v20
	s_delay_alu instid0(VALU_DEP_3) | instskip(NEXT) | instid1(VALU_DEP_3)
	v_pack_b32_f16 v43, v36, v37
	v_cndmask_b32_e32 v36, v19, v83, vcc_lo
	v_pack_b32_f16 v19, v38, v39
	v_cvt_f16_f32_e32 v37, v33
	v_cndmask_b32_e64 v33, v33, v54, s1
	v_cvt_f16_f32_e32 v39, v35
	v_cvt_f16_f32_e32 v38, v36
	v_cndmask_b32_e64 v36, v36, v54, s2
	v_cndmask_b32_e64 v35, v35, v62, s1
	;; [unrolled: 1-line block ×3, first 2 shown]
	s_delay_alu instid0(VALU_DEP_4) | instskip(NEXT) | instid1(VALU_DEP_4)
	v_pack_b32_f16 v44, v37, v38
	v_cndmask_b32_e32 v33, v36, v84, vcc_lo
	s_delay_alu instid0(VALU_DEP_4) | instskip(NEXT) | instid1(VALU_DEP_4)
	v_cndmask_b32_e64 v35, v35, v101, s0
	v_cvt_f16_f32_e32 v36, v32
	v_cndmask_b32_e64 v32, v32, v55, s1
	s_delay_alu instid0(VALU_DEP_4) | instskip(SKIP_2) | instid1(VALU_DEP_4)
	v_cvt_f16_f32_e32 v37, v33
	v_cndmask_b32_e64 v33, v33, v55, s2
	v_cvt_f16_f32_e32 v91, v35
	v_cndmask_b32_e64 v32, v32, v85, s0
	v_cndmask_b32_e64 v35, v35, v63, s1
	v_pack_b32_f16 v45, v36, v37
	v_cndmask_b32_e32 v33, v33, v85, vcc_lo
	s_delay_alu instid0(VALU_DEP_4) | instskip(NEXT) | instid1(VALU_DEP_4)
	v_cvt_f16_f32_e32 v36, v32
	v_cndmask_b32_e64 v35, v35, v102, s0
	v_cndmask_b32_e64 v32, v32, v77, s1
	s_delay_alu instid0(VALU_DEP_4) | instskip(SKIP_1) | instid1(VALU_DEP_4)
	v_cvt_f16_f32_e32 v37, v33
	v_cndmask_b32_e64 v33, v33, v77, s2
	v_cvt_f16_f32_e32 v118, v35
	s_delay_alu instid0(VALU_DEP_4) | instskip(NEXT) | instid1(VALU_DEP_4)
	v_cndmask_b32_e64 v32, v32, v90, s0
	v_pack_b32_f16 v46, v36, v37
	ds_load_2addr_b32 v[37:38], v70 offset1:16
	ds_load_2addr_b32 v[48:49], v70 offset0:36 offset1:52
	ds_load_2addr_b32 v[50:51], v70 offset0:72 offset1:88
	;; [unrolled: 1-line block ×3, first 2 shown]
	ds_load_2addr_b32 v[54:55], v79 offset1:16
	ds_load_2addr_b32 v[58:59], v70 offset0:180 offset1:196
	ds_load_2addr_b32 v[60:61], v70 offset0:216 offset1:232
	;; [unrolled: 1-line block ×3, first 2 shown]
	v_cndmask_b32_e32 v33, v33, v90, vcc_lo
	v_cvt_f16_f32_e32 v22, v32
	s_delay_alu instid0(VALU_DEP_2) | instskip(NEXT) | instid1(VALU_DEP_1)
	v_cvt_f16_f32_e32 v23, v33
	v_pack_b32_f16 v47, v22, v23
	s_waitcnt lgkmcnt(6)
	v_perm_b32 v20, v48, v37, 0x5040100
	v_perm_b32 v28, v48, v37, 0x7060302
	v_add_nc_u32_e32 v37, 0, v96
	v_cndmask_b32_e64 v35, v35, v74, s1
	s_waitcnt lgkmcnt(4)
	v_perm_b32 v29, v52, v50, 0x7060302
	s_waitcnt lgkmcnt(2)
	v_perm_b32 v22, v58, v54, 0x5040100
	;; [unrolled: 2-line block ×3, first 2 shown]
	v_add_nc_u32_e32 v48, v37, v95
	v_fmac_f32_e32 v57, v81, v75
	ds_load_2addr_b32 v[73:74], v73 offset1:16
	ds_load_2addr_b32 v[75:76], v72 offset0:68 offset1:84
	ds_load_2addr_b32 v[77:78], v72 offset0:104 offset1:120
	;; [unrolled: 1-line block ×3, first 2 shown]
	ds_load_2addr_b32 v[81:82], v71 offset1:16
	ds_load_2addr_b32 v[83:84], v72 offset0:212 offset1:228
	ds_load_2addr_b32 v[85:86], v25 offset0:120 offset1:136
	;; [unrolled: 1-line block ×3, first 2 shown]
	v_cndmask_b32_e64 v21, v35, v103, s0
	v_add_nc_u32_e32 v27, v37, v69
	ds_load_2addr_b32 v[89:90], v48 offset1:16
	ds_load_2addr_b32 v[95:96], v48 offset0:36 offset1:52
	ds_load_2addr_b32 v[97:98], v48 offset0:72 offset1:88
	;; [unrolled: 1-line block ×3, first 2 shown]
	ds_load_2addr_b32 v[101:102], v27 offset1:16
	v_add_nc_u32_e32 v27, 0x200, v48
	v_add_nc_u32_e32 v34, v37, v68
	v_cvt_f16_f32_e32 v36, v21
	v_perm_b32 v21, v52, v50, 0x5040100
	v_add_nc_u32_e32 v50, 0x400, v48
	ds_load_2addr_b32 v[103:104], v48 offset0:180 offset1:196
	ds_load_2addr_b32 v[105:106], v48 offset0:216 offset1:232
	ds_load_2addr_b32 v[107:108], v27 offset0:124 offset1:140
	ds_load_2addr_b32 v[109:110], v34 offset1:16
	ds_load_2addr_b32 v[111:112], v50 offset0:68 offset1:84
	v_perm_b32 v30, v58, v54, 0x7060302
	v_perm_b32 v31, v62, v60, 0x7060302
	ds_load_2addr_b32 v[113:114], v50 offset0:104 offset1:120
	ds_load_2addr_b32 v[115:116], v50 offset0:140 offset1:156
	ds_bpermute_b32 v58, v66, v57
	v_perm_b32 v68, v53, v51, 0x7060302
	v_perm_b32 v69, v59, v55, 0x7060302
	s_waitcnt lgkmcnt(17)
	v_perm_b32 v25, v79, v77, 0x5040100
	v_perm_b32 v24, v75, v73, 0x5040100
	s_waitcnt lgkmcnt(15)
	v_perm_b32 v26, v83, v81, 0x5040100
	s_waitcnt lgkmcnt(13)
	v_perm_b32 v27, v87, v85, 0x5040100
	v_perm_b32 v32, v75, v73, 0x7060302
	;; [unrolled: 1-line block ×5, first 2 shown]
	v_wmma_f16_16x16x16_f16 v[0:7], v[20:27], v[40:47], v[0:7]
	v_pack_b32_f16 v20, v39, v65
	v_add_nc_u32_e32 v39, 0x800, v48
	v_pack_b32_f16 v21, v91, v117
	v_pack_b32_f16 v22, v118, v119
	v_wmma_f16_16x16x16_f16 v[0:7], v[28:35], v[40:47], v[0:7] op_sel:[0,0,1]
	v_add_nc_u32_e32 v30, v37, v67
	v_add_nc_u32_e32 v31, 0x600, v48
	v_pack_b32_f16 v23, v36, v120
	ds_load_2addr_b32 v[117:118], v30 offset1:16
	ds_load_2addr_b32 v[119:120], v50 offset0:212 offset1:228
	ds_load_2addr_b32 v[121:122], v31 offset0:120 offset1:136
	ds_load_2addr_b32 v[123:124], v39 offset0:28 offset1:44
	v_perm_b32 v48, v49, v38, 0x5040100
	v_perm_b32 v67, v49, v38, 0x7060302
	v_perm_b32 v49, v53, v51, 0x5040100
	v_perm_b32 v50, v59, v55, 0x5040100
	v_perm_b32 v51, v63, v61, 0x5040100
	v_perm_b32 v52, v76, v74, 0x5040100
	v_perm_b32 v53, v80, v78, 0x5040100
	v_perm_b32 v54, v84, v82, 0x5040100
	v_perm_b32 v55, v88, v86, 0x5040100
	v_perm_b32 v70, v63, v61, 0x7060302
	v_perm_b32 v71, v76, v74, 0x7060302
	v_perm_b32 v72, v80, v78, 0x7060302
	v_perm_b32 v73, v84, v82, 0x7060302
	v_perm_b32 v74, v88, v86, 0x7060302
	v_wmma_f16_16x16x16_f16 v[8:15], v[48:55], v[40:47], v[8:15]
	s_waitcnt lgkmcnt(15)
	v_perm_b32 v32, v95, v89, 0x5040100
	v_perm_b32 v24, v95, v89, 0x7060302
	s_waitcnt lgkmcnt(13)
	v_perm_b32 v33, v99, v97, 0x5040100
	v_perm_b32 v25, v99, v97, 0x7060302
	s_waitcnt lgkmcnt(11)
	v_perm_b32 v34, v103, v101, 0x5040100
	v_perm_b32 v26, v103, v101, 0x7060302
	s_waitcnt lgkmcnt(9)
	v_perm_b32 v35, v107, v105, 0x5040100
	v_perm_b32 v27, v107, v105, 0x7060302
	s_waitcnt lgkmcnt(7)
	v_perm_b32 v36, v111, v109, 0x5040100
	v_perm_b32 v28, v111, v109, 0x7060302
	s_waitcnt lgkmcnt(5)
	v_perm_b32 v37, v115, v113, 0x5040100
	v_perm_b32 v29, v115, v113, 0x7060302
	s_waitcnt lgkmcnt(2)
	v_perm_b32 v38, v119, v117, 0x5040100
	v_perm_b32 v30, v119, v117, 0x7060302
	s_waitcnt lgkmcnt(0)
	v_perm_b32 v39, v123, v121, 0x5040100
	v_perm_b32 v31, v123, v121, 0x7060302
	v_wmma_f16_16x16x16_f16 v[8:15], v[67:74], v[40:47], v[8:15] op_sel:[0,0,1]
	v_perm_b32 v48, v96, v90, 0x5040100
	v_perm_b32 v40, v96, v90, 0x7060302
	;; [unrolled: 1-line block ×16, first 2 shown]
	v_cmp_gt_u32_e64 s0, 16, v64
	s_barrier
	buffer_gl0_inv
	s_and_saveexec_b32 s1, s0
	s_cbranch_execz .LBB0_312
; %bb.311:
	v_or_b32_e32 v59, v93, v64
	v_add_f32_e32 v57, v57, v58
	s_delay_alu instid0(VALU_DEP_2)
	v_mad_i32_i24 v59, 0x90, v59, 0
	ds_store_2addr_b32 v59, v56, v57 offset0:32 offset1:33
.LBB0_312:
	s_or_b32 exec_lo, exec_lo, s1
	v_wmma_f16_16x16x16_f16 v[0:7], v[32:39], v[16:23], v[0:7]
	v_wmma_f16_16x16x16_f16 v[8:15], v[48:55], v[16:23], v[8:15]
	v_cmp_eq_u32_e32 vcc_lo, 0, v131
	v_cmp_eq_u32_e64 s1, 1, v131
	s_waitcnt lgkmcnt(0)
	s_barrier
	buffer_gl0_inv
	s_and_saveexec_b32 s2, s1
	s_delay_alu instid0(SALU_CYCLE_1)
	s_xor_b32 s1, exec_lo, s2
	s_cbranch_execz .LBB0_314
; %bb.313:
	s_barrier
	buffer_gl0_inv
                                        ; implicit-def: $vgpr66
                                        ; implicit-def: $vgpr130
.LBB0_314:
	s_or_saveexec_b32 s2, s1
	v_wmma_f16_16x16x16_f16 v[0:7], v[24:31], v[16:23], v[0:7] op_sel:[0,0,1]
	v_wmma_f16_16x16x16_f16 v[8:15], v[40:47], v[16:23], v[8:15] op_sel:[0,0,1]
	s_xor_b32 exec_lo, exec_lo, s2
	s_cbranch_execz .LBB0_318
; %bb.315:
	v_add_nc_u32_e32 v16, v93, v64
	s_delay_alu instid0(VALU_DEP_1)
	v_mad_i32_i24 v20, 0x90, v16, 0
	ds_load_b64 v[18:19], v20 offset:128
	s_waitcnt lgkmcnt(0)
	s_barrier
	buffer_gl0_inv
	v_max_f32_e32 v17, v18, v18
	ds_bpermute_b32 v16, v66, v18
	s_waitcnt lgkmcnt(0)
	v_max_f32_e32 v16, v16, v16
	s_delay_alu instid0(VALU_DEP_1) | instskip(NEXT) | instid1(VALU_DEP_1)
	v_max_f32_e32 v16, v17, v16
	v_sub_f32_e32 v17, v18, v16
	s_delay_alu instid0(VALU_DEP_1) | instskip(SKIP_1) | instid1(VALU_DEP_2)
	v_mul_f32_e32 v18, 0x3fb8aa3b, v17
	v_cmp_ngt_f32_e64 s1, 0xc2ce8ed0, v17
	v_fma_f32 v21, 0x3fb8aa3b, v17, -v18
	v_rndne_f32_e32 v22, v18
	s_delay_alu instid0(VALU_DEP_1) | instskip(NEXT) | instid1(VALU_DEP_1)
	v_dual_fmamk_f32 v21, v17, 0x32a5705f, v21 :: v_dual_sub_f32 v18, v18, v22
	v_add_f32_e32 v18, v18, v21
	v_cvt_i32_f32_e32 v21, v22
	s_delay_alu instid0(VALU_DEP_2) | instskip(SKIP_2) | instid1(VALU_DEP_1)
	v_exp_f32_e32 v18, v18
	s_waitcnt_depctr 0xfff
	v_ldexp_f32 v18, v18, v21
	v_cndmask_b32_e64 v18, 0, v18, s1
	v_cmp_nlt_f32_e64 s1, 0x42b17218, v17
	s_delay_alu instid0(VALU_DEP_1) | instskip(SKIP_1) | instid1(VALU_DEP_1)
	v_cndmask_b32_e64 v17, 0x7f800000, v18, s1
	s_mov_b32 s1, 0
	v_mul_f32_e32 v18, v19, v17
	ds_bpermute_b32 v18, v66, v18
	s_waitcnt lgkmcnt(0)
	v_fmac_f32_e32 v18, v19, v17
	ds_store_b64 v20, v[17:18] offset:128
	s_and_saveexec_b32 s3, s0
	s_cbranch_execz .LBB0_317
; %bb.316:
	v_or_b32_e32 v17, v130, v64
	s_add_i32 s0, s40, s15
	s_delay_alu instid0(SALU_CYCLE_1) | instskip(NEXT) | instid1(SALU_CYCLE_1)
	s_lshl_b32 s0, s0, 5
	s_lshl_b64 s[0:1], s[0:1], 3
	s_delay_alu instid0(VALU_DEP_1)
	v_lshlrev_b32_e32 v19, 3, v17
	v_mov_b32_e32 v17, v18
	s_add_u32 s0, s30, s0
	s_addc_u32 s1, s31, s1
	global_store_b64 v19, v[16:17], s[0:1]
.LBB0_317:
	s_or_b32 exec_lo, exec_lo, s3
.LBB0_318:
	s_delay_alu instid0(SALU_CYCLE_1) | instskip(SKIP_2) | instid1(VALU_DEP_1)
	s_or_b32 exec_lo, exec_lo, s2
	v_or_b32_e32 v16, v93, v92
	s_mov_b32 s1, 0
	v_mad_i32_i24 v16, v16, 36, v94
	s_delay_alu instid0(VALU_DEP_1)
	v_lshl_add_u32 v16, v16, 2, 0
	ds_store_2addr_b32 v16, v0, v1 offset1:2
	ds_store_2addr_b32 v16, v2, v3 offset0:4 offset1:6
	ds_store_2addr_b32 v16, v4, v5 offset0:8 offset1:10
	ds_store_2addr_b32 v16, v6, v7 offset0:12 offset1:14
	ds_store_2addr_b32 v16, v8, v9 offset0:16 offset1:18
	ds_store_2addr_b32 v16, v10, v11 offset0:20 offset1:22
	ds_store_2addr_b32 v16, v12, v13 offset0:24 offset1:26
	ds_store_2addr_b32 v16, v14, v15 offset0:28 offset1:30
	s_waitcnt lgkmcnt(0)
	s_waitcnt_vscnt null, 0x0
	s_barrier
	buffer_gl0_inv
	s_and_saveexec_b32 s2, vcc_lo
	s_cbranch_execz .LBB0_320
; %bb.319:
	v_bfe_u32 v16, v129, 1, 4
	v_lshrrev_b32_e32 v17, 1, v129
	v_lshlrev_b32_e32 v20, 2, v64
	v_lshlrev_b32_e32 v12, 4, v129
	s_lshl_b32 s0, s40, 6
	v_and_or_b32 v0, 0x3e0, v129, v16
	v_add_nc_u32_e32 v14, 2, v17
	v_add_nc_u32_e32 v15, 4, v17
	;; [unrolled: 1-line block ×4, first 2 shown]
	v_mad_u32_u24 v0, 0x90, v0, 0
	v_lshlrev_b32_e32 v1, 1, v14
	v_and_b32_e32 v2, 15, v14
	v_and_b32_e32 v6, 15, v15
	v_lshlrev_b32_e32 v10, 1, v18
	v_add_nc_u32_e32 v3, 0x80, v0
	v_add_nc_u32_e32 v4, v0, v20
	v_and_or_b32 v5, 0x7e0, v1, v2
	v_and_b32_e32 v11, 15, v18
	v_add_lshl_u32 v22, v12, v64, 3
	ds_load_2addr_stride64_b32 v[0:1], v3 offset1:9
	ds_load_2addr_stride64_b32 v[2:3], v4 offset1:9
	v_lshlrev_b32_e32 v12, 1, v19
	v_mad_u32_u24 v4, 0x90, v5, 0
	v_lshlrev_b32_e32 v5, 1, v15
	s_lshl_b64 s[4:5], s[0:1], 3
	v_lshlrev_b32_e32 v14, 5, v14
	s_add_u32 s3, s30, s4
	v_add_nc_u32_e32 v7, 0x80, v4
	v_add_nc_u32_e32 v8, v4, v20
	v_and_or_b32 v9, 0x7e0, v5, v6
	ds_load_2addr_stride64_b32 v[4:5], v7 offset1:9
	ds_load_2addr_stride64_b32 v[6:7], v8 offset1:9
	s_addc_u32 s4, s31, s5
	v_mad_u32_u24 v8, 0x90, v9, 0
	v_and_or_b32 v9, 0x7e0, v10, v11
	s_lshl_b32 s0, s15, 10
	v_add_nc_u32_e32 v25, 14, v17
	s_lshl_b64 s[0:1], s[0:1], 3
	v_add_nc_u32_e32 v10, 0x80, v8
	s_waitcnt lgkmcnt(2)
	v_fma_mix_f32 v13, v0, v2, 0 op_sel_hi:[0,1,0]
	v_fma_mix_f32 v2, v0, v2, 0 op_sel:[0,1,0] op_sel_hi:[0,1,0]
	v_mad_u32_u24 v21, 0x90, v9, 0
	v_add_nc_u32_e32 v11, v8, v20
	ds_load_2addr_stride64_b32 v[8:9], v10 offset1:9
	ds_load_2addr_stride64_b32 v[10:11], v11 offset1:9
	v_fma_mix_f32 v0, v1, v3, v13 op_sel_hi:[0,1,0]
	v_fma_mix_f32 v1, v1, v3, v2 op_sel:[0,1,0] op_sel_hi:[0,1,0]
	v_add_nc_u32_e32 v2, 0x80, v21
	v_and_b32_e32 v13, 15, v19
	v_add_nc_u32_e32 v21, v21, v20
	s_waitcnt lgkmcnt(2)
	v_fma_mix_f32 v23, v4, v6, 0 op_sel_hi:[0,1,0]
	v_fma_mix_f32 v4, v4, v6, 0 op_sel:[0,1,0] op_sel_hi:[0,1,0]
	ds_load_2addr_stride64_b32 v[2:3], v2 offset1:9
	v_and_or_b32 v6, 0x7e0, v12, v13
	ds_load_2addr_stride64_b32 v[12:13], v21 offset1:9
	s_add_u32 s0, s3, s0
	s_addc_u32 s1, s4, s1
	v_add_lshl_u32 v21, v14, v64, 3
	v_mad_u32_u24 v6, 0x90, v6, 0
	global_store_b64 v22, v[0:1], s[0:1]
	v_fma_mix_f32 v0, v5, v7, v23 op_sel_hi:[0,1,0]
	v_fma_mix_f32 v1, v5, v7, v4 op_sel:[0,1,0] op_sel_hi:[0,1,0]
	v_add_nc_u32_e32 v23, 10, v17
	v_add_nc_u32_e32 v5, 0x80, v6
	;; [unrolled: 1-line block ×3, first 2 shown]
	v_lshlrev_b32_e32 v22, 5, v15
	s_waitcnt lgkmcnt(2)
	v_fma_mix_f32 v4, v8, v10, 0 op_sel_hi:[0,1,0]
	v_fma_mix_f32 v8, v8, v10, 0 op_sel:[0,1,0] op_sel_hi:[0,1,0]
	ds_load_2addr_stride64_b32 v[6:7], v5 offset1:9
	ds_load_2addr_stride64_b32 v[14:15], v14 offset1:9
	v_lshlrev_b32_e32 v10, 1, v23
	v_and_b32_e32 v24, 15, v23
	v_fma_mix_f32 v4, v9, v11, v4 op_sel_hi:[0,1,0]
	v_fma_mix_f32 v5, v9, v11, v8 op_sel:[0,1,0] op_sel_hi:[0,1,0]
	v_lshlrev_b32_e32 v11, 5, v18
	s_waitcnt lgkmcnt(2)
	v_fma_mix_f32 v8, v2, v12, 0 op_sel_hi:[0,1,0]
	v_fma_mix_f32 v9, v2, v12, 0 op_sel:[0,1,0] op_sel_hi:[0,1,0]
	v_and_or_b32 v10, 0x7e0, v10, v24
	v_add_nc_u32_e32 v24, 12, v17
	v_add_lshl_u32 v18, v11, v64, 3
	v_fma_mix_f32 v2, v3, v13, v8 op_sel_hi:[0,1,0]
	v_fma_mix_f32 v3, v3, v13, v9 op_sel:[0,1,0] op_sel_hi:[0,1,0]
	v_mad_u32_u24 v8, 0x90, v10, 0
	v_lshlrev_b32_e32 v9, 1, v24
	v_and_b32_e32 v10, 15, v24
	v_lshlrev_b32_e32 v12, 5, v19
	v_and_b32_e32 v27, 15, v25
	v_add_nc_u32_e32 v11, 0x80, v8
	v_add_nc_u32_e32 v13, v8, v20
	v_and_or_b32 v19, 0x7e0, v9, v10
	s_waitcnt lgkmcnt(0)
	v_fma_mix_f32 v26, v6, v14, 0 op_sel_hi:[0,1,0]
	ds_load_2addr_stride64_b32 v[8:9], v11 offset1:9
	ds_load_2addr_stride64_b32 v[10:11], v13 offset1:9
	v_fma_mix_f32 v14, v6, v14, 0 op_sel:[0,1,0] op_sel_hi:[0,1,0]
	v_mad_u32_u24 v13, 0x90, v19, 0
	v_lshlrev_b32_e32 v19, 1, v25
	v_fma_mix_f32 v6, v7, v15, v26 op_sel_hi:[0,1,0]
	v_add_lshl_u32 v22, v22, v64, 3
	v_fma_mix_f32 v7, v7, v15, v14 op_sel:[0,1,0] op_sel_hi:[0,1,0]
	v_add_nc_u32_e32 v26, 0x80, v13
	v_add_nc_u32_e32 v28, v13, v20
	v_and_or_b32 v19, 0x7e0, v19, v27
	v_add_lshl_u32 v27, v12, v64, 3
	ds_load_2addr_stride64_b32 v[12:13], v26 offset1:9
	ds_load_2addr_stride64_b32 v[14:15], v28 offset1:9
	v_add_nc_u32_e32 v26, 16, v17
	s_clause 0x3
	global_store_b64 v21, v[0:1], s[0:1]
	global_store_b64 v22, v[4:5], s[0:1]
	global_store_b64 v18, v[2:3], s[0:1]
	global_store_b64 v27, v[6:7], s[0:1]
	v_mad_u32_u24 v19, 0x90, v19, 0
	v_lshlrev_b32_e32 v6, 5, v23
	v_add_nc_u32_e32 v18, 18, v17
	v_lshlrev_b32_e32 v0, 1, v26
	v_add_nc_u32_e32 v21, 20, v17
	s_waitcnt lgkmcnt(2)
	v_fma_mix_f32 v1, v8, v10, 0 op_sel_hi:[0,1,0]
	v_fma_mix_f32 v8, v8, v10, 0 op_sel:[0,1,0] op_sel_hi:[0,1,0]
	v_add_nc_u32_e32 v2, 0x80, v19
	v_and_or_b32 v7, 0x7e0, v0, v16
	v_add_lshl_u32 v16, v6, v64, 3
	v_add_nc_u32_e32 v4, v19, v20
	v_fma_mix_f32 v0, v9, v11, v1 op_sel_hi:[0,1,0]
	v_fma_mix_f32 v1, v9, v11, v8 op_sel:[0,1,0] op_sel_hi:[0,1,0]
	v_mad_u32_u24 v7, 0x90, v7, 0
	ds_load_2addr_stride64_b32 v[2:3], v2 offset1:9
	ds_load_2addr_stride64_b32 v[4:5], v4 offset1:9
	v_and_b32_e32 v22, 15, v21
	v_lshlrev_b32_e32 v19, 5, v24
	s_waitcnt lgkmcnt(2)
	v_fma_mix_f32 v10, v12, v14, 0 op_sel_hi:[0,1,0]
	v_add_nc_u32_e32 v6, 0x80, v7
	v_add_nc_u32_e32 v8, v7, v20
	ds_load_2addr_stride64_b32 v[6:7], v6 offset1:9
	ds_load_2addr_stride64_b32 v[8:9], v8 offset1:9
	v_fma_mix_f32 v11, v12, v14, 0 op_sel:[0,1,0] op_sel_hi:[0,1,0]
	v_lshlrev_b32_e32 v12, 1, v18
	v_and_b32_e32 v14, 15, v18
	v_fma_mix_f32 v10, v13, v15, v10 op_sel_hi:[0,1,0]
	v_add_nc_u32_e32 v24, 22, v17
	v_fma_mix_f32 v11, v13, v15, v11 op_sel:[0,1,0] op_sel_hi:[0,1,0]
	v_lshlrev_b32_e32 v15, 1, v21
	v_and_or_b32 v12, 0x7e0, v12, v14
	v_lshlrev_b32_e32 v14, 5, v25
	v_add_lshl_u32 v19, v19, v64, 3
	s_waitcnt lgkmcnt(2)
	v_fma_mix_f32 v13, v2, v4, 0 op_sel_hi:[0,1,0]
	v_and_or_b32 v15, 0x7e0, v15, v22
	v_mad_u32_u24 v12, 0x90, v12, 0
	v_fma_mix_f32 v4, v2, v4, 0 op_sel:[0,1,0] op_sel_hi:[0,1,0]
	v_add_nc_u32_e32 v27, 26, v17
	v_fma_mix_f32 v2, v3, v5, v13 op_sel_hi:[0,1,0]
	v_mad_u32_u24 v15, 0x90, v15, 0
	v_add_nc_u32_e32 v23, 0x80, v12
	v_add_nc_u32_e32 v12, v12, v20
	s_waitcnt lgkmcnt(0)
	v_fma_mix_f32 v22, v6, v8, 0 op_sel_hi:[0,1,0]
	v_fma_mix_f32 v3, v3, v5, v4 op_sel:[0,1,0] op_sel_hi:[0,1,0]
	ds_load_2addr_stride64_b32 v[4:5], v23 offset1:9
	ds_load_2addr_stride64_b32 v[12:13], v12 offset1:9
	v_add_lshl_u32 v23, v14, v64, 3
	v_lshlrev_b32_e32 v14, 5, v26
	v_fma_mix_f32 v8, v6, v8, 0 op_sel:[0,1,0] op_sel_hi:[0,1,0]
	v_fma_mix_f32 v6, v7, v9, v22 op_sel_hi:[0,1,0]
	v_add_nc_u32_e32 v22, 0x80, v15
	v_add_nc_u32_e32 v15, v15, v20
	v_add_lshl_u32 v25, v14, v64, 3
	v_fma_mix_f32 v7, v7, v9, v8 op_sel:[0,1,0] op_sel_hi:[0,1,0]
	ds_load_2addr_stride64_b32 v[8:9], v22 offset1:9
	ds_load_2addr_stride64_b32 v[14:15], v15 offset1:9
	v_lshlrev_b32_e32 v22, 1, v24
	v_and_b32_e32 v26, 15, v24
	s_clause 0x3
	global_store_b64 v16, v[0:1], s[0:1]
	global_store_b64 v19, v[10:11], s[0:1]
	;; [unrolled: 1-line block ×4, first 2 shown]
	v_add_nc_u32_e32 v25, 24, v17
	v_lshlrev_b32_e32 v7, 1, v27
	v_add_nc_u32_e32 v28, 28, v17
	v_and_or_b32 v2, 0x7e0, v22, v26
	v_lshlrev_b32_e32 v3, 5, v18
	v_add_nc_u32_e32 v29, 30, v17
	s_waitcnt lgkmcnt(2)
	v_fma_mix_f32 v0, v4, v12, 0 op_sel_hi:[0,1,0]
	v_fma_mix_f32 v1, v4, v12, 0 op_sel:[0,1,0] op_sel_hi:[0,1,0]
	v_mad_u32_u24 v4, 0x90, v2, 0
	v_lshlrev_b32_e32 v2, 1, v25
	v_and_b32_e32 v16, 15, v28
	v_fma_mix_f32 v0, v5, v13, v0 op_sel_hi:[0,1,0]
	v_fma_mix_f32 v1, v5, v13, v1 op_sel:[0,1,0] op_sel_hi:[0,1,0]
	v_and_b32_e32 v5, 15, v25
	v_lshlrev_b32_e32 v13, 1, v28
	v_add_lshl_u32 v26, v3, v64, 3
	s_waitcnt lgkmcnt(0)
	v_fma_mix_f32 v12, v8, v14, 0 op_sel_hi:[0,1,0]
	v_fma_mix_f32 v14, v8, v14, 0 op_sel:[0,1,0] op_sel_hi:[0,1,0]
	v_and_b32_e32 v8, 15, v27
	v_and_or_b32 v5, 0x7e0, v2, v5
	v_add_nc_u32_e32 v3, 0x80, v4
	v_add_nc_u32_e32 v4, v4, v20
	v_and_or_b32 v13, 0x7e0, v13, v16
	v_and_or_b32 v8, 0x7e0, v7, v8
	v_mad_u32_u24 v6, 0x90, v5, 0
	v_lshlrev_b32_e32 v16, 1, v29
	v_and_b32_e32 v17, 15, v29
	ds_load_2addr_stride64_b32 v[2:3], v3 offset1:9
	v_mad_u32_u24 v8, 0x90, v8, 0
	ds_load_2addr_stride64_b32 v[4:5], v4 offset1:9
	v_add_nc_u32_e32 v10, 0x80, v6
	v_add_nc_u32_e32 v11, v6, v20
	v_mad_u32_u24 v22, 0x90, v13, 0
	v_add_nc_u32_e32 v19, 0x80, v8
	v_and_or_b32 v23, 0x7e0, v16, v17
	v_lshlrev_b32_e32 v18, 5, v21
	v_add_nc_u32_e32 v21, v8, v20
	ds_load_2addr_stride64_b32 v[6:7], v10 offset1:9
	ds_load_2addr_stride64_b32 v[10:11], v11 offset1:9
	v_fma_mix_f32 v8, v9, v15, v12 op_sel_hi:[0,1,0]
	ds_load_2addr_stride64_b32 v[12:13], v19 offset1:9
	ds_load_2addr_stride64_b32 v[16:17], v21 offset1:9
	v_add_nc_u32_e32 v19, 0x80, v22
	v_add_nc_u32_e32 v21, v22, v20
	v_mad_u32_u24 v22, 0x90, v23, 0
	v_fma_mix_f32 v9, v9, v15, v14 op_sel:[0,1,0] op_sel_hi:[0,1,0]
	v_add_lshl_u32 v30, v18, v64, 3
	ds_load_2addr_stride64_b32 v[14:15], v19 offset1:9
	ds_load_2addr_stride64_b32 v[18:19], v21 offset1:9
	v_lshlrev_b32_e32 v24, 5, v24
	v_add_nc_u32_e32 v21, 0x80, v22
	v_add_nc_u32_e32 v22, v22, v20
	ds_load_2addr_stride64_b32 v[20:21], v21 offset1:9
	ds_load_2addr_stride64_b32 v[22:23], v22 offset1:9
	s_waitcnt lgkmcnt(8)
	v_fma_mix_f32 v31, v2, v4, 0 op_sel_hi:[0,1,0]
	v_fma_mix_f32 v4, v2, v4, 0 op_sel:[0,1,0] op_sel_hi:[0,1,0]
	v_add_lshl_u32 v24, v24, v64, 3
	s_delay_alu instid0(VALU_DEP_3)
	v_fma_mix_f32 v2, v3, v5, v31 op_sel_hi:[0,1,0]
	s_waitcnt lgkmcnt(6)
	v_fma_mix_f32 v31, v6, v10, 0 op_sel_hi:[0,1,0]
	v_fma_mix_f32 v3, v3, v5, v4 op_sel:[0,1,0] op_sel_hi:[0,1,0]
	v_fma_mix_f32 v5, v6, v10, 0 op_sel:[0,1,0] op_sel_hi:[0,1,0]
	v_lshlrev_b32_e32 v6, 5, v25
	s_waitcnt lgkmcnt(4)
	v_fma_mix_f32 v10, v12, v16, 0 op_sel_hi:[0,1,0]
	v_fma_mix_f32 v4, v7, v11, v31 op_sel_hi:[0,1,0]
	v_fma_mix_f32 v5, v7, v11, v5 op_sel:[0,1,0] op_sel_hi:[0,1,0]
	v_fma_mix_f32 v7, v12, v16, 0 op_sel:[0,1,0] op_sel_hi:[0,1,0]
	v_lshlrev_b32_e32 v11, 5, v27
	v_add_lshl_u32 v16, v6, v64, 3
	v_fma_mix_f32 v6, v13, v17, v10 op_sel_hi:[0,1,0]
	s_waitcnt lgkmcnt(2)
	v_fma_mix_f32 v10, v14, v18, 0 op_sel_hi:[0,1,0]
	v_fma_mix_f32 v7, v13, v17, v7 op_sel:[0,1,0] op_sel_hi:[0,1,0]
	v_add_lshl_u32 v17, v11, v64, 3
	v_lshlrev_b32_e32 v12, 5, v28
	v_fma_mix_f32 v11, v14, v18, 0 op_sel:[0,1,0] op_sel_hi:[0,1,0]
	s_waitcnt lgkmcnt(0)
	v_fma_mix_f32 v13, v20, v22, 0 op_sel_hi:[0,1,0]
	v_fma_mix_f32 v14, v20, v22, 0 op_sel:[0,1,0] op_sel_hi:[0,1,0]
	v_lshlrev_b32_e32 v18, 5, v29
	v_fma_mix_f32 v10, v15, v19, v10 op_sel_hi:[0,1,0]
	v_fma_mix_f32 v11, v15, v19, v11 op_sel:[0,1,0] op_sel_hi:[0,1,0]
	v_add_lshl_u32 v15, v12, v64, 3
	v_fma_mix_f32 v12, v21, v23, v13 op_sel_hi:[0,1,0]
	v_fma_mix_f32 v13, v21, v23, v14 op_sel:[0,1,0] op_sel_hi:[0,1,0]
	v_add_lshl_u32 v14, v18, v64, 3
	s_clause 0x6
	global_store_b64 v26, v[0:1], s[0:1]
	global_store_b64 v30, v[8:9], s[0:1]
	;; [unrolled: 1-line block ×7, first 2 shown]
.LBB0_320:
	s_or_b32 exec_lo, exec_lo, s2
	s_waitcnt_vscnt null, 0x0
	s_barrier
	buffer_gl0_inv
	s_endpgm
	.section	.rodata,"a",@progbits
	.p2align	6, 0x0
	.amdhsa_kernel _ZL18flash_attn_ext_f16ILi64ELi64ELi8ELi4ELb0ELb0EEvPKcS1_S1_S1_S1_PKiPfP15HIP_vector_typeIfLj2EEffffjfiS5_IjLj3EEiiiiiiiiiiiliiliiiiil
		.amdhsa_group_segment_fixed_size 0
		.amdhsa_private_segment_fixed_size 152
		.amdhsa_kernarg_size 464
		.amdhsa_user_sgpr_count 15
		.amdhsa_user_sgpr_dispatch_ptr 0
		.amdhsa_user_sgpr_queue_ptr 0
		.amdhsa_user_sgpr_kernarg_segment_ptr 1
		.amdhsa_user_sgpr_dispatch_id 0
		.amdhsa_user_sgpr_private_segment_size 0
		.amdhsa_wavefront_size32 1
		.amdhsa_uses_dynamic_stack 0
		.amdhsa_enable_private_segment 1
		.amdhsa_system_sgpr_workgroup_id_x 1
		.amdhsa_system_sgpr_workgroup_id_y 0
		.amdhsa_system_sgpr_workgroup_id_z 0
		.amdhsa_system_sgpr_workgroup_info 0
		.amdhsa_system_vgpr_workitem_id 1
		.amdhsa_next_free_vgpr 256
		.amdhsa_next_free_sgpr 105
		.amdhsa_reserve_vcc 1
		.amdhsa_float_round_mode_32 0
		.amdhsa_float_round_mode_16_64 0
		.amdhsa_float_denorm_mode_32 3
		.amdhsa_float_denorm_mode_16_64 3
		.amdhsa_dx10_clamp 1
		.amdhsa_ieee_mode 1
		.amdhsa_fp16_overflow 0
		.amdhsa_workgroup_processor_mode 1
		.amdhsa_memory_ordered 1
		.amdhsa_forward_progress 0
		.amdhsa_shared_vgpr_count 0
		.amdhsa_exception_fp_ieee_invalid_op 0
		.amdhsa_exception_fp_denorm_src 0
		.amdhsa_exception_fp_ieee_div_zero 0
		.amdhsa_exception_fp_ieee_overflow 0
		.amdhsa_exception_fp_ieee_underflow 0
		.amdhsa_exception_fp_ieee_inexact 0
		.amdhsa_exception_int_div_zero 0
	.end_amdhsa_kernel
	.section	.text._ZL18flash_attn_ext_f16ILi64ELi64ELi8ELi4ELb0ELb0EEvPKcS1_S1_S1_S1_PKiPfP15HIP_vector_typeIfLj2EEffffjfiS5_IjLj3EEiiiiiiiiiiiliiliiiiil,"axG",@progbits,_ZL18flash_attn_ext_f16ILi64ELi64ELi8ELi4ELb0ELb0EEvPKcS1_S1_S1_S1_PKiPfP15HIP_vector_typeIfLj2EEffffjfiS5_IjLj3EEiiiiiiiiiiiliiliiiiil,comdat
.Lfunc_end0:
	.size	_ZL18flash_attn_ext_f16ILi64ELi64ELi8ELi4ELb0ELb0EEvPKcS1_S1_S1_S1_PKiPfP15HIP_vector_typeIfLj2EEffffjfiS5_IjLj3EEiiiiiiiiiiiliiliiiiil, .Lfunc_end0-_ZL18flash_attn_ext_f16ILi64ELi64ELi8ELi4ELb0ELb0EEvPKcS1_S1_S1_S1_PKiPfP15HIP_vector_typeIfLj2EEffffjfiS5_IjLj3EEiiiiiiiiiiiliiliiiiil
                                        ; -- End function
	.section	.AMDGPU.csdata,"",@progbits
; Kernel info:
; codeLenInByte = 62948
; NumSgprs: 107
; NumVgprs: 256
; ScratchSize: 152
; MemoryBound: 0
; FloatMode: 240
; IeeeMode: 1
; LDSByteSize: 0 bytes/workgroup (compile time only)
; SGPRBlocks: 13
; VGPRBlocks: 31
; NumSGPRsForWavesPerEU: 107
; NumVGPRsForWavesPerEU: 256
; Occupancy: 5
; WaveLimiterHint : 0
; COMPUTE_PGM_RSRC2:SCRATCH_EN: 1
; COMPUTE_PGM_RSRC2:USER_SGPR: 15
; COMPUTE_PGM_RSRC2:TRAP_HANDLER: 0
; COMPUTE_PGM_RSRC2:TGID_X_EN: 1
; COMPUTE_PGM_RSRC2:TGID_Y_EN: 0
; COMPUTE_PGM_RSRC2:TGID_Z_EN: 0
; COMPUTE_PGM_RSRC2:TIDIG_COMP_CNT: 1
	.text
	.p2align	2                               ; -- Begin function __ockl_printf_append_string_n
	.type	__ockl_printf_append_string_n,@function
__ockl_printf_append_string_n:          ; @__ockl_printf_append_string_n
; %bb.0:
	s_waitcnt vmcnt(0) expcnt(0) lgkmcnt(0)
	v_dual_mov_b32 v7, v3 :: v_dual_mov_b32 v6, v2
	v_mov_b32_e32 v3, v0
	v_mbcnt_lo_u32_b32 v32, -1, 0
	s_mov_b32 s0, exec_lo
	s_delay_alu instid0(VALU_DEP_3)
	v_cmpx_ne_u64_e32 0, v[6:7]
	s_xor_b32 s10, exec_lo, s0
	s_cbranch_execz .LBB1_86
; %bb.1:
	s_load_b64 s[2:3], s[8:9], 0x50
	v_dual_mov_b32 v10, 2 :: v_dual_and_b32 v33, 2, v3
	v_dual_mov_b32 v9, 0 :: v_dual_and_b32 v0, -3, v3
	v_mov_b32_e32 v11, 1
	s_mov_b32 s12, 0
	s_mov_b32 s11, 0
	s_branch .LBB1_3
.LBB1_2:                                ;   in Loop: Header=BB1_3 Depth=1
	s_or_b32 exec_lo, exec_lo, s1
	v_sub_co_u32 v4, vcc_lo, v4, v28
	v_sub_co_ci_u32_e32 v5, vcc_lo, v5, v29, vcc_lo
	v_add_co_u32 v6, s0, v6, v28
	s_delay_alu instid0(VALU_DEP_1) | instskip(NEXT) | instid1(VALU_DEP_3)
	v_add_co_ci_u32_e64 v7, s0, v7, v29, s0
	v_cmp_eq_u64_e32 vcc_lo, 0, v[4:5]
	s_or_b32 s11, vcc_lo, s11
	s_delay_alu instid0(SALU_CYCLE_1)
	s_and_not1_b32 exec_lo, exec_lo, s11
	s_cbranch_execz .LBB1_85
.LBB1_3:                                ; =>This Loop Header: Depth=1
                                        ;     Child Loop BB1_6 Depth 2
                                        ;     Child Loop BB1_14 Depth 2
                                        ;     Child Loop BB1_22 Depth 2
                                        ;     Child Loop BB1_30 Depth 2
                                        ;     Child Loop BB1_38 Depth 2
                                        ;     Child Loop BB1_46 Depth 2
                                        ;     Child Loop BB1_54 Depth 2
                                        ;     Child Loop BB1_62 Depth 2
                                        ;     Child Loop BB1_70 Depth 2
                                        ;     Child Loop BB1_79 Depth 2
                                        ;     Child Loop BB1_84 Depth 2
	v_cmp_gt_u64_e32 vcc_lo, 56, v[4:5]
	s_mov_b32 s1, exec_lo
                                        ; implicit-def: $vgpr2_vgpr3
                                        ; implicit-def: $sgpr4
	v_dual_cndmask_b32 v29, 0, v5 :: v_dual_cndmask_b32 v28, 56, v4
	v_cmpx_gt_u64_e32 8, v[4:5]
	s_xor_b32 s1, exec_lo, s1
	s_cbranch_execz .LBB1_9
; %bb.4:                                ;   in Loop: Header=BB1_3 Depth=1
	s_waitcnt vmcnt(0)
	v_mov_b32_e32 v2, 0
	v_mov_b32_e32 v3, 0
	s_mov_b64 s[4:5], 0
	s_mov_b32 s6, exec_lo
	v_cmpx_ne_u64_e32 0, v[4:5]
	s_cbranch_execz .LBB1_8
; %bb.5:                                ;   in Loop: Header=BB1_3 Depth=1
	v_lshlrev_b64 v[12:13], 3, v[28:29]
	v_mov_b32_e32 v2, 0
	v_dual_mov_b32 v3, 0 :: v_dual_mov_b32 v14, v7
	v_mov_b32_e32 v13, v6
	s_mov_b32 s7, 0
	.p2align	6
.LBB1_6:                                ;   Parent Loop BB1_3 Depth=1
                                        ; =>  This Inner Loop Header: Depth=2
	flat_load_u8 v8, v[13:14]
	v_mov_b32_e32 v16, s12
	v_add_co_u32 v13, vcc_lo, v13, 1
	v_add_co_ci_u32_e32 v14, vcc_lo, 0, v14, vcc_lo
	s_waitcnt vmcnt(0) lgkmcnt(0)
	v_and_b32_e32 v15, 0xffff, v8
	s_delay_alu instid0(VALU_DEP_1) | instskip(SKIP_3) | instid1(VALU_DEP_2)
	v_lshlrev_b64 v[15:16], s4, v[15:16]
	s_add_u32 s4, s4, 8
	s_addc_u32 s5, s5, 0
	v_cmp_eq_u32_e64 s0, s4, v12
	v_or_b32_e32 v3, v16, v3
	s_delay_alu instid0(VALU_DEP_3) | instskip(NEXT) | instid1(VALU_DEP_3)
	v_or_b32_e32 v2, v15, v2
	s_or_b32 s7, s0, s7
	s_delay_alu instid0(SALU_CYCLE_1)
	s_and_not1_b32 exec_lo, exec_lo, s7
	s_cbranch_execnz .LBB1_6
; %bb.7:                                ;   in Loop: Header=BB1_3 Depth=1
	s_or_b32 exec_lo, exec_lo, s7
.LBB1_8:                                ;   in Loop: Header=BB1_3 Depth=1
	s_delay_alu instid0(SALU_CYCLE_1)
	s_or_b32 exec_lo, exec_lo, s6
	s_mov_b32 s4, 0
.LBB1_9:                                ;   in Loop: Header=BB1_3 Depth=1
	s_or_saveexec_b32 s0, s1
	v_dual_mov_b32 v8, s4 :: v_dual_mov_b32 v25, v7
	v_mov_b32_e32 v24, v6
	s_xor_b32 exec_lo, exec_lo, s0
	s_cbranch_execz .LBB1_11
; %bb.10:                               ;   in Loop: Header=BB1_3 Depth=1
	s_waitcnt vmcnt(0)
	flat_load_b64 v[2:3], v[6:7]
	v_add_co_u32 v24, vcc_lo, v6, 8
	v_add_co_ci_u32_e32 v25, vcc_lo, 0, v7, vcc_lo
	s_waitcnt vmcnt(0) lgkmcnt(0)
	v_and_b32_e32 v8, 0xff, v3
	v_and_b32_e32 v12, 0xff00, v3
	;; [unrolled: 1-line block ×4, first 2 shown]
	v_or3_b32 v2, v2, 0, 0
	s_delay_alu instid0(VALU_DEP_4) | instskip(SKIP_1) | instid1(VALU_DEP_2)
	v_or_b32_e32 v12, v8, v12
	v_add_nc_u32_e32 v8, -8, v28
	v_or3_b32 v3, v12, v13, v3
.LBB1_11:                               ;   in Loop: Header=BB1_3 Depth=1
	s_or_b32 exec_lo, exec_lo, s0
                                        ; implicit-def: $vgpr12_vgpr13
                                        ; implicit-def: $sgpr1
	s_delay_alu instid0(SALU_CYCLE_1) | instskip(NEXT) | instid1(VALU_DEP_2)
	s_mov_b32 s0, exec_lo
	v_cmpx_gt_u32_e32 8, v8
	s_xor_b32 s6, exec_lo, s0
	s_cbranch_execz .LBB1_17
; %bb.12:                               ;   in Loop: Header=BB1_3 Depth=1
	v_mov_b32_e32 v12, 0
	v_mov_b32_e32 v13, 0
	s_mov_b32 s7, exec_lo
	v_cmpx_ne_u32_e32 0, v8
	s_cbranch_execz .LBB1_16
; %bb.13:                               ;   in Loop: Header=BB1_3 Depth=1
	v_mov_b32_e32 v12, 0
	v_mov_b32_e32 v13, 0
	s_mov_b64 s[0:1], 0
	s_mov_b32 s13, 0
	s_mov_b64 s[4:5], 0
	.p2align	6
.LBB1_14:                               ;   Parent Loop BB1_3 Depth=1
                                        ; =>  This Inner Loop Header: Depth=2
	s_delay_alu instid0(SALU_CYCLE_1)
	v_add_co_u32 v14, vcc_lo, v24, s4
	v_add_co_ci_u32_e32 v15, vcc_lo, s5, v25, vcc_lo
	s_add_u32 s4, s4, 1
	s_addc_u32 s5, s5, 0
	v_cmp_eq_u32_e32 vcc_lo, s4, v8
	flat_load_u8 v14, v[14:15]
	s_waitcnt vmcnt(0) lgkmcnt(0)
	v_dual_mov_b32 v15, s12 :: v_dual_and_b32 v14, 0xffff, v14
	s_delay_alu instid0(VALU_DEP_1) | instskip(SKIP_3) | instid1(VALU_DEP_1)
	v_lshlrev_b64 v[14:15], s0, v[14:15]
	s_add_u32 s0, s0, 8
	s_addc_u32 s1, s1, 0
	s_or_b32 s13, vcc_lo, s13
	v_or_b32_e32 v13, v15, v13
	s_delay_alu instid0(VALU_DEP_2)
	v_or_b32_e32 v12, v14, v12
	s_and_not1_b32 exec_lo, exec_lo, s13
	s_cbranch_execnz .LBB1_14
; %bb.15:                               ;   in Loop: Header=BB1_3 Depth=1
	s_or_b32 exec_lo, exec_lo, s13
.LBB1_16:                               ;   in Loop: Header=BB1_3 Depth=1
	s_delay_alu instid0(SALU_CYCLE_1)
	s_or_b32 exec_lo, exec_lo, s7
	s_mov_b32 s1, 0
                                        ; implicit-def: $vgpr8
.LBB1_17:                               ;   in Loop: Header=BB1_3 Depth=1
	s_or_saveexec_b32 s0, s6
	v_mov_b32_e32 v16, s1
	s_xor_b32 exec_lo, exec_lo, s0
	s_cbranch_execz .LBB1_19
; %bb.18:                               ;   in Loop: Header=BB1_3 Depth=1
	flat_load_b64 v[12:13], v[24:25]
	v_add_co_u32 v24, vcc_lo, v24, 8
	v_add_nc_u32_e32 v16, -8, v8
	v_add_co_ci_u32_e32 v25, vcc_lo, 0, v25, vcc_lo
	s_waitcnt vmcnt(0) lgkmcnt(0)
	v_and_b32_e32 v14, 0xff, v13
	v_and_b32_e32 v15, 0xff00, v13
	;; [unrolled: 1-line block ×4, first 2 shown]
	v_or3_b32 v12, v12, 0, 0
	s_delay_alu instid0(VALU_DEP_4) | instskip(NEXT) | instid1(VALU_DEP_1)
	v_or_b32_e32 v14, v14, v15
	v_or3_b32 v13, v14, v17, v13
.LBB1_19:                               ;   in Loop: Header=BB1_3 Depth=1
	s_or_b32 exec_lo, exec_lo, s0
                                        ; implicit-def: $sgpr1
	s_delay_alu instid0(SALU_CYCLE_1)
	s_mov_b32 s0, exec_lo
	v_cmpx_gt_u32_e32 8, v16
	s_xor_b32 s6, exec_lo, s0
	s_cbranch_execz .LBB1_25
; %bb.20:                               ;   in Loop: Header=BB1_3 Depth=1
	v_mov_b32_e32 v14, 0
	v_mov_b32_e32 v15, 0
	s_mov_b32 s7, exec_lo
	v_cmpx_ne_u32_e32 0, v16
	s_cbranch_execz .LBB1_24
; %bb.21:                               ;   in Loop: Header=BB1_3 Depth=1
	v_mov_b32_e32 v14, 0
	v_mov_b32_e32 v15, 0
	s_mov_b64 s[0:1], 0
	s_mov_b32 s13, 0
	s_mov_b64 s[4:5], 0
	.p2align	6
.LBB1_22:                               ;   Parent Loop BB1_3 Depth=1
                                        ; =>  This Inner Loop Header: Depth=2
	s_delay_alu instid0(SALU_CYCLE_1)
	v_add_co_u32 v17, vcc_lo, v24, s4
	v_add_co_ci_u32_e32 v18, vcc_lo, s5, v25, vcc_lo
	s_add_u32 s4, s4, 1
	s_addc_u32 s5, s5, 0
	v_cmp_eq_u32_e32 vcc_lo, s4, v16
	flat_load_u8 v8, v[17:18]
	s_waitcnt vmcnt(0) lgkmcnt(0)
	v_dual_mov_b32 v18, s12 :: v_dual_and_b32 v17, 0xffff, v8
	s_delay_alu instid0(VALU_DEP_1) | instskip(SKIP_3) | instid1(VALU_DEP_1)
	v_lshlrev_b64 v[17:18], s0, v[17:18]
	s_add_u32 s0, s0, 8
	s_addc_u32 s1, s1, 0
	s_or_b32 s13, vcc_lo, s13
	v_or_b32_e32 v15, v18, v15
	s_delay_alu instid0(VALU_DEP_2)
	v_or_b32_e32 v14, v17, v14
	s_and_not1_b32 exec_lo, exec_lo, s13
	s_cbranch_execnz .LBB1_22
; %bb.23:                               ;   in Loop: Header=BB1_3 Depth=1
	s_or_b32 exec_lo, exec_lo, s13
.LBB1_24:                               ;   in Loop: Header=BB1_3 Depth=1
	s_delay_alu instid0(SALU_CYCLE_1)
	s_or_b32 exec_lo, exec_lo, s7
	s_mov_b32 s1, 0
                                        ; implicit-def: $vgpr16
.LBB1_25:                               ;   in Loop: Header=BB1_3 Depth=1
	s_or_saveexec_b32 s0, s6
	v_mov_b32_e32 v8, s1
	s_xor_b32 exec_lo, exec_lo, s0
	s_cbranch_execz .LBB1_27
; %bb.26:                               ;   in Loop: Header=BB1_3 Depth=1
	flat_load_b64 v[14:15], v[24:25]
	v_add_co_u32 v24, vcc_lo, v24, 8
	v_add_co_ci_u32_e32 v25, vcc_lo, 0, v25, vcc_lo
	s_waitcnt vmcnt(0) lgkmcnt(0)
	v_and_b32_e32 v8, 0xff, v15
	v_and_b32_e32 v17, 0xff00, v15
	;; [unrolled: 1-line block ×4, first 2 shown]
	v_or3_b32 v14, v14, 0, 0
	s_delay_alu instid0(VALU_DEP_4) | instskip(SKIP_1) | instid1(VALU_DEP_2)
	v_or_b32_e32 v17, v8, v17
	v_add_nc_u32_e32 v8, -8, v16
	v_or3_b32 v15, v17, v18, v15
.LBB1_27:                               ;   in Loop: Header=BB1_3 Depth=1
	s_or_b32 exec_lo, exec_lo, s0
                                        ; implicit-def: $vgpr16_vgpr17
                                        ; implicit-def: $sgpr1
	s_delay_alu instid0(SALU_CYCLE_1) | instskip(NEXT) | instid1(VALU_DEP_1)
	s_mov_b32 s0, exec_lo
	v_cmpx_gt_u32_e32 8, v8
	s_xor_b32 s6, exec_lo, s0
	s_cbranch_execz .LBB1_33
; %bb.28:                               ;   in Loop: Header=BB1_3 Depth=1
	v_mov_b32_e32 v16, 0
	v_mov_b32_e32 v17, 0
	s_mov_b32 s7, exec_lo
	v_cmpx_ne_u32_e32 0, v8
	s_cbranch_execz .LBB1_32
; %bb.29:                               ;   in Loop: Header=BB1_3 Depth=1
	v_mov_b32_e32 v16, 0
	v_mov_b32_e32 v17, 0
	s_mov_b64 s[0:1], 0
	s_mov_b32 s13, 0
	s_mov_b64 s[4:5], 0
	.p2align	6
.LBB1_30:                               ;   Parent Loop BB1_3 Depth=1
                                        ; =>  This Inner Loop Header: Depth=2
	s_delay_alu instid0(SALU_CYCLE_1)
	v_add_co_u32 v18, vcc_lo, v24, s4
	v_add_co_ci_u32_e32 v19, vcc_lo, s5, v25, vcc_lo
	s_add_u32 s4, s4, 1
	s_addc_u32 s5, s5, 0
	v_cmp_eq_u32_e32 vcc_lo, s4, v8
	flat_load_u8 v18, v[18:19]
	s_waitcnt vmcnt(0) lgkmcnt(0)
	v_dual_mov_b32 v19, s12 :: v_dual_and_b32 v18, 0xffff, v18
	s_delay_alu instid0(VALU_DEP_1) | instskip(SKIP_3) | instid1(VALU_DEP_1)
	v_lshlrev_b64 v[18:19], s0, v[18:19]
	s_add_u32 s0, s0, 8
	s_addc_u32 s1, s1, 0
	s_or_b32 s13, vcc_lo, s13
	v_or_b32_e32 v17, v19, v17
	s_delay_alu instid0(VALU_DEP_2)
	v_or_b32_e32 v16, v18, v16
	s_and_not1_b32 exec_lo, exec_lo, s13
	s_cbranch_execnz .LBB1_30
; %bb.31:                               ;   in Loop: Header=BB1_3 Depth=1
	s_or_b32 exec_lo, exec_lo, s13
.LBB1_32:                               ;   in Loop: Header=BB1_3 Depth=1
	s_delay_alu instid0(SALU_CYCLE_1)
	s_or_b32 exec_lo, exec_lo, s7
	s_mov_b32 s1, 0
                                        ; implicit-def: $vgpr8
.LBB1_33:                               ;   in Loop: Header=BB1_3 Depth=1
	s_or_saveexec_b32 s0, s6
	v_mov_b32_e32 v20, s1
	s_xor_b32 exec_lo, exec_lo, s0
	s_cbranch_execz .LBB1_35
; %bb.34:                               ;   in Loop: Header=BB1_3 Depth=1
	flat_load_b64 v[16:17], v[24:25]
	v_add_co_u32 v24, vcc_lo, v24, 8
	v_add_nc_u32_e32 v20, -8, v8
	v_add_co_ci_u32_e32 v25, vcc_lo, 0, v25, vcc_lo
	s_waitcnt vmcnt(0) lgkmcnt(0)
	v_and_b32_e32 v18, 0xff, v17
	v_and_b32_e32 v19, 0xff00, v17
	;; [unrolled: 1-line block ×4, first 2 shown]
	v_or3_b32 v16, v16, 0, 0
	s_delay_alu instid0(VALU_DEP_4) | instskip(NEXT) | instid1(VALU_DEP_1)
	v_or_b32_e32 v18, v18, v19
	v_or3_b32 v17, v18, v21, v17
.LBB1_35:                               ;   in Loop: Header=BB1_3 Depth=1
	s_or_b32 exec_lo, exec_lo, s0
                                        ; implicit-def: $sgpr1
	s_delay_alu instid0(SALU_CYCLE_1)
	s_mov_b32 s0, exec_lo
	v_cmpx_gt_u32_e32 8, v20
	s_xor_b32 s6, exec_lo, s0
	s_cbranch_execz .LBB1_41
; %bb.36:                               ;   in Loop: Header=BB1_3 Depth=1
	v_mov_b32_e32 v18, 0
	v_mov_b32_e32 v19, 0
	s_mov_b32 s7, exec_lo
	v_cmpx_ne_u32_e32 0, v20
	s_cbranch_execz .LBB1_40
; %bb.37:                               ;   in Loop: Header=BB1_3 Depth=1
	v_mov_b32_e32 v18, 0
	v_mov_b32_e32 v19, 0
	s_mov_b64 s[0:1], 0
	s_mov_b32 s13, 0
	s_mov_b64 s[4:5], 0
	.p2align	6
.LBB1_38:                               ;   Parent Loop BB1_3 Depth=1
                                        ; =>  This Inner Loop Header: Depth=2
	s_delay_alu instid0(SALU_CYCLE_1)
	v_add_co_u32 v21, vcc_lo, v24, s4
	v_add_co_ci_u32_e32 v22, vcc_lo, s5, v25, vcc_lo
	s_add_u32 s4, s4, 1
	s_addc_u32 s5, s5, 0
	v_cmp_eq_u32_e32 vcc_lo, s4, v20
	flat_load_u8 v8, v[21:22]
	s_waitcnt vmcnt(0) lgkmcnt(0)
	v_dual_mov_b32 v22, s12 :: v_dual_and_b32 v21, 0xffff, v8
	s_delay_alu instid0(VALU_DEP_1) | instskip(SKIP_3) | instid1(VALU_DEP_1)
	v_lshlrev_b64 v[21:22], s0, v[21:22]
	s_add_u32 s0, s0, 8
	s_addc_u32 s1, s1, 0
	s_or_b32 s13, vcc_lo, s13
	v_or_b32_e32 v19, v22, v19
	s_delay_alu instid0(VALU_DEP_2)
	v_or_b32_e32 v18, v21, v18
	s_and_not1_b32 exec_lo, exec_lo, s13
	s_cbranch_execnz .LBB1_38
; %bb.39:                               ;   in Loop: Header=BB1_3 Depth=1
	s_or_b32 exec_lo, exec_lo, s13
.LBB1_40:                               ;   in Loop: Header=BB1_3 Depth=1
	s_delay_alu instid0(SALU_CYCLE_1)
	s_or_b32 exec_lo, exec_lo, s7
	s_mov_b32 s1, 0
                                        ; implicit-def: $vgpr20
.LBB1_41:                               ;   in Loop: Header=BB1_3 Depth=1
	s_or_saveexec_b32 s0, s6
	v_mov_b32_e32 v8, s1
	s_xor_b32 exec_lo, exec_lo, s0
	s_cbranch_execz .LBB1_43
; %bb.42:                               ;   in Loop: Header=BB1_3 Depth=1
	flat_load_b64 v[18:19], v[24:25]
	v_add_co_u32 v24, vcc_lo, v24, 8
	v_add_co_ci_u32_e32 v25, vcc_lo, 0, v25, vcc_lo
	s_waitcnt vmcnt(0) lgkmcnt(0)
	v_and_b32_e32 v8, 0xff, v19
	v_and_b32_e32 v21, 0xff00, v19
	;; [unrolled: 1-line block ×4, first 2 shown]
	v_or3_b32 v18, v18, 0, 0
	s_delay_alu instid0(VALU_DEP_4) | instskip(SKIP_1) | instid1(VALU_DEP_2)
	v_or_b32_e32 v21, v8, v21
	v_add_nc_u32_e32 v8, -8, v20
	v_or3_b32 v19, v21, v22, v19
.LBB1_43:                               ;   in Loop: Header=BB1_3 Depth=1
	s_or_b32 exec_lo, exec_lo, s0
                                        ; implicit-def: $vgpr20_vgpr21
                                        ; implicit-def: $sgpr1
	s_delay_alu instid0(SALU_CYCLE_1) | instskip(NEXT) | instid1(VALU_DEP_1)
	s_mov_b32 s0, exec_lo
	v_cmpx_gt_u32_e32 8, v8
	s_xor_b32 s6, exec_lo, s0
	s_cbranch_execz .LBB1_49
; %bb.44:                               ;   in Loop: Header=BB1_3 Depth=1
	v_mov_b32_e32 v20, 0
	v_mov_b32_e32 v21, 0
	s_mov_b32 s7, exec_lo
	v_cmpx_ne_u32_e32 0, v8
	s_cbranch_execz .LBB1_48
; %bb.45:                               ;   in Loop: Header=BB1_3 Depth=1
	v_mov_b32_e32 v20, 0
	v_mov_b32_e32 v21, 0
	s_mov_b64 s[0:1], 0
	s_mov_b32 s13, 0
	s_mov_b64 s[4:5], 0
	.p2align	6
.LBB1_46:                               ;   Parent Loop BB1_3 Depth=1
                                        ; =>  This Inner Loop Header: Depth=2
	s_delay_alu instid0(SALU_CYCLE_1)
	v_add_co_u32 v22, vcc_lo, v24, s4
	v_add_co_ci_u32_e32 v23, vcc_lo, s5, v25, vcc_lo
	s_add_u32 s4, s4, 1
	s_addc_u32 s5, s5, 0
	v_cmp_eq_u32_e32 vcc_lo, s4, v8
	flat_load_u8 v22, v[22:23]
	s_waitcnt vmcnt(0) lgkmcnt(0)
	v_dual_mov_b32 v23, s12 :: v_dual_and_b32 v22, 0xffff, v22
	s_delay_alu instid0(VALU_DEP_1) | instskip(SKIP_3) | instid1(VALU_DEP_1)
	v_lshlrev_b64 v[22:23], s0, v[22:23]
	s_add_u32 s0, s0, 8
	s_addc_u32 s1, s1, 0
	s_or_b32 s13, vcc_lo, s13
	v_or_b32_e32 v21, v23, v21
	s_delay_alu instid0(VALU_DEP_2)
	v_or_b32_e32 v20, v22, v20
	s_and_not1_b32 exec_lo, exec_lo, s13
	s_cbranch_execnz .LBB1_46
; %bb.47:                               ;   in Loop: Header=BB1_3 Depth=1
	s_or_b32 exec_lo, exec_lo, s13
.LBB1_48:                               ;   in Loop: Header=BB1_3 Depth=1
	s_delay_alu instid0(SALU_CYCLE_1)
	s_or_b32 exec_lo, exec_lo, s7
	s_mov_b32 s1, 0
                                        ; implicit-def: $vgpr8
.LBB1_49:                               ;   in Loop: Header=BB1_3 Depth=1
	s_or_saveexec_b32 s0, s6
	v_mov_b32_e32 v26, s1
	s_xor_b32 exec_lo, exec_lo, s0
	s_cbranch_execz .LBB1_51
; %bb.50:                               ;   in Loop: Header=BB1_3 Depth=1
	flat_load_b64 v[20:21], v[24:25]
	v_add_co_u32 v24, vcc_lo, v24, 8
	v_add_nc_u32_e32 v26, -8, v8
	v_add_co_ci_u32_e32 v25, vcc_lo, 0, v25, vcc_lo
	s_waitcnt vmcnt(0) lgkmcnt(0)
	v_and_b32_e32 v22, 0xff, v21
	v_and_b32_e32 v23, 0xff00, v21
	;; [unrolled: 1-line block ×4, first 2 shown]
	v_or3_b32 v20, v20, 0, 0
	s_delay_alu instid0(VALU_DEP_4) | instskip(NEXT) | instid1(VALU_DEP_1)
	v_or_b32_e32 v22, v22, v23
	v_or3_b32 v21, v22, v27, v21
.LBB1_51:                               ;   in Loop: Header=BB1_3 Depth=1
	s_or_b32 exec_lo, exec_lo, s0
	s_delay_alu instid0(SALU_CYCLE_1)
	s_mov_b32 s0, exec_lo
	v_cmpx_gt_u32_e32 8, v26
	s_xor_b32 s4, exec_lo, s0
	s_cbranch_execz .LBB1_57
; %bb.52:                               ;   in Loop: Header=BB1_3 Depth=1
	v_mov_b32_e32 v22, 0
	v_mov_b32_e32 v23, 0
	s_mov_b32 s5, exec_lo
	v_cmpx_ne_u32_e32 0, v26
	s_cbranch_execz .LBB1_56
; %bb.53:                               ;   in Loop: Header=BB1_3 Depth=1
	v_mov_b32_e32 v22, 0
	v_mov_b32_e32 v23, 0
	s_mov_b64 s[0:1], 0
	s_mov_b32 s6, 0
	.p2align	6
.LBB1_54:                               ;   Parent Loop BB1_3 Depth=1
                                        ; =>  This Inner Loop Header: Depth=2
	flat_load_u8 v8, v[24:25]
	v_dual_mov_b32 v31, s12 :: v_dual_add_nc_u32 v26, -1, v26
	v_add_co_u32 v24, vcc_lo, v24, 1
	v_add_co_ci_u32_e32 v25, vcc_lo, 0, v25, vcc_lo
	s_delay_alu instid0(VALU_DEP_3) | instskip(SKIP_2) | instid1(VALU_DEP_1)
	v_cmp_eq_u32_e32 vcc_lo, 0, v26
	s_waitcnt vmcnt(0) lgkmcnt(0)
	v_and_b32_e32 v30, 0xffff, v8
	v_lshlrev_b64 v[30:31], s0, v[30:31]
	s_add_u32 s0, s0, 8
	s_addc_u32 s1, s1, 0
	s_or_b32 s6, vcc_lo, s6
	s_delay_alu instid0(VALU_DEP_1) | instskip(NEXT) | instid1(VALU_DEP_2)
	v_or_b32_e32 v23, v31, v23
	v_or_b32_e32 v22, v30, v22
	s_and_not1_b32 exec_lo, exec_lo, s6
	s_cbranch_execnz .LBB1_54
; %bb.55:                               ;   in Loop: Header=BB1_3 Depth=1
	s_or_b32 exec_lo, exec_lo, s6
.LBB1_56:                               ;   in Loop: Header=BB1_3 Depth=1
	s_delay_alu instid0(SALU_CYCLE_1)
	s_or_b32 exec_lo, exec_lo, s5
                                        ; implicit-def: $vgpr24_vgpr25
.LBB1_57:                               ;   in Loop: Header=BB1_3 Depth=1
	s_and_not1_saveexec_b32 s0, s4
	s_cbranch_execz .LBB1_59
; %bb.58:                               ;   in Loop: Header=BB1_3 Depth=1
	flat_load_b64 v[22:23], v[24:25]
	s_waitcnt vmcnt(0) lgkmcnt(0)
	v_and_b32_e32 v8, 0xff, v23
	v_and_b32_e32 v24, 0xff00, v23
	;; [unrolled: 1-line block ×4, first 2 shown]
	v_or3_b32 v22, v22, 0, 0
	s_delay_alu instid0(VALU_DEP_4) | instskip(NEXT) | instid1(VALU_DEP_1)
	v_or_b32_e32 v8, v8, v24
	v_or3_b32 v23, v8, v25, v23
.LBB1_59:                               ;   in Loop: Header=BB1_3 Depth=1
	s_or_b32 exec_lo, exec_lo, s0
	v_readfirstlane_b32 s0, v32
	v_mov_b32_e32 v30, 0
	v_mov_b32_e32 v31, 0
	s_delay_alu instid0(VALU_DEP_3) | instskip(NEXT) | instid1(VALU_DEP_1)
	v_cmp_eq_u32_e64 s0, s0, v32
	s_and_saveexec_b32 s1, s0
	s_cbranch_execz .LBB1_65
; %bb.60:                               ;   in Loop: Header=BB1_3 Depth=1
	s_waitcnt lgkmcnt(0)
	global_load_b64 v[26:27], v9, s[2:3] offset:24 glc
	s_waitcnt vmcnt(0)
	buffer_gl1_inv
	buffer_gl0_inv
	s_clause 0x1
	global_load_b64 v[24:25], v9, s[2:3] offset:40
	global_load_b64 v[30:31], v9, s[2:3]
	s_mov_b32 s4, exec_lo
	s_waitcnt vmcnt(1)
	v_and_b32_e32 v8, v25, v27
	v_and_b32_e32 v24, v24, v26
	s_delay_alu instid0(VALU_DEP_2) | instskip(NEXT) | instid1(VALU_DEP_2)
	v_mul_lo_u32 v8, v8, 24
	v_mul_hi_u32 v25, v24, 24
	v_mul_lo_u32 v24, v24, 24
	s_delay_alu instid0(VALU_DEP_2) | instskip(SKIP_1) | instid1(VALU_DEP_2)
	v_add_nc_u32_e32 v8, v25, v8
	s_waitcnt vmcnt(0)
	v_add_co_u32 v24, vcc_lo, v30, v24
	s_delay_alu instid0(VALU_DEP_2)
	v_add_co_ci_u32_e32 v25, vcc_lo, v31, v8, vcc_lo
	global_load_b64 v[24:25], v[24:25], off glc
	s_waitcnt vmcnt(0)
	global_atomic_cmpswap_b64 v[30:31], v9, v[24:27], s[2:3] offset:24 glc
	s_waitcnt vmcnt(0)
	buffer_gl1_inv
	buffer_gl0_inv
	v_cmpx_ne_u64_e64 v[30:31], v[26:27]
	s_cbranch_execz .LBB1_64
; %bb.61:                               ;   in Loop: Header=BB1_3 Depth=1
	s_mov_b32 s5, 0
	.p2align	6
.LBB1_62:                               ;   Parent Loop BB1_3 Depth=1
                                        ; =>  This Inner Loop Header: Depth=2
	s_sleep 1
	s_clause 0x1
	global_load_b64 v[24:25], v9, s[2:3] offset:40
	global_load_b64 v[34:35], v9, s[2:3]
	v_dual_mov_b32 v26, v30 :: v_dual_mov_b32 v27, v31
	s_waitcnt vmcnt(1)
	s_delay_alu instid0(VALU_DEP_1) | instskip(SKIP_1) | instid1(VALU_DEP_1)
	v_and_b32_e32 v8, v24, v26
	s_waitcnt vmcnt(0)
	v_mad_u64_u32 v[30:31], null, v8, 24, v[34:35]
	v_and_b32_e32 v34, v25, v27
	s_delay_alu instid0(VALU_DEP_2) | instskip(NEXT) | instid1(VALU_DEP_1)
	v_mov_b32_e32 v8, v31
	v_mad_u64_u32 v[24:25], null, v34, 24, v[8:9]
	s_delay_alu instid0(VALU_DEP_1)
	v_mov_b32_e32 v31, v24
	global_load_b64 v[24:25], v[30:31], off glc
	s_waitcnt vmcnt(0)
	global_atomic_cmpswap_b64 v[30:31], v9, v[24:27], s[2:3] offset:24 glc
	s_waitcnt vmcnt(0)
	buffer_gl1_inv
	buffer_gl0_inv
	v_cmp_eq_u64_e32 vcc_lo, v[30:31], v[26:27]
	s_or_b32 s5, vcc_lo, s5
	s_delay_alu instid0(SALU_CYCLE_1)
	s_and_not1_b32 exec_lo, exec_lo, s5
	s_cbranch_execnz .LBB1_62
; %bb.63:                               ;   in Loop: Header=BB1_3 Depth=1
	s_or_b32 exec_lo, exec_lo, s5
.LBB1_64:                               ;   in Loop: Header=BB1_3 Depth=1
	s_delay_alu instid0(SALU_CYCLE_1)
	s_or_b32 exec_lo, exec_lo, s4
.LBB1_65:                               ;   in Loop: Header=BB1_3 Depth=1
	s_delay_alu instid0(SALU_CYCLE_1)
	s_or_b32 exec_lo, exec_lo, s1
	s_waitcnt lgkmcnt(0)
	s_clause 0x1
	global_load_b64 v[34:35], v9, s[2:3] offset:40
	global_load_b128 v[24:27], v9, s[2:3]
	v_readfirstlane_b32 s4, v30
	v_readfirstlane_b32 s5, v31
	s_mov_b32 s1, exec_lo
	s_waitcnt vmcnt(1)
	v_readfirstlane_b32 s6, v34
	v_readfirstlane_b32 s7, v35
	s_delay_alu instid0(VALU_DEP_1) | instskip(NEXT) | instid1(SALU_CYCLE_1)
	s_and_b64 s[6:7], s[4:5], s[6:7]
	s_mul_i32 s13, s7, 24
	s_mul_hi_u32 s14, s6, 24
	s_mul_i32 s15, s6, 24
	s_add_i32 s14, s14, s13
	s_waitcnt vmcnt(0)
	v_add_co_u32 v30, vcc_lo, v24, s15
	v_add_co_ci_u32_e32 v31, vcc_lo, s14, v25, vcc_lo
	s_and_saveexec_b32 s13, s0
	s_cbranch_execz .LBB1_67
; %bb.66:                               ;   in Loop: Header=BB1_3 Depth=1
	v_mov_b32_e32 v8, s1
	global_store_b128 v[30:31], v[8:11], off offset:8
.LBB1_67:                               ;   in Loop: Header=BB1_3 Depth=1
	s_or_b32 exec_lo, exec_lo, s13
	v_cmp_lt_u64_e32 vcc_lo, 56, v[4:5]
	v_or_b32_e32 v8, 0, v1
	v_or_b32_e32 v34, v0, v33
	v_lshl_add_u32 v35, v28, 2, 28
	s_lshl_b64 s[6:7], s[6:7], 12
	s_delay_alu instid0(SALU_CYCLE_1) | instskip(NEXT) | instid1(VALU_DEP_1)
	v_add_co_u32 v26, s1, v26, s6
	v_add_co_ci_u32_e64 v27, s1, s7, v27, s1
	v_dual_cndmask_b32 v1, v8, v1 :: v_dual_cndmask_b32 v0, v34, v0
	v_and_b32_e32 v8, 0x1e0, v35
	v_lshlrev_b32_e32 v34, 6, v32
	v_readfirstlane_b32 s6, v26
	v_readfirstlane_b32 s7, v27
	s_delay_alu instid0(VALU_DEP_4)
	v_and_or_b32 v0, 0xffffff1f, v0, v8
	s_clause 0x3
	global_store_b128 v34, v[0:3], s[6:7]
	global_store_b128 v34, v[12:15], s[6:7] offset:16
	global_store_b128 v34, v[16:19], s[6:7] offset:32
	;; [unrolled: 1-line block ×3, first 2 shown]
	s_and_saveexec_b32 s1, s0
	s_cbranch_execz .LBB1_75
; %bb.68:                               ;   in Loop: Header=BB1_3 Depth=1
	s_clause 0x1
	global_load_b64 v[16:17], v9, s[2:3] offset:32 glc
	global_load_b64 v[0:1], v9, s[2:3] offset:40
	v_dual_mov_b32 v14, s4 :: v_dual_mov_b32 v15, s5
	s_waitcnt vmcnt(0)
	v_readfirstlane_b32 s6, v0
	v_readfirstlane_b32 s7, v1
	s_delay_alu instid0(VALU_DEP_1) | instskip(NEXT) | instid1(SALU_CYCLE_1)
	s_and_b64 s[6:7], s[6:7], s[4:5]
	s_mul_i32 s7, s7, 24
	s_mul_hi_u32 s13, s6, 24
	s_mul_i32 s6, s6, 24
	s_add_i32 s13, s13, s7
	v_add_co_u32 v12, vcc_lo, v24, s6
	v_add_co_ci_u32_e32 v13, vcc_lo, s13, v25, vcc_lo
	s_mov_b32 s6, exec_lo
	global_store_b64 v[12:13], v[16:17], off
	s_waitcnt_vscnt null, 0x0
	global_atomic_cmpswap_b64 v[2:3], v9, v[14:17], s[2:3] offset:32 glc
	s_waitcnt vmcnt(0)
	v_cmpx_ne_u64_e64 v[2:3], v[16:17]
	s_cbranch_execz .LBB1_71
; %bb.69:                               ;   in Loop: Header=BB1_3 Depth=1
	s_mov_b32 s7, 0
.LBB1_70:                               ;   Parent Loop BB1_3 Depth=1
                                        ; =>  This Inner Loop Header: Depth=2
	v_dual_mov_b32 v0, s4 :: v_dual_mov_b32 v1, s5
	s_sleep 1
	global_store_b64 v[12:13], v[2:3], off
	s_waitcnt_vscnt null, 0x0
	global_atomic_cmpswap_b64 v[0:1], v9, v[0:3], s[2:3] offset:32 glc
	s_waitcnt vmcnt(0)
	v_cmp_eq_u64_e32 vcc_lo, v[0:1], v[2:3]
	v_dual_mov_b32 v3, v1 :: v_dual_mov_b32 v2, v0
	s_or_b32 s7, vcc_lo, s7
	s_delay_alu instid0(SALU_CYCLE_1)
	s_and_not1_b32 exec_lo, exec_lo, s7
	s_cbranch_execnz .LBB1_70
.LBB1_71:                               ;   in Loop: Header=BB1_3 Depth=1
	s_or_b32 exec_lo, exec_lo, s6
	global_load_b64 v[0:1], v9, s[2:3] offset:16
	s_mov_b32 s7, exec_lo
	s_mov_b32 s6, exec_lo
	v_mbcnt_lo_u32_b32 v2, s7, 0
	s_delay_alu instid0(VALU_DEP_1)
	v_cmpx_eq_u32_e32 0, v2
	s_cbranch_execz .LBB1_73
; %bb.72:                               ;   in Loop: Header=BB1_3 Depth=1
	s_bcnt1_i32_b32 s7, s7
	s_delay_alu instid0(SALU_CYCLE_1)
	v_mov_b32_e32 v8, s7
	s_waitcnt vmcnt(0)
	global_atomic_add_u64 v[0:1], v[8:9], off offset:8
.LBB1_73:                               ;   in Loop: Header=BB1_3 Depth=1
	s_or_b32 exec_lo, exec_lo, s6
	s_waitcnt vmcnt(0)
	global_load_b64 v[2:3], v[0:1], off offset:16
	s_waitcnt vmcnt(0)
	v_cmp_eq_u64_e32 vcc_lo, 0, v[2:3]
	s_cbranch_vccnz .LBB1_75
; %bb.74:                               ;   in Loop: Header=BB1_3 Depth=1
	global_load_b32 v8, v[0:1], off offset:24
	s_waitcnt vmcnt(0)
	v_and_b32_e32 v0, 0xffffff, v8
	s_waitcnt_vscnt null, 0x0
	global_store_b64 v[2:3], v[8:9], off
	v_readfirstlane_b32 m0, v0
	s_sendmsg sendmsg(MSG_INTERRUPT)
.LBB1_75:                               ;   in Loop: Header=BB1_3 Depth=1
	s_or_b32 exec_lo, exec_lo, s1
	v_add_co_u32 v0, vcc_lo, v26, v34
	v_add_co_ci_u32_e32 v1, vcc_lo, 0, v27, vcc_lo
	s_branch .LBB1_79
	.p2align	6
.LBB1_76:                               ;   in Loop: Header=BB1_79 Depth=2
	s_or_b32 exec_lo, exec_lo, s1
	s_delay_alu instid0(VALU_DEP_1) | instskip(NEXT) | instid1(VALU_DEP_1)
	v_readfirstlane_b32 s1, v2
	s_cmp_eq_u32 s1, 0
	s_cbranch_scc1 .LBB1_78
; %bb.77:                               ;   in Loop: Header=BB1_79 Depth=2
	s_sleep 1
	s_cbranch_execnz .LBB1_79
	s_branch .LBB1_81
	.p2align	6
.LBB1_78:                               ;   in Loop: Header=BB1_3 Depth=1
	s_branch .LBB1_81
.LBB1_79:                               ;   Parent Loop BB1_3 Depth=1
                                        ; =>  This Inner Loop Header: Depth=2
	v_mov_b32_e32 v2, 1
	s_and_saveexec_b32 s1, s0
	s_cbranch_execz .LBB1_76
; %bb.80:                               ;   in Loop: Header=BB1_79 Depth=2
	global_load_b32 v2, v[30:31], off offset:20 glc
	s_waitcnt vmcnt(0)
	buffer_gl1_inv
	buffer_gl0_inv
	v_and_b32_e32 v2, 1, v2
	s_branch .LBB1_76
.LBB1_81:                               ;   in Loop: Header=BB1_3 Depth=1
	global_load_b128 v[0:3], v[0:1], off
	s_and_saveexec_b32 s1, s0
	s_cbranch_execz .LBB1_2
; %bb.82:                               ;   in Loop: Header=BB1_3 Depth=1
	s_clause 0x2
	global_load_b64 v[2:3], v9, s[2:3] offset:40
	global_load_b64 v[16:17], v9, s[2:3] offset:24 glc
	global_load_b64 v[14:15], v9, s[2:3]
	s_waitcnt vmcnt(2)
	v_add_co_u32 v8, vcc_lo, v2, 1
	v_add_co_ci_u32_e32 v18, vcc_lo, 0, v3, vcc_lo
	s_delay_alu instid0(VALU_DEP_2) | instskip(NEXT) | instid1(VALU_DEP_2)
	v_add_co_u32 v12, vcc_lo, v8, s4
	v_add_co_ci_u32_e32 v13, vcc_lo, s5, v18, vcc_lo
	s_delay_alu instid0(VALU_DEP_1) | instskip(SKIP_1) | instid1(VALU_DEP_1)
	v_cmp_eq_u64_e32 vcc_lo, 0, v[12:13]
	v_dual_cndmask_b32 v13, v13, v18 :: v_dual_cndmask_b32 v12, v12, v8
	v_and_b32_e32 v3, v13, v3
	s_delay_alu instid0(VALU_DEP_2) | instskip(NEXT) | instid1(VALU_DEP_1)
	v_and_b32_e32 v2, v12, v2
	v_mul_hi_u32 v8, v2, 24
	v_mul_lo_u32 v2, v2, 24
	s_waitcnt vmcnt(0)
	s_delay_alu instid0(VALU_DEP_1) | instskip(SKIP_2) | instid1(VALU_DEP_1)
	v_add_co_u32 v2, vcc_lo, v14, v2
	v_mov_b32_e32 v14, v16
	v_mul_lo_u32 v3, v3, 24
	v_add_nc_u32_e32 v3, v8, v3
	s_delay_alu instid0(VALU_DEP_1)
	v_add_co_ci_u32_e32 v3, vcc_lo, v15, v3, vcc_lo
	v_mov_b32_e32 v15, v17
	global_store_b64 v[2:3], v[16:17], off
	s_waitcnt_vscnt null, 0x0
	global_atomic_cmpswap_b64 v[14:15], v9, v[12:15], s[2:3] offset:24 glc
	s_waitcnt vmcnt(0)
	v_cmp_ne_u64_e32 vcc_lo, v[14:15], v[16:17]
	s_and_b32 exec_lo, exec_lo, vcc_lo
	s_cbranch_execz .LBB1_2
; %bb.83:                               ;   in Loop: Header=BB1_3 Depth=1
	s_mov_b32 s0, 0
.LBB1_84:                               ;   Parent Loop BB1_3 Depth=1
                                        ; =>  This Inner Loop Header: Depth=2
	s_sleep 1
	global_store_b64 v[2:3], v[14:15], off
	s_waitcnt_vscnt null, 0x0
	global_atomic_cmpswap_b64 v[16:17], v9, v[12:15], s[2:3] offset:24 glc
	s_waitcnt vmcnt(0)
	v_cmp_eq_u64_e32 vcc_lo, v[16:17], v[14:15]
	v_dual_mov_b32 v14, v16 :: v_dual_mov_b32 v15, v17
	s_or_b32 s0, vcc_lo, s0
	s_delay_alu instid0(SALU_CYCLE_1)
	s_and_not1_b32 exec_lo, exec_lo, s0
	s_cbranch_execnz .LBB1_84
	s_branch .LBB1_2
.LBB1_85:
	s_or_b32 exec_lo, exec_lo, s11
                                        ; implicit-def: $vgpr3
                                        ; implicit-def: $vgpr32
.LBB1_86:
	s_and_not1_saveexec_b32 s1, s10
	s_cbranch_execz .LBB1_108
; %bb.87:
	s_load_b64 s[2:3], s[8:9], 0x50
	v_readfirstlane_b32 s0, v32
	v_mov_b32_e32 v8, 0
	v_mov_b32_e32 v9, 0
	s_delay_alu instid0(VALU_DEP_3) | instskip(NEXT) | instid1(VALU_DEP_1)
	v_cmp_eq_u32_e64 s0, s0, v32
	s_and_saveexec_b32 s4, s0
	s_cbranch_execz .LBB1_93
; %bb.88:
	s_waitcnt vmcnt(0)
	v_mov_b32_e32 v0, 0
	s_mov_b32 s5, exec_lo
	s_waitcnt lgkmcnt(0)
	global_load_b64 v[6:7], v0, s[2:3] offset:24 glc
	s_waitcnt vmcnt(0)
	buffer_gl1_inv
	buffer_gl0_inv
	s_clause 0x1
	global_load_b64 v[4:5], v0, s[2:3] offset:40
	global_load_b64 v[8:9], v0, s[2:3]
	s_waitcnt vmcnt(1)
	v_and_b32_e32 v2, v5, v7
	v_and_b32_e32 v4, v4, v6
	s_delay_alu instid0(VALU_DEP_2) | instskip(NEXT) | instid1(VALU_DEP_2)
	v_mul_lo_u32 v2, v2, 24
	v_mul_hi_u32 v5, v4, 24
	v_mul_lo_u32 v4, v4, 24
	s_delay_alu instid0(VALU_DEP_2) | instskip(SKIP_1) | instid1(VALU_DEP_2)
	v_add_nc_u32_e32 v2, v5, v2
	s_waitcnt vmcnt(0)
	v_add_co_u32 v4, vcc_lo, v8, v4
	s_delay_alu instid0(VALU_DEP_2)
	v_add_co_ci_u32_e32 v5, vcc_lo, v9, v2, vcc_lo
	global_load_b64 v[4:5], v[4:5], off glc
	s_waitcnt vmcnt(0)
	global_atomic_cmpswap_b64 v[8:9], v0, v[4:7], s[2:3] offset:24 glc
	s_waitcnt vmcnt(0)
	buffer_gl1_inv
	buffer_gl0_inv
	v_cmpx_ne_u64_e64 v[8:9], v[6:7]
	s_cbranch_execz .LBB1_92
; %bb.89:
	s_mov_b32 s6, 0
	.p2align	6
.LBB1_90:                               ; =>This Inner Loop Header: Depth=1
	s_sleep 1
	s_clause 0x1
	global_load_b64 v[4:5], v0, s[2:3] offset:40
	global_load_b64 v[10:11], v0, s[2:3]
	v_dual_mov_b32 v6, v8 :: v_dual_mov_b32 v7, v9
	s_waitcnt vmcnt(1)
	s_delay_alu instid0(VALU_DEP_1) | instskip(SKIP_1) | instid1(VALU_DEP_1)
	v_and_b32_e32 v2, v4, v6
	s_waitcnt vmcnt(0)
	v_mad_u64_u32 v[8:9], null, v2, 24, v[10:11]
	v_and_b32_e32 v10, v5, v7
	s_delay_alu instid0(VALU_DEP_2) | instskip(NEXT) | instid1(VALU_DEP_1)
	v_mov_b32_e32 v2, v9
	v_mad_u64_u32 v[4:5], null, v10, 24, v[2:3]
	s_delay_alu instid0(VALU_DEP_1)
	v_mov_b32_e32 v9, v4
	global_load_b64 v[4:5], v[8:9], off glc
	s_waitcnt vmcnt(0)
	global_atomic_cmpswap_b64 v[8:9], v0, v[4:7], s[2:3] offset:24 glc
	s_waitcnt vmcnt(0)
	buffer_gl1_inv
	buffer_gl0_inv
	v_cmp_eq_u64_e32 vcc_lo, v[8:9], v[6:7]
	s_or_b32 s6, vcc_lo, s6
	s_delay_alu instid0(SALU_CYCLE_1)
	s_and_not1_b32 exec_lo, exec_lo, s6
	s_cbranch_execnz .LBB1_90
; %bb.91:
	s_or_b32 exec_lo, exec_lo, s6
.LBB1_92:
	s_delay_alu instid0(SALU_CYCLE_1)
	s_or_b32 exec_lo, exec_lo, s5
.LBB1_93:
	s_delay_alu instid0(SALU_CYCLE_1)
	s_or_b32 exec_lo, exec_lo, s4
	s_waitcnt vmcnt(0)
	v_mov_b32_e32 v2, 0
	v_readfirstlane_b32 s4, v8
	v_readfirstlane_b32 s5, v9
	s_mov_b32 s8, exec_lo
	s_waitcnt lgkmcnt(0)
	s_clause 0x1
	global_load_b64 v[10:11], v2, s[2:3] offset:40
	global_load_b128 v[4:7], v2, s[2:3]
	s_waitcnt vmcnt(1)
	v_readfirstlane_b32 s6, v10
	v_readfirstlane_b32 s7, v11
	s_delay_alu instid0(VALU_DEP_1) | instskip(NEXT) | instid1(SALU_CYCLE_1)
	s_and_b64 s[6:7], s[4:5], s[6:7]
	s_mul_i32 s9, s7, 24
	s_mul_hi_u32 s10, s6, 24
	s_mul_i32 s11, s6, 24
	s_add_i32 s10, s10, s9
	s_waitcnt vmcnt(0)
	v_add_co_u32 v8, vcc_lo, v4, s11
	v_add_co_ci_u32_e32 v9, vcc_lo, s10, v5, vcc_lo
	s_and_saveexec_b32 s9, s0
	s_cbranch_execz .LBB1_95
; %bb.94:
	v_dual_mov_b32 v10, s8 :: v_dual_mov_b32 v11, v2
	v_dual_mov_b32 v12, 2 :: v_dual_mov_b32 v13, 1
	global_store_b128 v[8:9], v[10:13], off offset:8
.LBB1_95:
	s_or_b32 exec_lo, exec_lo, s9
	s_lshl_b64 s[6:7], s[6:7], 12
	v_lshlrev_b32_e32 v14, 6, v32
	v_add_co_u32 v6, vcc_lo, v6, s6
	v_add_co_ci_u32_e32 v7, vcc_lo, s7, v7, vcc_lo
	s_mov_b32 s8, 0
	v_and_or_b32 v0, 0xffffff1f, v3, 32
	v_mov_b32_e32 v3, v2
	v_readfirstlane_b32 s6, v6
	s_mov_b32 s11, s8
	v_add_co_u32 v6, vcc_lo, v6, v14
	s_mov_b32 s9, s8
	s_mov_b32 s10, s8
	v_readfirstlane_b32 s7, v7
	v_dual_mov_b32 v13, s11 :: v_dual_mov_b32 v12, s10
	v_add_co_ci_u32_e32 v7, vcc_lo, 0, v7, vcc_lo
	v_dual_mov_b32 v11, s9 :: v_dual_mov_b32 v10, s8
	s_clause 0x3
	global_store_b128 v14, v[0:3], s[6:7]
	global_store_b128 v14, v[10:13], s[6:7] offset:16
	global_store_b128 v14, v[10:13], s[6:7] offset:32
	;; [unrolled: 1-line block ×3, first 2 shown]
	s_and_saveexec_b32 s6, s0
	s_cbranch_execz .LBB1_102
; %bb.96:
	v_mov_b32_e32 v10, 0
	s_mov_b32 s7, exec_lo
	s_clause 0x1
	global_load_b64 v[13:14], v10, s[2:3] offset:32 glc
	global_load_b64 v[0:1], v10, s[2:3] offset:40
	v_dual_mov_b32 v11, s4 :: v_dual_mov_b32 v12, s5
	s_waitcnt vmcnt(0)
	v_and_b32_e32 v1, s5, v1
	v_and_b32_e32 v0, s4, v0
	s_delay_alu instid0(VALU_DEP_2) | instskip(NEXT) | instid1(VALU_DEP_2)
	v_mul_lo_u32 v1, v1, 24
	v_mul_hi_u32 v2, v0, 24
	v_mul_lo_u32 v0, v0, 24
	s_delay_alu instid0(VALU_DEP_2) | instskip(NEXT) | instid1(VALU_DEP_2)
	v_add_nc_u32_e32 v1, v2, v1
	v_add_co_u32 v4, vcc_lo, v4, v0
	s_delay_alu instid0(VALU_DEP_2)
	v_add_co_ci_u32_e32 v5, vcc_lo, v5, v1, vcc_lo
	global_store_b64 v[4:5], v[13:14], off
	s_waitcnt_vscnt null, 0x0
	global_atomic_cmpswap_b64 v[2:3], v10, v[11:14], s[2:3] offset:32 glc
	s_waitcnt vmcnt(0)
	v_cmpx_ne_u64_e64 v[2:3], v[13:14]
	s_cbranch_execz .LBB1_98
.LBB1_97:                               ; =>This Inner Loop Header: Depth=1
	v_dual_mov_b32 v0, s4 :: v_dual_mov_b32 v1, s5
	s_sleep 1
	global_store_b64 v[4:5], v[2:3], off
	s_waitcnt_vscnt null, 0x0
	global_atomic_cmpswap_b64 v[0:1], v10, v[0:3], s[2:3] offset:32 glc
	s_waitcnt vmcnt(0)
	v_cmp_eq_u64_e32 vcc_lo, v[0:1], v[2:3]
	v_dual_mov_b32 v3, v1 :: v_dual_mov_b32 v2, v0
	s_or_b32 s8, vcc_lo, s8
	s_delay_alu instid0(SALU_CYCLE_1)
	s_and_not1_b32 exec_lo, exec_lo, s8
	s_cbranch_execnz .LBB1_97
.LBB1_98:
	s_or_b32 exec_lo, exec_lo, s7
	v_mov_b32_e32 v3, 0
	s_mov_b32 s8, exec_lo
	s_mov_b32 s7, exec_lo
	v_mbcnt_lo_u32_b32 v2, s8, 0
	global_load_b64 v[0:1], v3, s[2:3] offset:16
	v_cmpx_eq_u32_e32 0, v2
	s_cbranch_execz .LBB1_100
; %bb.99:
	s_bcnt1_i32_b32 s8, s8
	s_delay_alu instid0(SALU_CYCLE_1)
	v_mov_b32_e32 v2, s8
	s_waitcnt vmcnt(0)
	global_atomic_add_u64 v[0:1], v[2:3], off offset:8
.LBB1_100:
	s_or_b32 exec_lo, exec_lo, s7
	s_waitcnt vmcnt(0)
	global_load_b64 v[2:3], v[0:1], off offset:16
	s_waitcnt vmcnt(0)
	v_cmp_eq_u64_e32 vcc_lo, 0, v[2:3]
	s_cbranch_vccnz .LBB1_102
; %bb.101:
	global_load_b32 v0, v[0:1], off offset:24
	s_waitcnt vmcnt(0)
	v_dual_mov_b32 v1, 0 :: v_dual_and_b32 v4, 0xffffff, v0
	s_waitcnt_vscnt null, 0x0
	global_store_b64 v[2:3], v[0:1], off
	v_readfirstlane_b32 m0, v4
	s_sendmsg sendmsg(MSG_INTERRUPT)
.LBB1_102:
	s_or_b32 exec_lo, exec_lo, s6
	s_branch .LBB1_106
	.p2align	6
.LBB1_103:                              ;   in Loop: Header=BB1_106 Depth=1
	s_or_b32 exec_lo, exec_lo, s6
	s_delay_alu instid0(VALU_DEP_1) | instskip(NEXT) | instid1(VALU_DEP_1)
	v_readfirstlane_b32 s6, v0
	s_cmp_eq_u32 s6, 0
	s_cbranch_scc1 .LBB1_105
; %bb.104:                              ;   in Loop: Header=BB1_106 Depth=1
	s_sleep 1
	s_cbranch_execnz .LBB1_106
	s_branch .LBB1_109
	.p2align	6
.LBB1_105:
	s_branch .LBB1_109
.LBB1_106:                              ; =>This Inner Loop Header: Depth=1
	v_mov_b32_e32 v0, 1
	s_and_saveexec_b32 s6, s0
	s_cbranch_execz .LBB1_103
; %bb.107:                              ;   in Loop: Header=BB1_106 Depth=1
	global_load_b32 v0, v[8:9], off offset:20 glc
	s_waitcnt vmcnt(0)
	buffer_gl1_inv
	buffer_gl0_inv
	v_and_b32_e32 v0, 1, v0
	s_branch .LBB1_103
.LBB1_108:
	s_or_b32 exec_lo, exec_lo, s1
	s_waitcnt vmcnt(0) lgkmcnt(0)
	s_setpc_b64 s[30:31]
.LBB1_109:
	global_load_b64 v[0:1], v[6:7], off
	s_and_saveexec_b32 s6, s0
	s_cbranch_execz .LBB1_113
; %bb.110:
	v_mov_b32_e32 v8, 0
	s_clause 0x2
	global_load_b64 v[4:5], v8, s[2:3] offset:40
	global_load_b64 v[9:10], v8, s[2:3] offset:24 glc
	global_load_b64 v[6:7], v8, s[2:3]
	s_waitcnt vmcnt(2)
	v_add_co_u32 v11, vcc_lo, v4, 1
	v_add_co_ci_u32_e32 v12, vcc_lo, 0, v5, vcc_lo
	s_delay_alu instid0(VALU_DEP_2) | instskip(NEXT) | instid1(VALU_DEP_2)
	v_add_co_u32 v2, vcc_lo, v11, s4
	v_add_co_ci_u32_e32 v3, vcc_lo, s5, v12, vcc_lo
	s_delay_alu instid0(VALU_DEP_1) | instskip(SKIP_1) | instid1(VALU_DEP_1)
	v_cmp_eq_u64_e32 vcc_lo, 0, v[2:3]
	v_dual_cndmask_b32 v3, v3, v12 :: v_dual_cndmask_b32 v2, v2, v11
	v_and_b32_e32 v5, v3, v5
	s_delay_alu instid0(VALU_DEP_2) | instskip(NEXT) | instid1(VALU_DEP_2)
	v_and_b32_e32 v4, v2, v4
	v_mul_lo_u32 v5, v5, 24
	s_delay_alu instid0(VALU_DEP_2) | instskip(SKIP_1) | instid1(VALU_DEP_2)
	v_mul_hi_u32 v11, v4, 24
	v_mul_lo_u32 v4, v4, 24
	v_add_nc_u32_e32 v5, v11, v5
	s_waitcnt vmcnt(0)
	s_delay_alu instid0(VALU_DEP_2) | instskip(SKIP_1) | instid1(VALU_DEP_3)
	v_add_co_u32 v6, vcc_lo, v6, v4
	v_mov_b32_e32 v4, v9
	v_add_co_ci_u32_e32 v7, vcc_lo, v7, v5, vcc_lo
	v_mov_b32_e32 v5, v10
	global_store_b64 v[6:7], v[9:10], off
	s_waitcnt_vscnt null, 0x0
	global_atomic_cmpswap_b64 v[4:5], v8, v[2:5], s[2:3] offset:24 glc
	s_waitcnt vmcnt(0)
	v_cmp_ne_u64_e32 vcc_lo, v[4:5], v[9:10]
	s_and_b32 exec_lo, exec_lo, vcc_lo
	s_cbranch_execz .LBB1_113
; %bb.111:
	s_mov_b32 s0, 0
.LBB1_112:                              ; =>This Inner Loop Header: Depth=1
	s_sleep 1
	global_store_b64 v[6:7], v[4:5], off
	s_waitcnt_vscnt null, 0x0
	global_atomic_cmpswap_b64 v[9:10], v8, v[2:5], s[2:3] offset:24 glc
	s_waitcnt vmcnt(0)
	v_cmp_eq_u64_e32 vcc_lo, v[9:10], v[4:5]
	v_dual_mov_b32 v4, v9 :: v_dual_mov_b32 v5, v10
	s_or_b32 s0, vcc_lo, s0
	s_delay_alu instid0(SALU_CYCLE_1)
	s_and_not1_b32 exec_lo, exec_lo, s0
	s_cbranch_execnz .LBB1_112
.LBB1_113:
	s_or_b32 exec_lo, exec_lo, s6
	s_delay_alu instid0(SALU_CYCLE_1)
	s_or_b32 exec_lo, exec_lo, s1
	s_waitcnt vmcnt(0) lgkmcnt(0)
	s_setpc_b64 s[30:31]
.Lfunc_end1:
	.size	__ockl_printf_append_string_n, .Lfunc_end1-__ockl_printf_append_string_n
                                        ; -- End function
	.section	.AMDGPU.csdata,"",@progbits
; Function info:
; codeLenInByte = 4760
; NumSgprs: 34
; NumVgprs: 36
; ScratchSize: 0
; MemoryBound: 0
	.text
	.p2align	2                               ; -- Begin function __ockl_printf_append_args
	.type	__ockl_printf_append_args,@function
__ockl_printf_append_args:              ; @__ockl_printf_append_args
; %bb.0:
	s_waitcnt vmcnt(0) expcnt(0) lgkmcnt(0)
	s_load_b64 s[2:3], s[8:9], 0x50
	v_mbcnt_lo_u32_b32 v15, -1, 0
	v_mov_b32_e32 v11, 0
	v_mov_b32_e32 v12, 0
	s_delay_alu instid0(VALU_DEP_3) | instskip(NEXT) | instid1(VALU_DEP_1)
	v_readfirstlane_b32 s0, v15
	v_cmp_eq_u32_e64 s0, s0, v15
	s_delay_alu instid0(VALU_DEP_1)
	s_and_saveexec_b32 s1, s0
	s_cbranch_execz .LBB2_6
; %bb.1:
	v_mov_b32_e32 v5, 0
	s_mov_b32 s4, exec_lo
	s_waitcnt lgkmcnt(0)
	global_load_b64 v[8:9], v5, s[2:3] offset:24 glc
	s_waitcnt vmcnt(0)
	buffer_gl1_inv
	buffer_gl0_inv
	s_clause 0x1
	global_load_b64 v[6:7], v5, s[2:3] offset:40
	global_load_b64 v[10:11], v5, s[2:3]
	s_waitcnt vmcnt(1)
	v_and_b32_e32 v6, v6, v8
	v_and_b32_e32 v7, v7, v9
	s_delay_alu instid0(VALU_DEP_2) | instskip(NEXT) | instid1(VALU_DEP_2)
	v_mul_hi_u32 v12, v6, 24
	v_mul_lo_u32 v7, v7, 24
	v_mul_lo_u32 v6, v6, 24
	s_delay_alu instid0(VALU_DEP_2) | instskip(SKIP_1) | instid1(VALU_DEP_2)
	v_add_nc_u32_e32 v7, v12, v7
	s_waitcnt vmcnt(0)
	v_add_co_u32 v6, vcc_lo, v10, v6
	s_delay_alu instid0(VALU_DEP_2)
	v_add_co_ci_u32_e32 v7, vcc_lo, v11, v7, vcc_lo
	global_load_b64 v[6:7], v[6:7], off glc
	s_waitcnt vmcnt(0)
	global_atomic_cmpswap_b64 v[11:12], v5, v[6:9], s[2:3] offset:24 glc
	s_waitcnt vmcnt(0)
	buffer_gl1_inv
	buffer_gl0_inv
	v_cmpx_ne_u64_e64 v[11:12], v[8:9]
	s_cbranch_execz .LBB2_5
; %bb.2:
	s_mov_b32 s5, 0
	.p2align	6
.LBB2_3:                                ; =>This Inner Loop Header: Depth=1
	s_sleep 1
	s_clause 0x1
	global_load_b64 v[6:7], v5, s[2:3] offset:40
	global_load_b64 v[13:14], v5, s[2:3]
	v_dual_mov_b32 v8, v11 :: v_dual_mov_b32 v9, v12
	s_waitcnt vmcnt(1)
	s_delay_alu instid0(VALU_DEP_1) | instskip(NEXT) | instid1(VALU_DEP_2)
	v_and_b32_e32 v6, v6, v8
	v_and_b32_e32 v7, v7, v9
	s_waitcnt vmcnt(0)
	s_delay_alu instid0(VALU_DEP_2) | instskip(NEXT) | instid1(VALU_DEP_1)
	v_mad_u64_u32 v[10:11], null, v6, 24, v[13:14]
	v_mov_b32_e32 v6, v11
	s_delay_alu instid0(VALU_DEP_1)
	v_mad_u64_u32 v[11:12], null, v7, 24, v[6:7]
	global_load_b64 v[6:7], v[10:11], off glc
	s_waitcnt vmcnt(0)
	global_atomic_cmpswap_b64 v[11:12], v5, v[6:9], s[2:3] offset:24 glc
	s_waitcnt vmcnt(0)
	buffer_gl1_inv
	buffer_gl0_inv
	v_cmp_eq_u64_e32 vcc_lo, v[11:12], v[8:9]
	s_or_b32 s5, vcc_lo, s5
	s_delay_alu instid0(SALU_CYCLE_1)
	s_and_not1_b32 exec_lo, exec_lo, s5
	s_cbranch_execnz .LBB2_3
; %bb.4:
	s_or_b32 exec_lo, exec_lo, s5
.LBB2_5:
	s_delay_alu instid0(SALU_CYCLE_1)
	s_or_b32 exec_lo, exec_lo, s4
.LBB2_6:
	s_delay_alu instid0(SALU_CYCLE_1)
	s_or_b32 exec_lo, exec_lo, s1
	v_mov_b32_e32 v10, 0
	v_readfirstlane_b32 s4, v11
	v_readfirstlane_b32 s5, v12
	s_mov_b32 s1, exec_lo
	s_waitcnt lgkmcnt(0)
	s_clause 0x1
	global_load_b64 v[13:14], v10, s[2:3] offset:40
	global_load_b128 v[5:8], v10, s[2:3]
	s_waitcnt vmcnt(1)
	v_readfirstlane_b32 s6, v13
	v_readfirstlane_b32 s7, v14
	s_delay_alu instid0(VALU_DEP_1) | instskip(NEXT) | instid1(SALU_CYCLE_1)
	s_and_b64 s[6:7], s[4:5], s[6:7]
	s_mul_i32 s8, s7, 24
	s_mul_hi_u32 s9, s6, 24
	s_mul_i32 s10, s6, 24
	s_add_i32 s9, s9, s8
	s_waitcnt vmcnt(0)
	v_add_co_u32 v13, vcc_lo, v5, s10
	v_add_co_ci_u32_e32 v14, vcc_lo, s9, v6, vcc_lo
	s_and_saveexec_b32 s8, s0
	s_cbranch_execz .LBB2_8
; %bb.7:
	v_dual_mov_b32 v9, s1 :: v_dual_mov_b32 v12, 1
	v_mov_b32_e32 v11, 2
	global_store_b128 v[13:14], v[9:12], off offset:8
.LBB2_8:
	s_or_b32 exec_lo, exec_lo, s8
	v_or_b32_e32 v9, 2, v0
	v_cmp_eq_u32_e32 vcc_lo, 0, v4
	s_lshl_b64 s[6:7], s[6:7], 12
	s_mov_b32 s8, 0
	v_lshlrev_b32_e32 v11, 6, v15
	s_mov_b32 s9, s8
	v_cndmask_b32_e32 v0, v9, v0, vcc_lo
	v_add_co_u32 v4, vcc_lo, v7, s6
	v_add_co_ci_u32_e32 v7, vcc_lo, s7, v8, vcc_lo
	s_mov_b32 s10, s8
	s_mov_b32 s11, s8
	v_and_or_b32 v0, 0xffffff1f, v0, 32
	v_readfirstlane_b32 s6, v4
	v_readfirstlane_b32 s7, v7
	v_dual_mov_b32 v7, s8 :: v_dual_mov_b32 v8, s9
	v_dual_mov_b32 v9, s10 :: v_dual_mov_b32 v10, s11
	s_clause 0x3
	global_store_b128 v11, v[0:3], s[6:7]
	global_store_b128 v11, v[7:10], s[6:7] offset:16
	global_store_b128 v11, v[7:10], s[6:7] offset:32
	;; [unrolled: 1-line block ×3, first 2 shown]
	s_and_saveexec_b32 s1, s0
	s_cbranch_execz .LBB2_16
; %bb.9:
	v_mov_b32_e32 v7, 0
	v_mov_b32_e32 v9, s5
	s_mov_b32 s6, exec_lo
	s_clause 0x1
	global_load_b64 v[10:11], v7, s[2:3] offset:32 glc
	global_load_b64 v[0:1], v7, s[2:3] offset:40
	v_mov_b32_e32 v8, s4
	s_waitcnt vmcnt(0)
	v_and_b32_e32 v0, s4, v0
	v_and_b32_e32 v1, s5, v1
	s_delay_alu instid0(VALU_DEP_2) | instskip(NEXT) | instid1(VALU_DEP_2)
	v_mul_hi_u32 v2, v0, 24
	v_mul_lo_u32 v1, v1, 24
	v_mul_lo_u32 v0, v0, 24
	s_delay_alu instid0(VALU_DEP_2) | instskip(NEXT) | instid1(VALU_DEP_2)
	v_add_nc_u32_e32 v1, v2, v1
	v_add_co_u32 v4, vcc_lo, v5, v0
	s_delay_alu instid0(VALU_DEP_2)
	v_add_co_ci_u32_e32 v5, vcc_lo, v6, v1, vcc_lo
	global_store_b64 v[4:5], v[10:11], off
	s_waitcnt_vscnt null, 0x0
	global_atomic_cmpswap_b64 v[2:3], v7, v[8:11], s[2:3] offset:32 glc
	s_waitcnt vmcnt(0)
	v_cmpx_ne_u64_e64 v[2:3], v[10:11]
	s_cbranch_execz .LBB2_12
; %bb.10:
	s_mov_b32 s7, 0
.LBB2_11:                               ; =>This Inner Loop Header: Depth=1
	v_dual_mov_b32 v0, s4 :: v_dual_mov_b32 v1, s5
	s_sleep 1
	global_store_b64 v[4:5], v[2:3], off
	s_waitcnt_vscnt null, 0x0
	global_atomic_cmpswap_b64 v[0:1], v7, v[0:3], s[2:3] offset:32 glc
	s_waitcnt vmcnt(0)
	v_cmp_eq_u64_e32 vcc_lo, v[0:1], v[2:3]
	v_dual_mov_b32 v3, v1 :: v_dual_mov_b32 v2, v0
	s_or_b32 s7, vcc_lo, s7
	s_delay_alu instid0(SALU_CYCLE_1)
	s_and_not1_b32 exec_lo, exec_lo, s7
	s_cbranch_execnz .LBB2_11
.LBB2_12:
	s_or_b32 exec_lo, exec_lo, s6
	v_mov_b32_e32 v3, 0
	s_mov_b32 s7, exec_lo
	s_mov_b32 s6, exec_lo
	v_mbcnt_lo_u32_b32 v2, s7, 0
	global_load_b64 v[0:1], v3, s[2:3] offset:16
	v_cmpx_eq_u32_e32 0, v2
	s_cbranch_execz .LBB2_14
; %bb.13:
	s_bcnt1_i32_b32 s7, s7
	s_delay_alu instid0(SALU_CYCLE_1)
	v_mov_b32_e32 v2, s7
	s_waitcnt vmcnt(0)
	global_atomic_add_u64 v[0:1], v[2:3], off offset:8
.LBB2_14:
	s_or_b32 exec_lo, exec_lo, s6
	s_waitcnt vmcnt(0)
	global_load_b64 v[2:3], v[0:1], off offset:16
	s_waitcnt vmcnt(0)
	v_cmp_eq_u64_e32 vcc_lo, 0, v[2:3]
	s_cbranch_vccnz .LBB2_16
; %bb.15:
	global_load_b32 v0, v[0:1], off offset:24
	s_waitcnt vmcnt(0)
	v_dual_mov_b32 v1, 0 :: v_dual_and_b32 v4, 0xffffff, v0
	s_waitcnt_vscnt null, 0x0
	global_store_b64 v[2:3], v[0:1], off
	v_readfirstlane_b32 m0, v4
	s_sendmsg sendmsg(MSG_INTERRUPT)
.LBB2_16:
	s_or_b32 exec_lo, exec_lo, s1
	s_branch .LBB2_20
	.p2align	6
.LBB2_17:                               ;   in Loop: Header=BB2_20 Depth=1
	s_or_b32 exec_lo, exec_lo, s1
	s_delay_alu instid0(VALU_DEP_1) | instskip(NEXT) | instid1(VALU_DEP_1)
	v_readfirstlane_b32 s1, v0
	s_cmp_eq_u32 s1, 0
	s_cbranch_scc1 .LBB2_19
; %bb.18:                               ;   in Loop: Header=BB2_20 Depth=1
	s_sleep 1
	s_cbranch_execnz .LBB2_20
	s_branch .LBB2_22
	.p2align	6
.LBB2_19:
	s_branch .LBB2_22
.LBB2_20:                               ; =>This Inner Loop Header: Depth=1
	v_mov_b32_e32 v0, 1
	s_and_saveexec_b32 s1, s0
	s_cbranch_execz .LBB2_17
; %bb.21:                               ;   in Loop: Header=BB2_20 Depth=1
	global_load_b32 v0, v[13:14], off offset:20 glc
	s_waitcnt vmcnt(0)
	buffer_gl1_inv
	buffer_gl0_inv
	v_and_b32_e32 v0, 1, v0
	s_branch .LBB2_17
.LBB2_22:
	s_and_saveexec_b32 s1, s0
	s_cbranch_execz .LBB2_26
; %bb.23:
	v_mov_b32_e32 v6, 0
	s_clause 0x2
	global_load_b64 v[2:3], v6, s[2:3] offset:40
	global_load_b64 v[7:8], v6, s[2:3] offset:24 glc
	global_load_b64 v[4:5], v6, s[2:3]
	s_waitcnt vmcnt(2)
	v_add_co_u32 v9, vcc_lo, v2, 1
	v_add_co_ci_u32_e32 v10, vcc_lo, 0, v3, vcc_lo
	s_delay_alu instid0(VALU_DEP_2) | instskip(NEXT) | instid1(VALU_DEP_2)
	v_add_co_u32 v0, vcc_lo, v9, s4
	v_add_co_ci_u32_e32 v1, vcc_lo, s5, v10, vcc_lo
	s_delay_alu instid0(VALU_DEP_1) | instskip(SKIP_1) | instid1(VALU_DEP_1)
	v_cmp_eq_u64_e32 vcc_lo, 0, v[0:1]
	v_dual_cndmask_b32 v1, v1, v10 :: v_dual_cndmask_b32 v0, v0, v9
	v_and_b32_e32 v3, v1, v3
	s_delay_alu instid0(VALU_DEP_2) | instskip(NEXT) | instid1(VALU_DEP_2)
	v_and_b32_e32 v2, v0, v2
	v_mul_lo_u32 v3, v3, 24
	s_delay_alu instid0(VALU_DEP_2) | instskip(SKIP_1) | instid1(VALU_DEP_2)
	v_mul_hi_u32 v9, v2, 24
	v_mul_lo_u32 v2, v2, 24
	v_add_nc_u32_e32 v3, v9, v3
	s_waitcnt vmcnt(0)
	s_delay_alu instid0(VALU_DEP_2) | instskip(SKIP_1) | instid1(VALU_DEP_3)
	v_add_co_u32 v4, vcc_lo, v4, v2
	v_mov_b32_e32 v2, v7
	v_add_co_ci_u32_e32 v5, vcc_lo, v5, v3, vcc_lo
	v_mov_b32_e32 v3, v8
	global_store_b64 v[4:5], v[7:8], off
	s_waitcnt_vscnt null, 0x0
	global_atomic_cmpswap_b64 v[2:3], v6, v[0:3], s[2:3] offset:24 glc
	s_waitcnt vmcnt(0)
	v_cmp_ne_u64_e32 vcc_lo, v[2:3], v[7:8]
	s_and_b32 exec_lo, exec_lo, vcc_lo
	s_cbranch_execz .LBB2_26
; %bb.24:
	s_mov_b32 s0, 0
.LBB2_25:                               ; =>This Inner Loop Header: Depth=1
	s_sleep 1
	global_store_b64 v[4:5], v[2:3], off
	s_waitcnt_vscnt null, 0x0
	global_atomic_cmpswap_b64 v[7:8], v6, v[0:3], s[2:3] offset:24 glc
	s_waitcnt vmcnt(0)
	v_cmp_eq_u64_e32 vcc_lo, v[7:8], v[2:3]
	v_dual_mov_b32 v2, v7 :: v_dual_mov_b32 v3, v8
	s_or_b32 s0, vcc_lo, s0
	s_delay_alu instid0(SALU_CYCLE_1)
	s_and_not1_b32 exec_lo, exec_lo, s0
	s_cbranch_execnz .LBB2_25
.LBB2_26:
	s_or_b32 exec_lo, exec_lo, s1
	s_waitcnt lgkmcnt(0)
	s_setpc_b64 s[30:31]
.Lfunc_end2:
	.size	__ockl_printf_append_args, .Lfunc_end2-__ockl_printf_append_args
                                        ; -- End function
	.section	.AMDGPU.csdata,"",@progbits
; Function info:
; codeLenInByte = 1352
; NumSgprs: 34
; NumVgprs: 16
; ScratchSize: 0
; MemoryBound: 0
	.text
	.p2align	2                               ; -- Begin function _ZL14no_device_codePKciS0_iS0_
	.type	_ZL14no_device_codePKciS0_iS0_,@function
_ZL14no_device_codePKciS0_iS0_:         ; @_ZL14no_device_codePKciS0_iS0_
; %bb.0:
	s_waitcnt vmcnt(0) expcnt(0) lgkmcnt(0)
	s_mov_b32 s20, s33
	s_mov_b32 s33, s32
	s_xor_saveexec_b32 s0, -1
	scratch_store_b32 off, v36, s33         ; 4-byte Folded Spill
	s_mov_b32 exec_lo, s0
	v_writelane_b32 v36, s30, 0
	s_add_i32 s32, s32, 16
	v_writelane_b32 v36, s31, 1
	s_load_b64 s[2:3], s[8:9], 0x50
	v_mbcnt_lo_u32_b32 v33, -1, 0
	v_mov_b32_e32 v7, 0
	v_mov_b32_e32 v8, 0
	s_delay_alu instid0(VALU_DEP_3) | instskip(NEXT) | instid1(VALU_DEP_1)
	v_readfirstlane_b32 s0, v33
	v_cmp_eq_u32_e64 s0, s0, v33
	s_delay_alu instid0(VALU_DEP_1)
	s_and_saveexec_b32 s1, s0
	s_cbranch_execz .LBB3_6
; %bb.1:
	v_mov_b32_e32 v1, 0
	s_mov_b32 s4, exec_lo
	s_waitcnt lgkmcnt(0)
	global_load_b64 v[4:5], v1, s[2:3] offset:24 glc
	s_waitcnt vmcnt(0)
	buffer_gl1_inv
	buffer_gl0_inv
	s_clause 0x1
	global_load_b64 v[2:3], v1, s[2:3] offset:40
	global_load_b64 v[6:7], v1, s[2:3]
	s_waitcnt vmcnt(1)
	v_and_b32_e32 v2, v2, v4
	v_and_b32_e32 v3, v3, v5
	s_delay_alu instid0(VALU_DEP_2) | instskip(NEXT) | instid1(VALU_DEP_2)
	v_mul_hi_u32 v8, v2, 24
	v_mul_lo_u32 v3, v3, 24
	v_mul_lo_u32 v2, v2, 24
	s_delay_alu instid0(VALU_DEP_2) | instskip(SKIP_1) | instid1(VALU_DEP_2)
	v_add_nc_u32_e32 v3, v8, v3
	s_waitcnt vmcnt(0)
	v_add_co_u32 v2, vcc_lo, v6, v2
	s_delay_alu instid0(VALU_DEP_2)
	v_add_co_ci_u32_e32 v3, vcc_lo, v7, v3, vcc_lo
	global_load_b64 v[2:3], v[2:3], off glc
	s_waitcnt vmcnt(0)
	global_atomic_cmpswap_b64 v[7:8], v1, v[2:5], s[2:3] offset:24 glc
	s_waitcnt vmcnt(0)
	buffer_gl1_inv
	buffer_gl0_inv
	v_cmpx_ne_u64_e64 v[7:8], v[4:5]
	s_cbranch_execz .LBB3_5
; %bb.2:
	s_mov_b32 s5, 0
	.p2align	6
.LBB3_3:                                ; =>This Inner Loop Header: Depth=1
	s_sleep 1
	s_clause 0x1
	global_load_b64 v[2:3], v1, s[2:3] offset:40
	global_load_b64 v[9:10], v1, s[2:3]
	v_dual_mov_b32 v4, v7 :: v_dual_mov_b32 v5, v8
	s_waitcnt vmcnt(1)
	s_delay_alu instid0(VALU_DEP_1) | instskip(NEXT) | instid1(VALU_DEP_2)
	v_and_b32_e32 v2, v2, v4
	v_and_b32_e32 v3, v3, v5
	s_waitcnt vmcnt(0)
	s_delay_alu instid0(VALU_DEP_2) | instskip(NEXT) | instid1(VALU_DEP_1)
	v_mad_u64_u32 v[6:7], null, v2, 24, v[9:10]
	v_mov_b32_e32 v2, v7
	s_delay_alu instid0(VALU_DEP_1)
	v_mad_u64_u32 v[7:8], null, v3, 24, v[2:3]
	global_load_b64 v[2:3], v[6:7], off glc
	s_waitcnt vmcnt(0)
	global_atomic_cmpswap_b64 v[7:8], v1, v[2:5], s[2:3] offset:24 glc
	s_waitcnt vmcnt(0)
	buffer_gl1_inv
	buffer_gl0_inv
	v_cmp_eq_u64_e32 vcc_lo, v[7:8], v[4:5]
	s_or_b32 s5, vcc_lo, s5
	s_delay_alu instid0(SALU_CYCLE_1)
	s_and_not1_b32 exec_lo, exec_lo, s5
	s_cbranch_execnz .LBB3_3
; %bb.4:
	s_or_b32 exec_lo, exec_lo, s5
.LBB3_5:
	s_delay_alu instid0(SALU_CYCLE_1)
	s_or_b32 exec_lo, exec_lo, s4
.LBB3_6:
	s_delay_alu instid0(SALU_CYCLE_1)
	s_or_b32 exec_lo, exec_lo, s1
	v_mov_b32_e32 v6, 0
	v_readfirstlane_b32 s4, v7
	v_readfirstlane_b32 s5, v8
	s_mov_b32 s1, exec_lo
	s_waitcnt lgkmcnt(0)
	s_clause 0x1
	global_load_b64 v[9:10], v6, s[2:3] offset:40
	global_load_b128 v[1:4], v6, s[2:3]
	s_waitcnt vmcnt(1)
	v_readfirstlane_b32 s6, v9
	v_readfirstlane_b32 s7, v10
	s_delay_alu instid0(VALU_DEP_1) | instskip(NEXT) | instid1(SALU_CYCLE_1)
	s_and_b64 s[6:7], s[4:5], s[6:7]
	s_mul_i32 s10, s7, 24
	s_mul_hi_u32 s11, s6, 24
	s_mul_i32 s12, s6, 24
	s_add_i32 s11, s11, s10
	s_waitcnt vmcnt(0)
	v_add_co_u32 v9, vcc_lo, v1, s12
	v_add_co_ci_u32_e32 v10, vcc_lo, s11, v2, vcc_lo
	s_and_saveexec_b32 s10, s0
	s_cbranch_execz .LBB3_8
; %bb.7:
	v_dual_mov_b32 v5, s1 :: v_dual_mov_b32 v8, 1
	v_mov_b32_e32 v7, 2
	global_store_b128 v[9:10], v[5:8], off offset:8
.LBB3_8:
	s_or_b32 exec_lo, exec_lo, s10
	s_lshl_b64 s[6:7], s[6:7], 12
	v_dual_mov_b32 v5, 33 :: v_dual_lshlrev_b32 v32, 6, v33
	v_add_co_u32 v3, vcc_lo, v3, s6
	v_add_co_ci_u32_e32 v4, vcc_lo, s7, v4, vcc_lo
	s_mov_b32 s12, 0
	s_delay_alu instid0(VALU_DEP_2)
	v_add_co_u32 v11, vcc_lo, v3, v32
	s_mov_b32 s15, s12
	s_mov_b32 s13, s12
	;; [unrolled: 1-line block ×3, first 2 shown]
	v_dual_mov_b32 v7, v6 :: v_dual_mov_b32 v16, s15
	v_dual_mov_b32 v8, v6 :: v_dual_mov_b32 v15, s14
	v_readfirstlane_b32 s6, v3
	v_readfirstlane_b32 s7, v4
	v_add_co_ci_u32_e32 v12, vcc_lo, 0, v4, vcc_lo
	v_dual_mov_b32 v14, s13 :: v_dual_mov_b32 v13, s12
	s_clause 0x3
	global_store_b128 v32, v[5:8], s[6:7]
	global_store_b128 v32, v[13:16], s[6:7] offset:16
	global_store_b128 v32, v[13:16], s[6:7] offset:32
	;; [unrolled: 1-line block ×3, first 2 shown]
	s_and_saveexec_b32 s1, s0
	s_cbranch_execz .LBB3_16
; %bb.9:
	v_mov_b32_e32 v7, 0
	s_mov_b32 s6, exec_lo
	s_clause 0x1
	global_load_b64 v[15:16], v7, s[2:3] offset:32 glc
	global_load_b64 v[3:4], v7, s[2:3] offset:40
	v_dual_mov_b32 v14, s5 :: v_dual_mov_b32 v13, s4
	s_waitcnt vmcnt(0)
	v_and_b32_e32 v4, s5, v4
	v_and_b32_e32 v3, s4, v3
	s_delay_alu instid0(VALU_DEP_2) | instskip(NEXT) | instid1(VALU_DEP_2)
	v_mul_lo_u32 v4, v4, 24
	v_mul_hi_u32 v5, v3, 24
	v_mul_lo_u32 v3, v3, 24
	s_delay_alu instid0(VALU_DEP_2) | instskip(NEXT) | instid1(VALU_DEP_2)
	v_add_nc_u32_e32 v4, v5, v4
	v_add_co_u32 v5, vcc_lo, v1, v3
	s_delay_alu instid0(VALU_DEP_2)
	v_add_co_ci_u32_e32 v6, vcc_lo, v2, v4, vcc_lo
	global_store_b64 v[5:6], v[15:16], off
	s_waitcnt_vscnt null, 0x0
	global_atomic_cmpswap_b64 v[3:4], v7, v[13:16], s[2:3] offset:32 glc
	s_waitcnt vmcnt(0)
	v_cmpx_ne_u64_e64 v[3:4], v[15:16]
	s_cbranch_execz .LBB3_12
; %bb.10:
	s_mov_b32 s7, 0
.LBB3_11:                               ; =>This Inner Loop Header: Depth=1
	v_dual_mov_b32 v1, s4 :: v_dual_mov_b32 v2, s5
	s_sleep 1
	global_store_b64 v[5:6], v[3:4], off
	s_waitcnt_vscnt null, 0x0
	global_atomic_cmpswap_b64 v[1:2], v7, v[1:4], s[2:3] offset:32 glc
	s_waitcnt vmcnt(0)
	v_cmp_eq_u64_e32 vcc_lo, v[1:2], v[3:4]
	v_dual_mov_b32 v4, v2 :: v_dual_mov_b32 v3, v1
	s_or_b32 s7, vcc_lo, s7
	s_delay_alu instid0(SALU_CYCLE_1)
	s_and_not1_b32 exec_lo, exec_lo, s7
	s_cbranch_execnz .LBB3_11
.LBB3_12:
	s_or_b32 exec_lo, exec_lo, s6
	v_mov_b32_e32 v4, 0
	s_mov_b32 s7, exec_lo
	s_mov_b32 s6, exec_lo
	v_mbcnt_lo_u32_b32 v3, s7, 0
	global_load_b64 v[1:2], v4, s[2:3] offset:16
	v_cmpx_eq_u32_e32 0, v3
	s_cbranch_execz .LBB3_14
; %bb.13:
	s_bcnt1_i32_b32 s7, s7
	s_delay_alu instid0(SALU_CYCLE_1)
	v_mov_b32_e32 v3, s7
	s_waitcnt vmcnt(0)
	global_atomic_add_u64 v[1:2], v[3:4], off offset:8
.LBB3_14:
	s_or_b32 exec_lo, exec_lo, s6
	s_waitcnt vmcnt(0)
	global_load_b64 v[3:4], v[1:2], off offset:16
	s_waitcnt vmcnt(0)
	v_cmp_eq_u64_e32 vcc_lo, 0, v[3:4]
	s_cbranch_vccnz .LBB3_16
; %bb.15:
	global_load_b32 v1, v[1:2], off offset:24
	s_waitcnt vmcnt(0)
	v_dual_mov_b32 v2, 0 :: v_dual_and_b32 v5, 0xffffff, v1
	s_waitcnt_vscnt null, 0x0
	global_store_b64 v[3:4], v[1:2], off
	v_readfirstlane_b32 m0, v5
	s_sendmsg sendmsg(MSG_INTERRUPT)
.LBB3_16:
	s_or_b32 exec_lo, exec_lo, s1
	s_branch .LBB3_20
	.p2align	6
.LBB3_17:                               ;   in Loop: Header=BB3_20 Depth=1
	s_or_b32 exec_lo, exec_lo, s1
	s_delay_alu instid0(VALU_DEP_1) | instskip(NEXT) | instid1(VALU_DEP_1)
	v_readfirstlane_b32 s1, v1
	s_cmp_eq_u32 s1, 0
	s_cbranch_scc1 .LBB3_19
; %bb.18:                               ;   in Loop: Header=BB3_20 Depth=1
	s_sleep 1
	s_cbranch_execnz .LBB3_20
	s_branch .LBB3_22
	.p2align	6
.LBB3_19:
	s_branch .LBB3_22
.LBB3_20:                               ; =>This Inner Loop Header: Depth=1
	v_mov_b32_e32 v1, 1
	s_and_saveexec_b32 s1, s0
	s_cbranch_execz .LBB3_17
; %bb.21:                               ;   in Loop: Header=BB3_20 Depth=1
	global_load_b32 v1, v[9:10], off offset:20 glc
	s_waitcnt vmcnt(0)
	buffer_gl1_inv
	buffer_gl0_inv
	v_and_b32_e32 v1, 1, v1
	s_branch .LBB3_17
.LBB3_22:
	global_load_b64 v[5:6], v[11:12], off
	s_and_saveexec_b32 s1, s0
	s_cbranch_execz .LBB3_26
; %bb.23:
	v_mov_b32_e32 v9, 0
	s_clause 0x2
	global_load_b64 v[3:4], v9, s[2:3] offset:40
	global_load_b64 v[10:11], v9, s[2:3] offset:24 glc
	global_load_b64 v[7:8], v9, s[2:3]
	s_waitcnt vmcnt(2)
	v_add_co_u32 v12, vcc_lo, v3, 1
	v_add_co_ci_u32_e32 v13, vcc_lo, 0, v4, vcc_lo
	s_delay_alu instid0(VALU_DEP_2) | instskip(NEXT) | instid1(VALU_DEP_2)
	v_add_co_u32 v1, vcc_lo, v12, s4
	v_add_co_ci_u32_e32 v2, vcc_lo, s5, v13, vcc_lo
	s_delay_alu instid0(VALU_DEP_1) | instskip(SKIP_1) | instid1(VALU_DEP_1)
	v_cmp_eq_u64_e32 vcc_lo, 0, v[1:2]
	v_dual_cndmask_b32 v2, v2, v13 :: v_dual_cndmask_b32 v1, v1, v12
	v_and_b32_e32 v4, v2, v4
	s_delay_alu instid0(VALU_DEP_2) | instskip(NEXT) | instid1(VALU_DEP_2)
	v_and_b32_e32 v3, v1, v3
	v_mul_lo_u32 v4, v4, 24
	s_delay_alu instid0(VALU_DEP_2) | instskip(SKIP_1) | instid1(VALU_DEP_2)
	v_mul_hi_u32 v12, v3, 24
	v_mul_lo_u32 v3, v3, 24
	v_add_nc_u32_e32 v4, v12, v4
	s_waitcnt vmcnt(0)
	s_delay_alu instid0(VALU_DEP_2) | instskip(SKIP_1) | instid1(VALU_DEP_3)
	v_add_co_u32 v7, vcc_lo, v7, v3
	v_mov_b32_e32 v3, v10
	v_add_co_ci_u32_e32 v8, vcc_lo, v8, v4, vcc_lo
	v_mov_b32_e32 v4, v11
	global_store_b64 v[7:8], v[10:11], off
	s_waitcnt_vscnt null, 0x0
	global_atomic_cmpswap_b64 v[3:4], v9, v[1:4], s[2:3] offset:24 glc
	s_waitcnt vmcnt(0)
	v_cmp_ne_u64_e32 vcc_lo, v[3:4], v[10:11]
	s_and_b32 exec_lo, exec_lo, vcc_lo
	s_cbranch_execz .LBB3_26
; %bb.24:
	s_mov_b32 s0, 0
.LBB3_25:                               ; =>This Inner Loop Header: Depth=1
	s_sleep 1
	global_store_b64 v[7:8], v[3:4], off
	s_waitcnt_vscnt null, 0x0
	global_atomic_cmpswap_b64 v[10:11], v9, v[1:4], s[2:3] offset:24 glc
	s_waitcnt vmcnt(0)
	v_cmp_eq_u64_e32 vcc_lo, v[10:11], v[3:4]
	v_dual_mov_b32 v3, v10 :: v_dual_mov_b32 v4, v11
	s_or_b32 s0, vcc_lo, s0
	s_delay_alu instid0(SALU_CYCLE_1)
	s_and_not1_b32 exec_lo, exec_lo, s0
	s_cbranch_execnz .LBB3_25
.LBB3_26:
	s_or_b32 exec_lo, exec_lo, s1
	s_getpc_b64 s[4:5]
	s_add_u32 s4, s4, .str.3@rel32@lo+4
	s_addc_u32 s5, s5, .str.3@rel32@hi+12
	s_delay_alu instid0(SALU_CYCLE_1)
	s_cmp_lg_u64 s[4:5], 0
	s_cbranch_scc0 .LBB3_104
; %bb.27:
	s_waitcnt vmcnt(0)
	v_dual_mov_b32 v8, 0 :: v_dual_and_b32 v29, 2, v5
	v_dual_mov_b32 v2, v6 :: v_dual_and_b32 v1, -3, v5
	v_dual_mov_b32 v9, 2 :: v_dual_mov_b32 v10, 1
	s_mov_b64 s[6:7], 0x4d
	s_branch .LBB3_29
.LBB3_28:                               ;   in Loop: Header=BB3_29 Depth=1
	s_or_b32 exec_lo, exec_lo, s1
	s_sub_u32 s6, s6, s10
	s_subb_u32 s7, s7, s11
	s_add_u32 s4, s4, s10
	s_addc_u32 s5, s5, s11
	s_cmp_lg_u64 s[6:7], 0
	s_cbranch_scc0 .LBB3_105
.LBB3_29:                               ; =>This Loop Header: Depth=1
                                        ;     Child Loop BB3_38 Depth 2
                                        ;     Child Loop BB3_34 Depth 2
	;; [unrolled: 1-line block ×11, first 2 shown]
	v_cmp_lt_u64_e64 s0, s[6:7], 56
	v_cmp_gt_u64_e64 s1, s[6:7], 7
                                        ; implicit-def: $vgpr3_vgpr4
                                        ; implicit-def: $sgpr16
	s_delay_alu instid0(VALU_DEP_2) | instskip(SKIP_2) | instid1(VALU_DEP_1)
	s_and_b32 s0, s0, exec_lo
	s_cselect_b32 s11, s7, 0
	s_cselect_b32 s10, s6, 56
	s_and_b32 vcc_lo, exec_lo, s1
	s_mov_b32 s0, -1
	s_cbranch_vccz .LBB3_36
; %bb.30:                               ;   in Loop: Header=BB3_29 Depth=1
	s_and_not1_b32 vcc_lo, exec_lo, s0
	s_mov_b64 s[0:1], s[4:5]
	s_cbranch_vccz .LBB3_40
.LBB3_31:                               ;   in Loop: Header=BB3_29 Depth=1
	s_cmp_gt_u32 s16, 7
	s_cbranch_scc1 .LBB3_41
.LBB3_32:                               ;   in Loop: Header=BB3_29 Depth=1
	v_mov_b32_e32 v11, 0
	v_mov_b32_e32 v12, 0
	s_cmp_eq_u32 s16, 0
	s_cbranch_scc1 .LBB3_35
; %bb.33:                               ;   in Loop: Header=BB3_29 Depth=1
	s_mov_b64 s[12:13], 0
	s_mov_b64 s[14:15], 0
.LBB3_34:                               ;   Parent Loop BB3_29 Depth=1
                                        ; =>  This Inner Loop Header: Depth=2
	s_delay_alu instid0(SALU_CYCLE_1)
	s_add_u32 s18, s0, s14
	s_addc_u32 s19, s1, s15
	s_add_u32 s14, s14, 1
	global_load_u8 v7, v8, s[18:19]
	s_addc_u32 s15, s15, 0
	s_waitcnt vmcnt(0)
	v_and_b32_e32 v7, 0xffff, v7
	s_delay_alu instid0(VALU_DEP_1) | instskip(SKIP_3) | instid1(VALU_DEP_1)
	v_lshlrev_b64 v[13:14], s12, v[7:8]
	s_add_u32 s12, s12, 8
	s_addc_u32 s13, s13, 0
	s_cmp_lg_u32 s16, s14
	v_or_b32_e32 v11, v13, v11
	s_delay_alu instid0(VALU_DEP_2)
	v_or_b32_e32 v12, v14, v12
	s_cbranch_scc1 .LBB3_34
.LBB3_35:                               ;   in Loop: Header=BB3_29 Depth=1
	s_mov_b32 s17, 0
	s_cbranch_execz .LBB3_42
	s_branch .LBB3_43
.LBB3_36:                               ;   in Loop: Header=BB3_29 Depth=1
	s_waitcnt vmcnt(0)
	v_mov_b32_e32 v3, 0
	v_mov_b32_e32 v4, 0
	s_cmp_eq_u64 s[6:7], 0
	s_mov_b64 s[0:1], 0
	s_cbranch_scc1 .LBB3_39
; %bb.37:                               ;   in Loop: Header=BB3_29 Depth=1
	v_mov_b32_e32 v3, 0
	v_mov_b32_e32 v4, 0
	s_lshl_b64 s[12:13], s[10:11], 3
	s_mov_b64 s[14:15], s[4:5]
.LBB3_38:                               ;   Parent Loop BB3_29 Depth=1
                                        ; =>  This Inner Loop Header: Depth=2
	global_load_u8 v7, v8, s[14:15]
	s_waitcnt vmcnt(0)
	v_and_b32_e32 v7, 0xffff, v7
	s_delay_alu instid0(VALU_DEP_1)
	v_lshlrev_b64 v[11:12], s0, v[7:8]
	s_add_u32 s0, s0, 8
	s_addc_u32 s1, s1, 0
	s_add_u32 s14, s14, 1
	s_addc_u32 s15, s15, 0
	s_cmp_lg_u32 s12, s0
	v_or_b32_e32 v3, v11, v3
	v_or_b32_e32 v4, v12, v4
	s_cbranch_scc1 .LBB3_38
.LBB3_39:                               ;   in Loop: Header=BB3_29 Depth=1
	s_mov_b32 s16, 0
	s_mov_b64 s[0:1], s[4:5]
	s_cbranch_execnz .LBB3_31
.LBB3_40:                               ;   in Loop: Header=BB3_29 Depth=1
	global_load_b64 v[3:4], v8, s[4:5]
	s_add_i32 s16, s10, -8
	s_add_u32 s0, s4, 8
	s_addc_u32 s1, s5, 0
	s_cmp_gt_u32 s16, 7
	s_cbranch_scc0 .LBB3_32
.LBB3_41:                               ;   in Loop: Header=BB3_29 Depth=1
                                        ; implicit-def: $vgpr11_vgpr12
                                        ; implicit-def: $sgpr17
.LBB3_42:                               ;   in Loop: Header=BB3_29 Depth=1
	global_load_b64 v[11:12], v8, s[0:1]
	s_add_i32 s17, s16, -8
	s_add_u32 s0, s0, 8
	s_addc_u32 s1, s1, 0
.LBB3_43:                               ;   in Loop: Header=BB3_29 Depth=1
	s_cmp_gt_u32 s17, 7
	s_cbranch_scc1 .LBB3_48
; %bb.44:                               ;   in Loop: Header=BB3_29 Depth=1
	v_mov_b32_e32 v13, 0
	v_mov_b32_e32 v14, 0
	s_cmp_eq_u32 s17, 0
	s_cbranch_scc1 .LBB3_47
; %bb.45:                               ;   in Loop: Header=BB3_29 Depth=1
	s_mov_b64 s[12:13], 0
	s_mov_b64 s[14:15], 0
.LBB3_46:                               ;   Parent Loop BB3_29 Depth=1
                                        ; =>  This Inner Loop Header: Depth=2
	s_delay_alu instid0(SALU_CYCLE_1)
	s_add_u32 s18, s0, s14
	s_addc_u32 s19, s1, s15
	s_add_u32 s14, s14, 1
	global_load_u8 v7, v8, s[18:19]
	s_addc_u32 s15, s15, 0
	s_waitcnt vmcnt(0)
	v_and_b32_e32 v7, 0xffff, v7
	s_delay_alu instid0(VALU_DEP_1) | instskip(SKIP_3) | instid1(VALU_DEP_1)
	v_lshlrev_b64 v[15:16], s12, v[7:8]
	s_add_u32 s12, s12, 8
	s_addc_u32 s13, s13, 0
	s_cmp_lg_u32 s17, s14
	v_or_b32_e32 v13, v15, v13
	s_delay_alu instid0(VALU_DEP_2)
	v_or_b32_e32 v14, v16, v14
	s_cbranch_scc1 .LBB3_46
.LBB3_47:                               ;   in Loop: Header=BB3_29 Depth=1
	s_mov_b32 s16, 0
	s_cbranch_execz .LBB3_49
	s_branch .LBB3_50
.LBB3_48:                               ;   in Loop: Header=BB3_29 Depth=1
                                        ; implicit-def: $sgpr16
.LBB3_49:                               ;   in Loop: Header=BB3_29 Depth=1
	global_load_b64 v[13:14], v8, s[0:1]
	s_add_i32 s16, s17, -8
	s_add_u32 s0, s0, 8
	s_addc_u32 s1, s1, 0
.LBB3_50:                               ;   in Loop: Header=BB3_29 Depth=1
	s_cmp_gt_u32 s16, 7
	s_cbranch_scc1 .LBB3_55
; %bb.51:                               ;   in Loop: Header=BB3_29 Depth=1
	v_mov_b32_e32 v15, 0
	v_mov_b32_e32 v16, 0
	s_cmp_eq_u32 s16, 0
	s_cbranch_scc1 .LBB3_54
; %bb.52:                               ;   in Loop: Header=BB3_29 Depth=1
	s_mov_b64 s[12:13], 0
	s_mov_b64 s[14:15], 0
.LBB3_53:                               ;   Parent Loop BB3_29 Depth=1
                                        ; =>  This Inner Loop Header: Depth=2
	s_delay_alu instid0(SALU_CYCLE_1)
	s_add_u32 s18, s0, s14
	s_addc_u32 s19, s1, s15
	s_add_u32 s14, s14, 1
	global_load_u8 v7, v8, s[18:19]
	s_addc_u32 s15, s15, 0
	s_waitcnt vmcnt(0)
	v_and_b32_e32 v7, 0xffff, v7
	s_delay_alu instid0(VALU_DEP_1) | instskip(SKIP_3) | instid1(VALU_DEP_1)
	v_lshlrev_b64 v[17:18], s12, v[7:8]
	s_add_u32 s12, s12, 8
	s_addc_u32 s13, s13, 0
	s_cmp_lg_u32 s16, s14
	v_or_b32_e32 v15, v17, v15
	s_delay_alu instid0(VALU_DEP_2)
	v_or_b32_e32 v16, v18, v16
	s_cbranch_scc1 .LBB3_53
.LBB3_54:                               ;   in Loop: Header=BB3_29 Depth=1
	s_mov_b32 s17, 0
	s_cbranch_execz .LBB3_56
	s_branch .LBB3_57
.LBB3_55:                               ;   in Loop: Header=BB3_29 Depth=1
                                        ; implicit-def: $vgpr15_vgpr16
                                        ; implicit-def: $sgpr17
.LBB3_56:                               ;   in Loop: Header=BB3_29 Depth=1
	global_load_b64 v[15:16], v8, s[0:1]
	s_add_i32 s17, s16, -8
	s_add_u32 s0, s0, 8
	s_addc_u32 s1, s1, 0
.LBB3_57:                               ;   in Loop: Header=BB3_29 Depth=1
	s_cmp_gt_u32 s17, 7
	s_cbranch_scc1 .LBB3_62
; %bb.58:                               ;   in Loop: Header=BB3_29 Depth=1
	v_mov_b32_e32 v17, 0
	v_mov_b32_e32 v18, 0
	s_cmp_eq_u32 s17, 0
	s_cbranch_scc1 .LBB3_61
; %bb.59:                               ;   in Loop: Header=BB3_29 Depth=1
	s_mov_b64 s[12:13], 0
	s_mov_b64 s[14:15], 0
.LBB3_60:                               ;   Parent Loop BB3_29 Depth=1
                                        ; =>  This Inner Loop Header: Depth=2
	s_delay_alu instid0(SALU_CYCLE_1)
	s_add_u32 s18, s0, s14
	s_addc_u32 s19, s1, s15
	s_add_u32 s14, s14, 1
	global_load_u8 v7, v8, s[18:19]
	s_addc_u32 s15, s15, 0
	s_waitcnt vmcnt(0)
	v_and_b32_e32 v7, 0xffff, v7
	s_delay_alu instid0(VALU_DEP_1) | instskip(SKIP_3) | instid1(VALU_DEP_1)
	v_lshlrev_b64 v[19:20], s12, v[7:8]
	s_add_u32 s12, s12, 8
	s_addc_u32 s13, s13, 0
	s_cmp_lg_u32 s17, s14
	v_or_b32_e32 v17, v19, v17
	s_delay_alu instid0(VALU_DEP_2)
	v_or_b32_e32 v18, v20, v18
	s_cbranch_scc1 .LBB3_60
.LBB3_61:                               ;   in Loop: Header=BB3_29 Depth=1
	s_mov_b32 s16, 0
	s_cbranch_execz .LBB3_63
	s_branch .LBB3_64
.LBB3_62:                               ;   in Loop: Header=BB3_29 Depth=1
                                        ; implicit-def: $sgpr16
.LBB3_63:                               ;   in Loop: Header=BB3_29 Depth=1
	global_load_b64 v[17:18], v8, s[0:1]
	s_add_i32 s16, s17, -8
	s_add_u32 s0, s0, 8
	s_addc_u32 s1, s1, 0
.LBB3_64:                               ;   in Loop: Header=BB3_29 Depth=1
	s_cmp_gt_u32 s16, 7
	s_cbranch_scc1 .LBB3_69
; %bb.65:                               ;   in Loop: Header=BB3_29 Depth=1
	v_mov_b32_e32 v19, 0
	v_mov_b32_e32 v20, 0
	s_cmp_eq_u32 s16, 0
	s_cbranch_scc1 .LBB3_68
; %bb.66:                               ;   in Loop: Header=BB3_29 Depth=1
	s_mov_b64 s[12:13], 0
	s_mov_b64 s[14:15], 0
.LBB3_67:                               ;   Parent Loop BB3_29 Depth=1
                                        ; =>  This Inner Loop Header: Depth=2
	s_delay_alu instid0(SALU_CYCLE_1)
	s_add_u32 s18, s0, s14
	s_addc_u32 s19, s1, s15
	s_add_u32 s14, s14, 1
	global_load_u8 v7, v8, s[18:19]
	s_addc_u32 s15, s15, 0
	s_waitcnt vmcnt(0)
	v_and_b32_e32 v7, 0xffff, v7
	s_delay_alu instid0(VALU_DEP_1) | instskip(SKIP_3) | instid1(VALU_DEP_1)
	v_lshlrev_b64 v[21:22], s12, v[7:8]
	s_add_u32 s12, s12, 8
	s_addc_u32 s13, s13, 0
	s_cmp_lg_u32 s16, s14
	v_or_b32_e32 v19, v21, v19
	s_delay_alu instid0(VALU_DEP_2)
	v_or_b32_e32 v20, v22, v20
	s_cbranch_scc1 .LBB3_67
.LBB3_68:                               ;   in Loop: Header=BB3_29 Depth=1
	s_mov_b32 s17, 0
	s_cbranch_execz .LBB3_70
	s_branch .LBB3_71
.LBB3_69:                               ;   in Loop: Header=BB3_29 Depth=1
                                        ; implicit-def: $vgpr19_vgpr20
                                        ; implicit-def: $sgpr17
.LBB3_70:                               ;   in Loop: Header=BB3_29 Depth=1
	global_load_b64 v[19:20], v8, s[0:1]
	s_add_i32 s17, s16, -8
	s_add_u32 s0, s0, 8
	s_addc_u32 s1, s1, 0
.LBB3_71:                               ;   in Loop: Header=BB3_29 Depth=1
	s_cmp_gt_u32 s17, 7
	s_cbranch_scc1 .LBB3_76
; %bb.72:                               ;   in Loop: Header=BB3_29 Depth=1
	v_mov_b32_e32 v21, 0
	v_mov_b32_e32 v22, 0
	s_cmp_eq_u32 s17, 0
	s_cbranch_scc1 .LBB3_75
; %bb.73:                               ;   in Loop: Header=BB3_29 Depth=1
	s_mov_b64 s[12:13], 0
	s_mov_b64 s[14:15], s[0:1]
.LBB3_74:                               ;   Parent Loop BB3_29 Depth=1
                                        ; =>  This Inner Loop Header: Depth=2
	global_load_u8 v7, v8, s[14:15]
	s_add_i32 s17, s17, -1
	s_waitcnt vmcnt(0)
	v_and_b32_e32 v7, 0xffff, v7
	s_delay_alu instid0(VALU_DEP_1)
	v_lshlrev_b64 v[23:24], s12, v[7:8]
	s_add_u32 s12, s12, 8
	s_addc_u32 s13, s13, 0
	s_add_u32 s14, s14, 1
	s_addc_u32 s15, s15, 0
	s_cmp_lg_u32 s17, 0
	v_or_b32_e32 v21, v23, v21
	v_or_b32_e32 v22, v24, v22
	s_cbranch_scc1 .LBB3_74
.LBB3_75:                               ;   in Loop: Header=BB3_29 Depth=1
	s_cbranch_execz .LBB3_77
	s_branch .LBB3_78
.LBB3_76:                               ;   in Loop: Header=BB3_29 Depth=1
.LBB3_77:                               ;   in Loop: Header=BB3_29 Depth=1
	global_load_b64 v[21:22], v8, s[0:1]
.LBB3_78:                               ;   in Loop: Header=BB3_29 Depth=1
	v_readfirstlane_b32 s0, v33
	v_mov_b32_e32 v27, 0
	v_mov_b32_e32 v28, 0
	s_delay_alu instid0(VALU_DEP_3) | instskip(NEXT) | instid1(VALU_DEP_1)
	v_cmp_eq_u32_e64 s0, s0, v33
	s_and_saveexec_b32 s1, s0
	s_cbranch_execz .LBB3_84
; %bb.79:                               ;   in Loop: Header=BB3_29 Depth=1
	global_load_b64 v[25:26], v8, s[2:3] offset:24 glc
	s_waitcnt vmcnt(0)
	buffer_gl1_inv
	buffer_gl0_inv
	s_clause 0x1
	global_load_b64 v[23:24], v8, s[2:3] offset:40
	global_load_b64 v[27:28], v8, s[2:3]
	s_mov_b32 s12, exec_lo
	s_waitcnt vmcnt(1)
	v_and_b32_e32 v7, v24, v26
	v_and_b32_e32 v23, v23, v25
	s_delay_alu instid0(VALU_DEP_2) | instskip(NEXT) | instid1(VALU_DEP_2)
	v_mul_lo_u32 v7, v7, 24
	v_mul_hi_u32 v24, v23, 24
	v_mul_lo_u32 v23, v23, 24
	s_delay_alu instid0(VALU_DEP_2) | instskip(SKIP_1) | instid1(VALU_DEP_2)
	v_add_nc_u32_e32 v7, v24, v7
	s_waitcnt vmcnt(0)
	v_add_co_u32 v23, vcc_lo, v27, v23
	s_delay_alu instid0(VALU_DEP_2)
	v_add_co_ci_u32_e32 v24, vcc_lo, v28, v7, vcc_lo
	global_load_b64 v[23:24], v[23:24], off glc
	s_waitcnt vmcnt(0)
	global_atomic_cmpswap_b64 v[27:28], v8, v[23:26], s[2:3] offset:24 glc
	s_waitcnt vmcnt(0)
	buffer_gl1_inv
	buffer_gl0_inv
	v_cmpx_ne_u64_e64 v[27:28], v[25:26]
	s_cbranch_execz .LBB3_83
; %bb.80:                               ;   in Loop: Header=BB3_29 Depth=1
	s_mov_b32 s13, 0
	.p2align	6
.LBB3_81:                               ;   Parent Loop BB3_29 Depth=1
                                        ; =>  This Inner Loop Header: Depth=2
	s_sleep 1
	s_clause 0x1
	global_load_b64 v[23:24], v8, s[2:3] offset:40
	global_load_b64 v[30:31], v8, s[2:3]
	v_dual_mov_b32 v25, v27 :: v_dual_mov_b32 v26, v28
	s_waitcnt vmcnt(1)
	s_delay_alu instid0(VALU_DEP_1) | instskip(SKIP_1) | instid1(VALU_DEP_1)
	v_and_b32_e32 v7, v23, v25
	s_waitcnt vmcnt(0)
	v_mad_u64_u32 v[27:28], null, v7, 24, v[30:31]
	v_and_b32_e32 v30, v24, v26
	s_delay_alu instid0(VALU_DEP_2) | instskip(NEXT) | instid1(VALU_DEP_1)
	v_mov_b32_e32 v7, v28
	v_mad_u64_u32 v[23:24], null, v30, 24, v[7:8]
	s_delay_alu instid0(VALU_DEP_1)
	v_mov_b32_e32 v28, v23
	global_load_b64 v[23:24], v[27:28], off glc
	s_waitcnt vmcnt(0)
	global_atomic_cmpswap_b64 v[27:28], v8, v[23:26], s[2:3] offset:24 glc
	s_waitcnt vmcnt(0)
	buffer_gl1_inv
	buffer_gl0_inv
	v_cmp_eq_u64_e32 vcc_lo, v[27:28], v[25:26]
	s_or_b32 s13, vcc_lo, s13
	s_delay_alu instid0(SALU_CYCLE_1)
	s_and_not1_b32 exec_lo, exec_lo, s13
	s_cbranch_execnz .LBB3_81
; %bb.82:                               ;   in Loop: Header=BB3_29 Depth=1
	s_or_b32 exec_lo, exec_lo, s13
.LBB3_83:                               ;   in Loop: Header=BB3_29 Depth=1
	s_delay_alu instid0(SALU_CYCLE_1)
	s_or_b32 exec_lo, exec_lo, s12
.LBB3_84:                               ;   in Loop: Header=BB3_29 Depth=1
	s_delay_alu instid0(SALU_CYCLE_1)
	s_or_b32 exec_lo, exec_lo, s1
	s_clause 0x1
	global_load_b64 v[30:31], v8, s[2:3] offset:40
	global_load_b128 v[23:26], v8, s[2:3]
	v_readfirstlane_b32 s12, v27
	v_readfirstlane_b32 s13, v28
	s_mov_b32 s1, exec_lo
	s_waitcnt vmcnt(1)
	v_readfirstlane_b32 s14, v30
	v_readfirstlane_b32 s15, v31
	s_delay_alu instid0(VALU_DEP_1) | instskip(NEXT) | instid1(SALU_CYCLE_1)
	s_and_b64 s[14:15], s[12:13], s[14:15]
	s_mul_i32 s16, s15, 24
	s_mul_hi_u32 s17, s14, 24
	s_mul_i32 s18, s14, 24
	s_add_i32 s17, s17, s16
	s_waitcnt vmcnt(0)
	v_add_co_u32 v27, vcc_lo, v23, s18
	v_add_co_ci_u32_e32 v28, vcc_lo, s17, v24, vcc_lo
	s_and_saveexec_b32 s16, s0
	s_cbranch_execz .LBB3_86
; %bb.85:                               ;   in Loop: Header=BB3_29 Depth=1
	v_mov_b32_e32 v7, s1
	global_store_b128 v[27:28], v[7:10], off offset:8
.LBB3_86:                               ;   in Loop: Header=BB3_29 Depth=1
	s_or_b32 exec_lo, exec_lo, s16
	s_lshl_b64 s[14:15], s[14:15], 12
	v_cmp_gt_u64_e64 vcc_lo, s[6:7], 56
	v_or_b32_e32 v7, 0, v2
	v_or_b32_e32 v30, v1, v29
	v_add_co_u32 v25, s1, v25, s14
	s_delay_alu instid0(VALU_DEP_1) | instskip(SKIP_1) | instid1(VALU_DEP_3)
	v_add_co_ci_u32_e64 v26, s1, s15, v26, s1
	s_lshl_b32 s1, s10, 2
	v_dual_cndmask_b32 v2, v7, v2 :: v_dual_cndmask_b32 v1, v30, v1
	s_add_i32 s1, s1, 28
	v_readfirstlane_b32 s14, v25
	s_and_b32 s1, s1, 0x1e0
	v_readfirstlane_b32 s15, v26
	v_and_or_b32 v1, 0xffffff1f, v1, s1
	s_clause 0x3
	global_store_b128 v32, v[1:4], s[14:15]
	global_store_b128 v32, v[11:14], s[14:15] offset:16
	global_store_b128 v32, v[15:18], s[14:15] offset:32
	;; [unrolled: 1-line block ×3, first 2 shown]
	s_and_saveexec_b32 s1, s0
	s_cbranch_execz .LBB3_94
; %bb.87:                               ;   in Loop: Header=BB3_29 Depth=1
	s_clause 0x1
	global_load_b64 v[15:16], v8, s[2:3] offset:32 glc
	global_load_b64 v[1:2], v8, s[2:3] offset:40
	v_dual_mov_b32 v13, s12 :: v_dual_mov_b32 v14, s13
	s_waitcnt vmcnt(0)
	v_readfirstlane_b32 s14, v1
	v_readfirstlane_b32 s15, v2
	s_delay_alu instid0(VALU_DEP_1) | instskip(NEXT) | instid1(SALU_CYCLE_1)
	s_and_b64 s[14:15], s[14:15], s[12:13]
	s_mul_i32 s15, s15, 24
	s_mul_hi_u32 s16, s14, 24
	s_mul_i32 s14, s14, 24
	s_add_i32 s16, s16, s15
	v_add_co_u32 v11, vcc_lo, v23, s14
	v_add_co_ci_u32_e32 v12, vcc_lo, s16, v24, vcc_lo
	s_mov_b32 s14, exec_lo
	global_store_b64 v[11:12], v[15:16], off
	s_waitcnt_vscnt null, 0x0
	global_atomic_cmpswap_b64 v[3:4], v8, v[13:16], s[2:3] offset:32 glc
	s_waitcnt vmcnt(0)
	v_cmpx_ne_u64_e64 v[3:4], v[15:16]
	s_cbranch_execz .LBB3_90
; %bb.88:                               ;   in Loop: Header=BB3_29 Depth=1
	s_mov_b32 s15, 0
.LBB3_89:                               ;   Parent Loop BB3_29 Depth=1
                                        ; =>  This Inner Loop Header: Depth=2
	v_dual_mov_b32 v1, s12 :: v_dual_mov_b32 v2, s13
	s_sleep 1
	global_store_b64 v[11:12], v[3:4], off
	s_waitcnt_vscnt null, 0x0
	global_atomic_cmpswap_b64 v[1:2], v8, v[1:4], s[2:3] offset:32 glc
	s_waitcnt vmcnt(0)
	v_cmp_eq_u64_e32 vcc_lo, v[1:2], v[3:4]
	v_dual_mov_b32 v4, v2 :: v_dual_mov_b32 v3, v1
	s_or_b32 s15, vcc_lo, s15
	s_delay_alu instid0(SALU_CYCLE_1)
	s_and_not1_b32 exec_lo, exec_lo, s15
	s_cbranch_execnz .LBB3_89
.LBB3_90:                               ;   in Loop: Header=BB3_29 Depth=1
	s_or_b32 exec_lo, exec_lo, s14
	global_load_b64 v[1:2], v8, s[2:3] offset:16
	s_mov_b32 s15, exec_lo
	s_mov_b32 s14, exec_lo
	v_mbcnt_lo_u32_b32 v3, s15, 0
	s_delay_alu instid0(VALU_DEP_1)
	v_cmpx_eq_u32_e32 0, v3
	s_cbranch_execz .LBB3_92
; %bb.91:                               ;   in Loop: Header=BB3_29 Depth=1
	s_bcnt1_i32_b32 s15, s15
	s_delay_alu instid0(SALU_CYCLE_1)
	v_mov_b32_e32 v7, s15
	s_waitcnt vmcnt(0)
	global_atomic_add_u64 v[1:2], v[7:8], off offset:8
.LBB3_92:                               ;   in Loop: Header=BB3_29 Depth=1
	s_or_b32 exec_lo, exec_lo, s14
	s_waitcnt vmcnt(0)
	global_load_b64 v[3:4], v[1:2], off offset:16
	s_waitcnt vmcnt(0)
	v_cmp_eq_u64_e32 vcc_lo, 0, v[3:4]
	s_cbranch_vccnz .LBB3_94
; %bb.93:                               ;   in Loop: Header=BB3_29 Depth=1
	global_load_b32 v7, v[1:2], off offset:24
	s_waitcnt vmcnt(0)
	v_and_b32_e32 v1, 0xffffff, v7
	s_waitcnt_vscnt null, 0x0
	global_store_b64 v[3:4], v[7:8], off
	v_readfirstlane_b32 m0, v1
	s_sendmsg sendmsg(MSG_INTERRUPT)
.LBB3_94:                               ;   in Loop: Header=BB3_29 Depth=1
	s_or_b32 exec_lo, exec_lo, s1
	v_add_co_u32 v1, vcc_lo, v25, v32
	v_add_co_ci_u32_e32 v2, vcc_lo, 0, v26, vcc_lo
	s_branch .LBB3_98
	.p2align	6
.LBB3_95:                               ;   in Loop: Header=BB3_98 Depth=2
	s_or_b32 exec_lo, exec_lo, s1
	s_delay_alu instid0(VALU_DEP_1) | instskip(NEXT) | instid1(VALU_DEP_1)
	v_readfirstlane_b32 s1, v3
	s_cmp_eq_u32 s1, 0
	s_cbranch_scc1 .LBB3_97
; %bb.96:                               ;   in Loop: Header=BB3_98 Depth=2
	s_sleep 1
	s_cbranch_execnz .LBB3_98
	s_branch .LBB3_100
	.p2align	6
.LBB3_97:                               ;   in Loop: Header=BB3_29 Depth=1
	s_branch .LBB3_100
.LBB3_98:                               ;   Parent Loop BB3_29 Depth=1
                                        ; =>  This Inner Loop Header: Depth=2
	v_mov_b32_e32 v3, 1
	s_and_saveexec_b32 s1, s0
	s_cbranch_execz .LBB3_95
; %bb.99:                               ;   in Loop: Header=BB3_98 Depth=2
	global_load_b32 v3, v[27:28], off offset:20 glc
	s_waitcnt vmcnt(0)
	buffer_gl1_inv
	buffer_gl0_inv
	v_and_b32_e32 v3, 1, v3
	s_branch .LBB3_95
.LBB3_100:                              ;   in Loop: Header=BB3_29 Depth=1
	global_load_b128 v[1:4], v[1:2], off
	s_and_saveexec_b32 s1, s0
	s_cbranch_execz .LBB3_28
; %bb.101:                              ;   in Loop: Header=BB3_29 Depth=1
	s_clause 0x2
	global_load_b64 v[3:4], v8, s[2:3] offset:40
	global_load_b64 v[15:16], v8, s[2:3] offset:24 glc
	global_load_b64 v[13:14], v8, s[2:3]
	s_waitcnt vmcnt(2)
	v_add_co_u32 v7, vcc_lo, v3, 1
	v_add_co_ci_u32_e32 v17, vcc_lo, 0, v4, vcc_lo
	s_delay_alu instid0(VALU_DEP_2) | instskip(NEXT) | instid1(VALU_DEP_2)
	v_add_co_u32 v11, vcc_lo, v7, s12
	v_add_co_ci_u32_e32 v12, vcc_lo, s13, v17, vcc_lo
	s_delay_alu instid0(VALU_DEP_1) | instskip(SKIP_1) | instid1(VALU_DEP_1)
	v_cmp_eq_u64_e32 vcc_lo, 0, v[11:12]
	v_dual_cndmask_b32 v12, v12, v17 :: v_dual_cndmask_b32 v11, v11, v7
	v_and_b32_e32 v4, v12, v4
	s_delay_alu instid0(VALU_DEP_2) | instskip(NEXT) | instid1(VALU_DEP_1)
	v_and_b32_e32 v3, v11, v3
	v_mul_hi_u32 v7, v3, 24
	v_mul_lo_u32 v3, v3, 24
	s_waitcnt vmcnt(0)
	s_delay_alu instid0(VALU_DEP_1) | instskip(SKIP_2) | instid1(VALU_DEP_1)
	v_add_co_u32 v3, vcc_lo, v13, v3
	v_mov_b32_e32 v13, v15
	v_mul_lo_u32 v4, v4, 24
	v_add_nc_u32_e32 v4, v7, v4
	s_delay_alu instid0(VALU_DEP_1)
	v_add_co_ci_u32_e32 v4, vcc_lo, v14, v4, vcc_lo
	v_mov_b32_e32 v14, v16
	global_store_b64 v[3:4], v[15:16], off
	s_waitcnt_vscnt null, 0x0
	global_atomic_cmpswap_b64 v[13:14], v8, v[11:14], s[2:3] offset:24 glc
	s_waitcnt vmcnt(0)
	v_cmp_ne_u64_e32 vcc_lo, v[13:14], v[15:16]
	s_and_b32 exec_lo, exec_lo, vcc_lo
	s_cbranch_execz .LBB3_28
; %bb.102:                              ;   in Loop: Header=BB3_29 Depth=1
	s_mov_b32 s0, 0
.LBB3_103:                              ;   Parent Loop BB3_29 Depth=1
                                        ; =>  This Inner Loop Header: Depth=2
	s_sleep 1
	global_store_b64 v[3:4], v[13:14], off
	s_waitcnt_vscnt null, 0x0
	global_atomic_cmpswap_b64 v[15:16], v8, v[11:14], s[2:3] offset:24 glc
	s_waitcnt vmcnt(0)
	v_cmp_eq_u64_e32 vcc_lo, v[15:16], v[13:14]
	v_dual_mov_b32 v13, v15 :: v_dual_mov_b32 v14, v16
	s_or_b32 s0, vcc_lo, s0
	s_delay_alu instid0(SALU_CYCLE_1)
	s_and_not1_b32 exec_lo, exec_lo, s0
	s_cbranch_execnz .LBB3_103
	s_branch .LBB3_28
.LBB3_104:
                                        ; implicit-def: $vgpr1_vgpr2
	s_cbranch_execnz .LBB3_106
	s_branch .LBB3_133
.LBB3_105:
	s_branch .LBB3_133
.LBB3_106:
	v_readfirstlane_b32 s0, v33
	v_mov_b32_e32 v8, 0
	v_mov_b32_e32 v9, 0
	s_delay_alu instid0(VALU_DEP_3) | instskip(NEXT) | instid1(VALU_DEP_1)
	v_cmp_eq_u32_e64 s0, s0, v33
	s_and_saveexec_b32 s1, s0
	s_cbranch_execz .LBB3_112
; %bb.107:
	s_waitcnt vmcnt(0)
	v_mov_b32_e32 v1, 0
	s_mov_b32 s4, exec_lo
	global_load_b64 v[10:11], v1, s[2:3] offset:24 glc
	s_waitcnt vmcnt(0)
	buffer_gl1_inv
	buffer_gl0_inv
	s_clause 0x1
	global_load_b64 v[2:3], v1, s[2:3] offset:40
	global_load_b64 v[7:8], v1, s[2:3]
	s_waitcnt vmcnt(1)
	v_and_b32_e32 v2, v2, v10
	v_and_b32_e32 v3, v3, v11
	s_delay_alu instid0(VALU_DEP_2) | instskip(NEXT) | instid1(VALU_DEP_2)
	v_mul_hi_u32 v4, v2, 24
	v_mul_lo_u32 v3, v3, 24
	v_mul_lo_u32 v2, v2, 24
	s_delay_alu instid0(VALU_DEP_2) | instskip(SKIP_1) | instid1(VALU_DEP_2)
	v_add_nc_u32_e32 v3, v4, v3
	s_waitcnt vmcnt(0)
	v_add_co_u32 v2, vcc_lo, v7, v2
	s_delay_alu instid0(VALU_DEP_2)
	v_add_co_ci_u32_e32 v3, vcc_lo, v8, v3, vcc_lo
	global_load_b64 v[8:9], v[2:3], off glc
	s_waitcnt vmcnt(0)
	global_atomic_cmpswap_b64 v[8:9], v1, v[8:11], s[2:3] offset:24 glc
	s_waitcnt vmcnt(0)
	buffer_gl1_inv
	buffer_gl0_inv
	v_cmpx_ne_u64_e64 v[8:9], v[10:11]
	s_cbranch_execz .LBB3_111
; %bb.108:
	s_mov_b32 s5, 0
	.p2align	6
.LBB3_109:                              ; =>This Inner Loop Header: Depth=1
	s_sleep 1
	s_clause 0x1
	global_load_b64 v[2:3], v1, s[2:3] offset:40
	global_load_b64 v[12:13], v1, s[2:3]
	v_dual_mov_b32 v11, v9 :: v_dual_mov_b32 v10, v8
	s_waitcnt vmcnt(1)
	s_delay_alu instid0(VALU_DEP_1) | instskip(SKIP_1) | instid1(VALU_DEP_1)
	v_and_b32_e32 v2, v2, v10
	s_waitcnt vmcnt(0)
	v_mad_u64_u32 v[7:8], null, v2, 24, v[12:13]
	s_delay_alu instid0(VALU_DEP_1) | instskip(NEXT) | instid1(VALU_DEP_1)
	v_dual_mov_b32 v2, v8 :: v_dual_and_b32 v9, v3, v11
	v_mad_u64_u32 v[3:4], null, v9, 24, v[2:3]
	s_delay_alu instid0(VALU_DEP_1)
	v_mov_b32_e32 v8, v3
	global_load_b64 v[8:9], v[7:8], off glc
	s_waitcnt vmcnt(0)
	global_atomic_cmpswap_b64 v[8:9], v1, v[8:11], s[2:3] offset:24 glc
	s_waitcnt vmcnt(0)
	buffer_gl1_inv
	buffer_gl0_inv
	v_cmp_eq_u64_e32 vcc_lo, v[8:9], v[10:11]
	s_or_b32 s5, vcc_lo, s5
	s_delay_alu instid0(SALU_CYCLE_1)
	s_and_not1_b32 exec_lo, exec_lo, s5
	s_cbranch_execnz .LBB3_109
; %bb.110:
	s_or_b32 exec_lo, exec_lo, s5
.LBB3_111:
	s_delay_alu instid0(SALU_CYCLE_1)
	s_or_b32 exec_lo, exec_lo, s4
.LBB3_112:
	s_delay_alu instid0(SALU_CYCLE_1)
	s_or_b32 exec_lo, exec_lo, s1
	v_mov_b32_e32 v7, 0
	v_readfirstlane_b32 s4, v8
	v_readfirstlane_b32 s5, v9
	s_mov_b32 s1, exec_lo
	s_clause 0x1
	global_load_b64 v[10:11], v7, s[2:3] offset:40
	global_load_b128 v[1:4], v7, s[2:3]
	s_waitcnt vmcnt(1)
	v_readfirstlane_b32 s6, v10
	v_readfirstlane_b32 s7, v11
	s_delay_alu instid0(VALU_DEP_1) | instskip(NEXT) | instid1(SALU_CYCLE_1)
	s_and_b64 s[6:7], s[4:5], s[6:7]
	s_mul_i32 s10, s7, 24
	s_mul_hi_u32 s11, s6, 24
	s_mul_i32 s12, s6, 24
	s_add_i32 s11, s11, s10
	s_waitcnt vmcnt(0)
	v_add_co_u32 v9, vcc_lo, v1, s12
	v_add_co_ci_u32_e32 v10, vcc_lo, s11, v2, vcc_lo
	s_and_saveexec_b32 s10, s0
	s_cbranch_execz .LBB3_114
; %bb.113:
	v_dual_mov_b32 v11, s1 :: v_dual_mov_b32 v12, v7
	v_dual_mov_b32 v13, 2 :: v_dual_mov_b32 v14, 1
	global_store_b128 v[9:10], v[11:14], off offset:8
.LBB3_114:
	s_or_b32 exec_lo, exec_lo, s10
	s_lshl_b64 s[6:7], s[6:7], 12
	s_mov_b32 s12, 0
	v_add_co_u32 v3, vcc_lo, v3, s6
	v_add_co_ci_u32_e32 v4, vcc_lo, s7, v4, vcc_lo
	s_mov_b32 s15, s12
	s_delay_alu instid0(VALU_DEP_2)
	v_add_co_u32 v11, vcc_lo, v3, v32
	s_mov_b32 s13, s12
	s_mov_b32 s14, s12
	v_and_or_b32 v5, 0xffffff1f, v5, 32
	v_mov_b32_e32 v8, v7
	v_readfirstlane_b32 s6, v3
	v_readfirstlane_b32 s7, v4
	v_dual_mov_b32 v16, s15 :: v_dual_mov_b32 v13, s12
	v_add_co_ci_u32_e32 v12, vcc_lo, 0, v4, vcc_lo
	v_dual_mov_b32 v15, s14 :: v_dual_mov_b32 v14, s13
	s_clause 0x3
	global_store_b128 v32, v[5:8], s[6:7]
	global_store_b128 v32, v[13:16], s[6:7] offset:16
	global_store_b128 v32, v[13:16], s[6:7] offset:32
	;; [unrolled: 1-line block ×3, first 2 shown]
	s_and_saveexec_b32 s1, s0
	s_cbranch_execz .LBB3_122
; %bb.115:
	v_dual_mov_b32 v7, 0 :: v_dual_mov_b32 v14, s5
	v_mov_b32_e32 v13, s4
	s_clause 0x1
	global_load_b64 v[15:16], v7, s[2:3] offset:32 glc
	global_load_b64 v[3:4], v7, s[2:3] offset:40
	s_waitcnt vmcnt(0)
	v_readfirstlane_b32 s6, v3
	v_readfirstlane_b32 s7, v4
	s_delay_alu instid0(VALU_DEP_1) | instskip(NEXT) | instid1(SALU_CYCLE_1)
	s_and_b64 s[6:7], s[6:7], s[4:5]
	s_mul_i32 s7, s7, 24
	s_mul_hi_u32 s10, s6, 24
	s_mul_i32 s6, s6, 24
	s_add_i32 s10, s10, s7
	v_add_co_u32 v5, vcc_lo, v1, s6
	v_add_co_ci_u32_e32 v6, vcc_lo, s10, v2, vcc_lo
	s_mov_b32 s6, exec_lo
	global_store_b64 v[5:6], v[15:16], off
	s_waitcnt_vscnt null, 0x0
	global_atomic_cmpswap_b64 v[3:4], v7, v[13:16], s[2:3] offset:32 glc
	s_waitcnt vmcnt(0)
	v_cmpx_ne_u64_e64 v[3:4], v[15:16]
	s_cbranch_execz .LBB3_118
; %bb.116:
	s_mov_b32 s7, 0
.LBB3_117:                              ; =>This Inner Loop Header: Depth=1
	v_dual_mov_b32 v1, s4 :: v_dual_mov_b32 v2, s5
	s_sleep 1
	global_store_b64 v[5:6], v[3:4], off
	s_waitcnt_vscnt null, 0x0
	global_atomic_cmpswap_b64 v[1:2], v7, v[1:4], s[2:3] offset:32 glc
	s_waitcnt vmcnt(0)
	v_cmp_eq_u64_e32 vcc_lo, v[1:2], v[3:4]
	v_dual_mov_b32 v4, v2 :: v_dual_mov_b32 v3, v1
	s_or_b32 s7, vcc_lo, s7
	s_delay_alu instid0(SALU_CYCLE_1)
	s_and_not1_b32 exec_lo, exec_lo, s7
	s_cbranch_execnz .LBB3_117
.LBB3_118:
	s_or_b32 exec_lo, exec_lo, s6
	v_mov_b32_e32 v4, 0
	s_mov_b32 s7, exec_lo
	s_mov_b32 s6, exec_lo
	v_mbcnt_lo_u32_b32 v3, s7, 0
	global_load_b64 v[1:2], v4, s[2:3] offset:16
	v_cmpx_eq_u32_e32 0, v3
	s_cbranch_execz .LBB3_120
; %bb.119:
	s_bcnt1_i32_b32 s7, s7
	s_delay_alu instid0(SALU_CYCLE_1)
	v_mov_b32_e32 v3, s7
	s_waitcnt vmcnt(0)
	global_atomic_add_u64 v[1:2], v[3:4], off offset:8
.LBB3_120:
	s_or_b32 exec_lo, exec_lo, s6
	s_waitcnt vmcnt(0)
	global_load_b64 v[3:4], v[1:2], off offset:16
	s_waitcnt vmcnt(0)
	v_cmp_eq_u64_e32 vcc_lo, 0, v[3:4]
	s_cbranch_vccnz .LBB3_122
; %bb.121:
	global_load_b32 v1, v[1:2], off offset:24
	s_waitcnt vmcnt(0)
	v_dual_mov_b32 v2, 0 :: v_dual_and_b32 v5, 0xffffff, v1
	s_waitcnt_vscnt null, 0x0
	global_store_b64 v[3:4], v[1:2], off
	v_readfirstlane_b32 m0, v5
	s_sendmsg sendmsg(MSG_INTERRUPT)
.LBB3_122:
	s_or_b32 exec_lo, exec_lo, s1
	s_branch .LBB3_126
	.p2align	6
.LBB3_123:                              ;   in Loop: Header=BB3_126 Depth=1
	s_or_b32 exec_lo, exec_lo, s1
	s_delay_alu instid0(VALU_DEP_1) | instskip(NEXT) | instid1(VALU_DEP_1)
	v_readfirstlane_b32 s1, v1
	s_cmp_eq_u32 s1, 0
	s_cbranch_scc1 .LBB3_125
; %bb.124:                              ;   in Loop: Header=BB3_126 Depth=1
	s_sleep 1
	s_cbranch_execnz .LBB3_126
	s_branch .LBB3_128
	.p2align	6
.LBB3_125:
	s_branch .LBB3_128
.LBB3_126:                              ; =>This Inner Loop Header: Depth=1
	v_mov_b32_e32 v1, 1
	s_and_saveexec_b32 s1, s0
	s_cbranch_execz .LBB3_123
; %bb.127:                              ;   in Loop: Header=BB3_126 Depth=1
	global_load_b32 v1, v[9:10], off offset:20 glc
	s_waitcnt vmcnt(0)
	buffer_gl1_inv
	buffer_gl0_inv
	v_and_b32_e32 v1, 1, v1
	s_branch .LBB3_123
.LBB3_128:
	global_load_b64 v[1:2], v[11:12], off
	s_and_saveexec_b32 s1, s0
	s_cbranch_execz .LBB3_132
; %bb.129:
	v_mov_b32_e32 v9, 0
	s_clause 0x2
	global_load_b64 v[5:6], v9, s[2:3] offset:40
	global_load_b64 v[10:11], v9, s[2:3] offset:24 glc
	global_load_b64 v[7:8], v9, s[2:3]
	s_waitcnt vmcnt(2)
	v_add_co_u32 v12, vcc_lo, v5, 1
	v_add_co_ci_u32_e32 v13, vcc_lo, 0, v6, vcc_lo
	s_delay_alu instid0(VALU_DEP_2) | instskip(NEXT) | instid1(VALU_DEP_2)
	v_add_co_u32 v3, vcc_lo, v12, s4
	v_add_co_ci_u32_e32 v4, vcc_lo, s5, v13, vcc_lo
	s_delay_alu instid0(VALU_DEP_1) | instskip(SKIP_1) | instid1(VALU_DEP_1)
	v_cmp_eq_u64_e32 vcc_lo, 0, v[3:4]
	v_dual_cndmask_b32 v4, v4, v13 :: v_dual_cndmask_b32 v3, v3, v12
	v_and_b32_e32 v6, v4, v6
	s_delay_alu instid0(VALU_DEP_2) | instskip(NEXT) | instid1(VALU_DEP_2)
	v_and_b32_e32 v5, v3, v5
	v_mul_lo_u32 v6, v6, 24
	s_delay_alu instid0(VALU_DEP_2) | instskip(SKIP_1) | instid1(VALU_DEP_2)
	v_mul_hi_u32 v12, v5, 24
	v_mul_lo_u32 v5, v5, 24
	v_add_nc_u32_e32 v6, v12, v6
	s_waitcnt vmcnt(0)
	s_delay_alu instid0(VALU_DEP_2) | instskip(SKIP_1) | instid1(VALU_DEP_3)
	v_add_co_u32 v7, vcc_lo, v7, v5
	v_mov_b32_e32 v5, v10
	v_add_co_ci_u32_e32 v8, vcc_lo, v8, v6, vcc_lo
	v_mov_b32_e32 v6, v11
	global_store_b64 v[7:8], v[10:11], off
	s_waitcnt_vscnt null, 0x0
	global_atomic_cmpswap_b64 v[5:6], v9, v[3:6], s[2:3] offset:24 glc
	s_waitcnt vmcnt(0)
	v_cmp_ne_u64_e32 vcc_lo, v[5:6], v[10:11]
	s_and_b32 exec_lo, exec_lo, vcc_lo
	s_cbranch_execz .LBB3_132
; %bb.130:
	s_mov_b32 s0, 0
.LBB3_131:                              ; =>This Inner Loop Header: Depth=1
	s_sleep 1
	global_store_b64 v[7:8], v[5:6], off
	s_waitcnt_vscnt null, 0x0
	global_atomic_cmpswap_b64 v[10:11], v9, v[3:6], s[2:3] offset:24 glc
	s_waitcnt vmcnt(0)
	v_cmp_eq_u64_e32 vcc_lo, v[10:11], v[5:6]
	v_dual_mov_b32 v5, v10 :: v_dual_mov_b32 v6, v11
	s_or_b32 s0, vcc_lo, s0
	s_delay_alu instid0(SALU_CYCLE_1)
	s_and_not1_b32 exec_lo, exec_lo, s0
	s_cbranch_execnz .LBB3_131
.LBB3_132:
	s_or_b32 exec_lo, exec_lo, s1
.LBB3_133:
	s_getpc_b64 s[0:1]
	s_add_u32 s0, s0, .str.1@rel32@lo+4
	s_addc_u32 s1, s1, .str.1@rel32@hi+12
	s_mov_b64 s[4:5], 0
	s_cmp_lg_u64 s[0:1], 0
	s_cselect_b32 s6, -1, 0
	s_cmp_eq_u64 s[0:1], 0
	s_cbranch_scc1 .LBB3_137
; %bb.134:
	s_waitcnt vmcnt(0)
	v_mov_b32_e32 v3, 0
	s_getpc_b64 s[0:1]
	s_add_u32 s0, s0, .str.1@rel32@lo+3
	s_addc_u32 s1, s1, .str.1@rel32@hi+11
.LBB3_135:                              ; =>This Inner Loop Header: Depth=1
	global_load_u8 v4, v3, s[0:1] offset:1
	s_add_u32 s4, s0, 1
	s_addc_u32 s5, s1, 0
	s_delay_alu instid0(SALU_CYCLE_1)
	s_mov_b64 s[0:1], s[4:5]
	s_waitcnt vmcnt(0)
	v_cmp_ne_u16_e32 vcc_lo, 0, v4
	s_cbranch_vccnz .LBB3_135
; %bb.136:
	s_getpc_b64 s[0:1]
	s_add_u32 s0, s0, .str.1@rel32@lo+4
	s_addc_u32 s1, s1, .str.1@rel32@hi+12
	s_sub_u32 s0, s4, s0
	s_subb_u32 s1, s5, s1
	s_add_u32 s4, s0, 1
	s_addc_u32 s5, s1, 0
.LBB3_137:
	s_and_b32 vcc_lo, exec_lo, s6
	s_cbranch_vccz .LBB3_215
; %bb.138:
	s_waitcnt vmcnt(0)
	v_dual_mov_b32 v7, 0 :: v_dual_and_b32 v34, 2, v1
	v_dual_mov_b32 v4, v2 :: v_dual_and_b32 v3, -3, v1
	v_dual_mov_b32 v8, 2 :: v_dual_mov_b32 v9, 1
	s_getpc_b64 s[6:7]
	s_add_u32 s6, s6, .str.1@rel32@lo+4
	s_addc_u32 s7, s7, .str.1@rel32@hi+12
	s_branch .LBB3_140
.LBB3_139:                              ;   in Loop: Header=BB3_140 Depth=1
	s_or_b32 exec_lo, exec_lo, s1
	s_sub_u32 s4, s4, s10
	s_subb_u32 s5, s5, s11
	s_add_u32 s6, s6, s10
	s_addc_u32 s7, s7, s11
	s_cmp_lg_u64 s[4:5], 0
	s_cbranch_scc0 .LBB3_216
.LBB3_140:                              ; =>This Loop Header: Depth=1
                                        ;     Child Loop BB3_149 Depth 2
                                        ;     Child Loop BB3_145 Depth 2
	;; [unrolled: 1-line block ×11, first 2 shown]
	v_cmp_lt_u64_e64 s0, s[4:5], 56
	v_cmp_gt_u64_e64 s1, s[4:5], 7
                                        ; implicit-def: $vgpr12_vgpr13
                                        ; implicit-def: $sgpr16
	s_delay_alu instid0(VALU_DEP_2) | instskip(SKIP_2) | instid1(VALU_DEP_1)
	s_and_b32 s0, s0, exec_lo
	s_cselect_b32 s11, s5, 0
	s_cselect_b32 s10, s4, 56
	s_and_b32 vcc_lo, exec_lo, s1
	s_mov_b32 s0, -1
	s_cbranch_vccz .LBB3_147
; %bb.141:                              ;   in Loop: Header=BB3_140 Depth=1
	s_and_not1_b32 vcc_lo, exec_lo, s0
	s_mov_b64 s[0:1], s[6:7]
	s_cbranch_vccz .LBB3_151
.LBB3_142:                              ;   in Loop: Header=BB3_140 Depth=1
	s_cmp_gt_u32 s16, 7
	s_cbranch_scc1 .LBB3_152
.LBB3_143:                              ;   in Loop: Header=BB3_140 Depth=1
	v_mov_b32_e32 v14, 0
	v_mov_b32_e32 v15, 0
	s_cmp_eq_u32 s16, 0
	s_cbranch_scc1 .LBB3_146
; %bb.144:                              ;   in Loop: Header=BB3_140 Depth=1
	s_mov_b64 s[12:13], 0
	s_mov_b64 s[14:15], 0
.LBB3_145:                              ;   Parent Loop BB3_140 Depth=1
                                        ; =>  This Inner Loop Header: Depth=2
	s_delay_alu instid0(SALU_CYCLE_1)
	s_add_u32 s18, s0, s14
	s_addc_u32 s19, s1, s15
	s_add_u32 s14, s14, 1
	global_load_u8 v5, v7, s[18:19]
	s_addc_u32 s15, s15, 0
	s_waitcnt vmcnt(0)
	v_and_b32_e32 v6, 0xffff, v5
	s_delay_alu instid0(VALU_DEP_1) | instskip(SKIP_3) | instid1(VALU_DEP_1)
	v_lshlrev_b64 v[5:6], s12, v[6:7]
	s_add_u32 s12, s12, 8
	s_addc_u32 s13, s13, 0
	s_cmp_lg_u32 s16, s14
	v_or_b32_e32 v14, v5, v14
	s_delay_alu instid0(VALU_DEP_2)
	v_or_b32_e32 v15, v6, v15
	s_cbranch_scc1 .LBB3_145
.LBB3_146:                              ;   in Loop: Header=BB3_140 Depth=1
	s_mov_b32 s17, 0
	s_cbranch_execz .LBB3_153
	s_branch .LBB3_154
.LBB3_147:                              ;   in Loop: Header=BB3_140 Depth=1
	v_mov_b32_e32 v12, 0
	v_mov_b32_e32 v13, 0
	s_cmp_eq_u64 s[4:5], 0
	s_mov_b64 s[0:1], 0
	s_cbranch_scc1 .LBB3_150
; %bb.148:                              ;   in Loop: Header=BB3_140 Depth=1
	v_mov_b32_e32 v12, 0
	v_mov_b32_e32 v13, 0
	s_lshl_b64 s[12:13], s[10:11], 3
	s_mov_b64 s[14:15], s[6:7]
.LBB3_149:                              ;   Parent Loop BB3_140 Depth=1
                                        ; =>  This Inner Loop Header: Depth=2
	global_load_u8 v5, v7, s[14:15]
	s_waitcnt vmcnt(0)
	v_and_b32_e32 v6, 0xffff, v5
	s_delay_alu instid0(VALU_DEP_1)
	v_lshlrev_b64 v[5:6], s0, v[6:7]
	s_add_u32 s0, s0, 8
	s_addc_u32 s1, s1, 0
	s_add_u32 s14, s14, 1
	s_addc_u32 s15, s15, 0
	s_cmp_lg_u32 s12, s0
	v_or_b32_e32 v12, v5, v12
	v_or_b32_e32 v13, v6, v13
	s_cbranch_scc1 .LBB3_149
.LBB3_150:                              ;   in Loop: Header=BB3_140 Depth=1
	s_mov_b32 s16, 0
	s_mov_b64 s[0:1], s[6:7]
	s_cbranch_execnz .LBB3_142
.LBB3_151:                              ;   in Loop: Header=BB3_140 Depth=1
	global_load_b64 v[12:13], v7, s[6:7]
	s_add_i32 s16, s10, -8
	s_add_u32 s0, s6, 8
	s_addc_u32 s1, s7, 0
	s_cmp_gt_u32 s16, 7
	s_cbranch_scc0 .LBB3_143
.LBB3_152:                              ;   in Loop: Header=BB3_140 Depth=1
                                        ; implicit-def: $vgpr14_vgpr15
                                        ; implicit-def: $sgpr17
.LBB3_153:                              ;   in Loop: Header=BB3_140 Depth=1
	global_load_b64 v[14:15], v7, s[0:1]
	s_add_i32 s17, s16, -8
	s_add_u32 s0, s0, 8
	s_addc_u32 s1, s1, 0
.LBB3_154:                              ;   in Loop: Header=BB3_140 Depth=1
	s_cmp_gt_u32 s17, 7
	s_cbranch_scc1 .LBB3_159
; %bb.155:                              ;   in Loop: Header=BB3_140 Depth=1
	v_mov_b32_e32 v16, 0
	v_mov_b32_e32 v17, 0
	s_cmp_eq_u32 s17, 0
	s_cbranch_scc1 .LBB3_158
; %bb.156:                              ;   in Loop: Header=BB3_140 Depth=1
	s_mov_b64 s[12:13], 0
	s_mov_b64 s[14:15], 0
.LBB3_157:                              ;   Parent Loop BB3_140 Depth=1
                                        ; =>  This Inner Loop Header: Depth=2
	s_delay_alu instid0(SALU_CYCLE_1)
	s_add_u32 s18, s0, s14
	s_addc_u32 s19, s1, s15
	s_add_u32 s14, s14, 1
	global_load_u8 v5, v7, s[18:19]
	s_addc_u32 s15, s15, 0
	s_waitcnt vmcnt(0)
	v_and_b32_e32 v6, 0xffff, v5
	s_delay_alu instid0(VALU_DEP_1) | instskip(SKIP_3) | instid1(VALU_DEP_1)
	v_lshlrev_b64 v[5:6], s12, v[6:7]
	s_add_u32 s12, s12, 8
	s_addc_u32 s13, s13, 0
	s_cmp_lg_u32 s17, s14
	v_or_b32_e32 v16, v5, v16
	s_delay_alu instid0(VALU_DEP_2)
	v_or_b32_e32 v17, v6, v17
	s_cbranch_scc1 .LBB3_157
.LBB3_158:                              ;   in Loop: Header=BB3_140 Depth=1
	s_mov_b32 s16, 0
	s_cbranch_execz .LBB3_160
	s_branch .LBB3_161
.LBB3_159:                              ;   in Loop: Header=BB3_140 Depth=1
                                        ; implicit-def: $sgpr16
.LBB3_160:                              ;   in Loop: Header=BB3_140 Depth=1
	global_load_b64 v[16:17], v7, s[0:1]
	s_add_i32 s16, s17, -8
	s_add_u32 s0, s0, 8
	s_addc_u32 s1, s1, 0
.LBB3_161:                              ;   in Loop: Header=BB3_140 Depth=1
	s_cmp_gt_u32 s16, 7
	s_cbranch_scc1 .LBB3_166
; %bb.162:                              ;   in Loop: Header=BB3_140 Depth=1
	v_mov_b32_e32 v18, 0
	v_mov_b32_e32 v19, 0
	s_cmp_eq_u32 s16, 0
	s_cbranch_scc1 .LBB3_165
; %bb.163:                              ;   in Loop: Header=BB3_140 Depth=1
	s_mov_b64 s[12:13], 0
	s_mov_b64 s[14:15], 0
.LBB3_164:                              ;   Parent Loop BB3_140 Depth=1
                                        ; =>  This Inner Loop Header: Depth=2
	s_delay_alu instid0(SALU_CYCLE_1)
	s_add_u32 s18, s0, s14
	s_addc_u32 s19, s1, s15
	s_add_u32 s14, s14, 1
	global_load_u8 v5, v7, s[18:19]
	s_addc_u32 s15, s15, 0
	s_waitcnt vmcnt(0)
	v_and_b32_e32 v6, 0xffff, v5
	s_delay_alu instid0(VALU_DEP_1) | instskip(SKIP_3) | instid1(VALU_DEP_1)
	v_lshlrev_b64 v[5:6], s12, v[6:7]
	s_add_u32 s12, s12, 8
	s_addc_u32 s13, s13, 0
	s_cmp_lg_u32 s16, s14
	v_or_b32_e32 v18, v5, v18
	s_delay_alu instid0(VALU_DEP_2)
	v_or_b32_e32 v19, v6, v19
	s_cbranch_scc1 .LBB3_164
.LBB3_165:                              ;   in Loop: Header=BB3_140 Depth=1
	s_mov_b32 s17, 0
	s_cbranch_execz .LBB3_167
	s_branch .LBB3_168
.LBB3_166:                              ;   in Loop: Header=BB3_140 Depth=1
                                        ; implicit-def: $vgpr18_vgpr19
                                        ; implicit-def: $sgpr17
.LBB3_167:                              ;   in Loop: Header=BB3_140 Depth=1
	global_load_b64 v[18:19], v7, s[0:1]
	s_add_i32 s17, s16, -8
	s_add_u32 s0, s0, 8
	s_addc_u32 s1, s1, 0
.LBB3_168:                              ;   in Loop: Header=BB3_140 Depth=1
	s_cmp_gt_u32 s17, 7
	s_cbranch_scc1 .LBB3_173
; %bb.169:                              ;   in Loop: Header=BB3_140 Depth=1
	v_mov_b32_e32 v20, 0
	v_mov_b32_e32 v21, 0
	s_cmp_eq_u32 s17, 0
	s_cbranch_scc1 .LBB3_172
; %bb.170:                              ;   in Loop: Header=BB3_140 Depth=1
	s_mov_b64 s[12:13], 0
	s_mov_b64 s[14:15], 0
.LBB3_171:                              ;   Parent Loop BB3_140 Depth=1
                                        ; =>  This Inner Loop Header: Depth=2
	s_delay_alu instid0(SALU_CYCLE_1)
	s_add_u32 s18, s0, s14
	s_addc_u32 s19, s1, s15
	s_add_u32 s14, s14, 1
	global_load_u8 v5, v7, s[18:19]
	s_addc_u32 s15, s15, 0
	s_waitcnt vmcnt(0)
	v_and_b32_e32 v6, 0xffff, v5
	s_delay_alu instid0(VALU_DEP_1) | instskip(SKIP_3) | instid1(VALU_DEP_1)
	v_lshlrev_b64 v[5:6], s12, v[6:7]
	s_add_u32 s12, s12, 8
	s_addc_u32 s13, s13, 0
	s_cmp_lg_u32 s17, s14
	v_or_b32_e32 v20, v5, v20
	s_delay_alu instid0(VALU_DEP_2)
	v_or_b32_e32 v21, v6, v21
	s_cbranch_scc1 .LBB3_171
.LBB3_172:                              ;   in Loop: Header=BB3_140 Depth=1
	s_mov_b32 s16, 0
	s_cbranch_execz .LBB3_174
	s_branch .LBB3_175
.LBB3_173:                              ;   in Loop: Header=BB3_140 Depth=1
                                        ; implicit-def: $sgpr16
.LBB3_174:                              ;   in Loop: Header=BB3_140 Depth=1
	global_load_b64 v[20:21], v7, s[0:1]
	s_add_i32 s16, s17, -8
	s_add_u32 s0, s0, 8
	s_addc_u32 s1, s1, 0
.LBB3_175:                              ;   in Loop: Header=BB3_140 Depth=1
	s_cmp_gt_u32 s16, 7
	s_cbranch_scc1 .LBB3_180
; %bb.176:                              ;   in Loop: Header=BB3_140 Depth=1
	v_mov_b32_e32 v22, 0
	v_mov_b32_e32 v23, 0
	s_cmp_eq_u32 s16, 0
	s_cbranch_scc1 .LBB3_179
; %bb.177:                              ;   in Loop: Header=BB3_140 Depth=1
	s_mov_b64 s[12:13], 0
	s_mov_b64 s[14:15], 0
.LBB3_178:                              ;   Parent Loop BB3_140 Depth=1
                                        ; =>  This Inner Loop Header: Depth=2
	s_delay_alu instid0(SALU_CYCLE_1)
	s_add_u32 s18, s0, s14
	s_addc_u32 s19, s1, s15
	s_add_u32 s14, s14, 1
	global_load_u8 v5, v7, s[18:19]
	s_addc_u32 s15, s15, 0
	s_waitcnt vmcnt(0)
	v_and_b32_e32 v6, 0xffff, v5
	s_delay_alu instid0(VALU_DEP_1) | instskip(SKIP_3) | instid1(VALU_DEP_1)
	v_lshlrev_b64 v[5:6], s12, v[6:7]
	s_add_u32 s12, s12, 8
	s_addc_u32 s13, s13, 0
	s_cmp_lg_u32 s16, s14
	v_or_b32_e32 v22, v5, v22
	s_delay_alu instid0(VALU_DEP_2)
	v_or_b32_e32 v23, v6, v23
	s_cbranch_scc1 .LBB3_178
.LBB3_179:                              ;   in Loop: Header=BB3_140 Depth=1
	s_mov_b32 s17, 0
	s_cbranch_execz .LBB3_181
	s_branch .LBB3_182
.LBB3_180:                              ;   in Loop: Header=BB3_140 Depth=1
                                        ; implicit-def: $vgpr22_vgpr23
                                        ; implicit-def: $sgpr17
.LBB3_181:                              ;   in Loop: Header=BB3_140 Depth=1
	global_load_b64 v[22:23], v7, s[0:1]
	s_add_i32 s17, s16, -8
	s_add_u32 s0, s0, 8
	s_addc_u32 s1, s1, 0
.LBB3_182:                              ;   in Loop: Header=BB3_140 Depth=1
	s_cmp_gt_u32 s17, 7
	s_cbranch_scc1 .LBB3_187
; %bb.183:                              ;   in Loop: Header=BB3_140 Depth=1
	v_mov_b32_e32 v24, 0
	v_mov_b32_e32 v25, 0
	s_cmp_eq_u32 s17, 0
	s_cbranch_scc1 .LBB3_186
; %bb.184:                              ;   in Loop: Header=BB3_140 Depth=1
	s_mov_b64 s[12:13], 0
	s_mov_b64 s[14:15], s[0:1]
.LBB3_185:                              ;   Parent Loop BB3_140 Depth=1
                                        ; =>  This Inner Loop Header: Depth=2
	global_load_u8 v5, v7, s[14:15]
	s_add_i32 s17, s17, -1
	s_waitcnt vmcnt(0)
	v_and_b32_e32 v6, 0xffff, v5
	s_delay_alu instid0(VALU_DEP_1)
	v_lshlrev_b64 v[5:6], s12, v[6:7]
	s_add_u32 s12, s12, 8
	s_addc_u32 s13, s13, 0
	s_add_u32 s14, s14, 1
	s_addc_u32 s15, s15, 0
	s_cmp_lg_u32 s17, 0
	v_or_b32_e32 v24, v5, v24
	v_or_b32_e32 v25, v6, v25
	s_cbranch_scc1 .LBB3_185
.LBB3_186:                              ;   in Loop: Header=BB3_140 Depth=1
	s_cbranch_execz .LBB3_188
	s_branch .LBB3_189
.LBB3_187:                              ;   in Loop: Header=BB3_140 Depth=1
.LBB3_188:                              ;   in Loop: Header=BB3_140 Depth=1
	global_load_b64 v[24:25], v7, s[0:1]
.LBB3_189:                              ;   in Loop: Header=BB3_140 Depth=1
	v_readfirstlane_b32 s0, v33
	s_waitcnt vmcnt(0)
	v_mov_b32_e32 v5, 0
	v_mov_b32_e32 v6, 0
	s_delay_alu instid0(VALU_DEP_3) | instskip(NEXT) | instid1(VALU_DEP_1)
	v_cmp_eq_u32_e64 s0, s0, v33
	s_and_saveexec_b32 s1, s0
	s_cbranch_execz .LBB3_195
; %bb.190:                              ;   in Loop: Header=BB3_140 Depth=1
	global_load_b64 v[28:29], v7, s[2:3] offset:24 glc
	s_waitcnt vmcnt(0)
	buffer_gl1_inv
	buffer_gl0_inv
	s_clause 0x1
	global_load_b64 v[5:6], v7, s[2:3] offset:40
	global_load_b64 v[10:11], v7, s[2:3]
	s_mov_b32 s12, exec_lo
	s_waitcnt vmcnt(1)
	v_and_b32_e32 v6, v6, v29
	v_and_b32_e32 v5, v5, v28
	s_delay_alu instid0(VALU_DEP_2) | instskip(NEXT) | instid1(VALU_DEP_2)
	v_mul_lo_u32 v6, v6, 24
	v_mul_hi_u32 v26, v5, 24
	v_mul_lo_u32 v5, v5, 24
	s_delay_alu instid0(VALU_DEP_2) | instskip(SKIP_1) | instid1(VALU_DEP_2)
	v_add_nc_u32_e32 v6, v26, v6
	s_waitcnt vmcnt(0)
	v_add_co_u32 v5, vcc_lo, v10, v5
	s_delay_alu instid0(VALU_DEP_2)
	v_add_co_ci_u32_e32 v6, vcc_lo, v11, v6, vcc_lo
	global_load_b64 v[26:27], v[5:6], off glc
	s_waitcnt vmcnt(0)
	global_atomic_cmpswap_b64 v[5:6], v7, v[26:29], s[2:3] offset:24 glc
	s_waitcnt vmcnt(0)
	buffer_gl1_inv
	buffer_gl0_inv
	v_cmpx_ne_u64_e64 v[5:6], v[28:29]
	s_cbranch_execz .LBB3_194
; %bb.191:                              ;   in Loop: Header=BB3_140 Depth=1
	s_mov_b32 s13, 0
	.p2align	6
.LBB3_192:                              ;   Parent Loop BB3_140 Depth=1
                                        ; =>  This Inner Loop Header: Depth=2
	s_sleep 1
	s_clause 0x1
	global_load_b64 v[10:11], v7, s[2:3] offset:40
	global_load_b64 v[26:27], v7, s[2:3]
	v_dual_mov_b32 v29, v6 :: v_dual_mov_b32 v28, v5
	s_waitcnt vmcnt(1)
	s_delay_alu instid0(VALU_DEP_1) | instskip(SKIP_1) | instid1(VALU_DEP_1)
	v_and_b32_e32 v10, v10, v28
	s_waitcnt vmcnt(0)
	v_mad_u64_u32 v[5:6], null, v10, 24, v[26:27]
	v_and_b32_e32 v26, v11, v29
	s_delay_alu instid0(VALU_DEP_1) | instskip(NEXT) | instid1(VALU_DEP_1)
	v_mad_u64_u32 v[10:11], null, v26, 24, v[6:7]
	v_mov_b32_e32 v6, v10
	global_load_b64 v[26:27], v[5:6], off glc
	s_waitcnt vmcnt(0)
	global_atomic_cmpswap_b64 v[5:6], v7, v[26:29], s[2:3] offset:24 glc
	s_waitcnt vmcnt(0)
	buffer_gl1_inv
	buffer_gl0_inv
	v_cmp_eq_u64_e32 vcc_lo, v[5:6], v[28:29]
	s_or_b32 s13, vcc_lo, s13
	s_delay_alu instid0(SALU_CYCLE_1)
	s_and_not1_b32 exec_lo, exec_lo, s13
	s_cbranch_execnz .LBB3_192
; %bb.193:                              ;   in Loop: Header=BB3_140 Depth=1
	s_or_b32 exec_lo, exec_lo, s13
.LBB3_194:                              ;   in Loop: Header=BB3_140 Depth=1
	s_delay_alu instid0(SALU_CYCLE_1)
	s_or_b32 exec_lo, exec_lo, s12
.LBB3_195:                              ;   in Loop: Header=BB3_140 Depth=1
	s_delay_alu instid0(SALU_CYCLE_1)
	s_or_b32 exec_lo, exec_lo, s1
	s_clause 0x1
	global_load_b64 v[10:11], v7, s[2:3] offset:40
	global_load_b128 v[26:29], v7, s[2:3]
	v_readfirstlane_b32 s12, v5
	v_readfirstlane_b32 s13, v6
	s_mov_b32 s1, exec_lo
	s_waitcnt vmcnt(1)
	v_readfirstlane_b32 s14, v10
	v_readfirstlane_b32 s15, v11
	s_delay_alu instid0(VALU_DEP_1) | instskip(NEXT) | instid1(SALU_CYCLE_1)
	s_and_b64 s[14:15], s[12:13], s[14:15]
	s_mul_i32 s16, s15, 24
	s_mul_hi_u32 s17, s14, 24
	s_mul_i32 s18, s14, 24
	s_add_i32 s17, s17, s16
	s_waitcnt vmcnt(0)
	v_add_co_u32 v30, vcc_lo, v26, s18
	v_add_co_ci_u32_e32 v31, vcc_lo, s17, v27, vcc_lo
	s_and_saveexec_b32 s16, s0
	s_cbranch_execz .LBB3_197
; %bb.196:                              ;   in Loop: Header=BB3_140 Depth=1
	v_mov_b32_e32 v6, s1
	global_store_b128 v[30:31], v[6:9], off offset:8
.LBB3_197:                              ;   in Loop: Header=BB3_140 Depth=1
	s_or_b32 exec_lo, exec_lo, s16
	s_lshl_b64 s[14:15], s[14:15], 12
	v_cmp_gt_u64_e64 vcc_lo, s[4:5], 56
	v_or_b32_e32 v6, v3, v34
	v_add_co_u32 v28, s1, v28, s14
	s_delay_alu instid0(VALU_DEP_1)
	v_add_co_ci_u32_e64 v29, s1, s15, v29, s1
	s_lshl_b32 s1, s10, 2
	v_or_b32_e32 v5, 0, v4
	v_cndmask_b32_e32 v3, v6, v3, vcc_lo
	s_add_i32 s1, s1, 28
	v_readfirstlane_b32 s14, v28
	s_and_b32 s1, s1, 0x1e0
	v_cndmask_b32_e32 v11, v5, v4, vcc_lo
	v_readfirstlane_b32 s15, v29
	v_and_or_b32 v10, 0xffffff1f, v3, s1
	s_clause 0x3
	global_store_b128 v32, v[10:13], s[14:15]
	global_store_b128 v32, v[14:17], s[14:15] offset:16
	global_store_b128 v32, v[18:21], s[14:15] offset:32
	;; [unrolled: 1-line block ×3, first 2 shown]
	s_and_saveexec_b32 s1, s0
	s_cbranch_execz .LBB3_205
; %bb.198:                              ;   in Loop: Header=BB3_140 Depth=1
	s_clause 0x1
	global_load_b64 v[14:15], v7, s[2:3] offset:32 glc
	global_load_b64 v[3:4], v7, s[2:3] offset:40
	v_dual_mov_b32 v12, s12 :: v_dual_mov_b32 v13, s13
	s_waitcnt vmcnt(0)
	v_readfirstlane_b32 s14, v3
	v_readfirstlane_b32 s15, v4
	s_delay_alu instid0(VALU_DEP_1) | instskip(NEXT) | instid1(SALU_CYCLE_1)
	s_and_b64 s[14:15], s[14:15], s[12:13]
	s_mul_i32 s15, s15, 24
	s_mul_hi_u32 s16, s14, 24
	s_mul_i32 s14, s14, 24
	s_add_i32 s16, s16, s15
	v_add_co_u32 v10, vcc_lo, v26, s14
	v_add_co_ci_u32_e32 v11, vcc_lo, s16, v27, vcc_lo
	s_mov_b32 s14, exec_lo
	global_store_b64 v[10:11], v[14:15], off
	s_waitcnt_vscnt null, 0x0
	global_atomic_cmpswap_b64 v[5:6], v7, v[12:15], s[2:3] offset:32 glc
	s_waitcnt vmcnt(0)
	v_cmpx_ne_u64_e64 v[5:6], v[14:15]
	s_cbranch_execz .LBB3_201
; %bb.199:                              ;   in Loop: Header=BB3_140 Depth=1
	s_mov_b32 s15, 0
.LBB3_200:                              ;   Parent Loop BB3_140 Depth=1
                                        ; =>  This Inner Loop Header: Depth=2
	v_dual_mov_b32 v3, s12 :: v_dual_mov_b32 v4, s13
	s_sleep 1
	global_store_b64 v[10:11], v[5:6], off
	s_waitcnt_vscnt null, 0x0
	global_atomic_cmpswap_b64 v[3:4], v7, v[3:6], s[2:3] offset:32 glc
	s_waitcnt vmcnt(0)
	v_cmp_eq_u64_e32 vcc_lo, v[3:4], v[5:6]
	v_dual_mov_b32 v6, v4 :: v_dual_mov_b32 v5, v3
	s_or_b32 s15, vcc_lo, s15
	s_delay_alu instid0(SALU_CYCLE_1)
	s_and_not1_b32 exec_lo, exec_lo, s15
	s_cbranch_execnz .LBB3_200
.LBB3_201:                              ;   in Loop: Header=BB3_140 Depth=1
	s_or_b32 exec_lo, exec_lo, s14
	global_load_b64 v[3:4], v7, s[2:3] offset:16
	s_mov_b32 s15, exec_lo
	s_mov_b32 s14, exec_lo
	v_mbcnt_lo_u32_b32 v5, s15, 0
	s_delay_alu instid0(VALU_DEP_1)
	v_cmpx_eq_u32_e32 0, v5
	s_cbranch_execz .LBB3_203
; %bb.202:                              ;   in Loop: Header=BB3_140 Depth=1
	s_bcnt1_i32_b32 s15, s15
	s_delay_alu instid0(SALU_CYCLE_1)
	v_mov_b32_e32 v6, s15
	s_waitcnt vmcnt(0)
	global_atomic_add_u64 v[3:4], v[6:7], off offset:8
.LBB3_203:                              ;   in Loop: Header=BB3_140 Depth=1
	s_or_b32 exec_lo, exec_lo, s14
	s_waitcnt vmcnt(0)
	global_load_b64 v[10:11], v[3:4], off offset:16
	s_waitcnt vmcnt(0)
	v_cmp_eq_u64_e32 vcc_lo, 0, v[10:11]
	s_cbranch_vccnz .LBB3_205
; %bb.204:                              ;   in Loop: Header=BB3_140 Depth=1
	global_load_b32 v6, v[3:4], off offset:24
	s_waitcnt vmcnt(0)
	v_and_b32_e32 v3, 0xffffff, v6
	s_waitcnt_vscnt null, 0x0
	global_store_b64 v[10:11], v[6:7], off
	v_readfirstlane_b32 m0, v3
	s_sendmsg sendmsg(MSG_INTERRUPT)
.LBB3_205:                              ;   in Loop: Header=BB3_140 Depth=1
	s_or_b32 exec_lo, exec_lo, s1
	v_add_co_u32 v3, vcc_lo, v28, v32
	v_add_co_ci_u32_e32 v4, vcc_lo, 0, v29, vcc_lo
	s_branch .LBB3_209
	.p2align	6
.LBB3_206:                              ;   in Loop: Header=BB3_209 Depth=2
	s_or_b32 exec_lo, exec_lo, s1
	s_delay_alu instid0(VALU_DEP_1) | instskip(NEXT) | instid1(VALU_DEP_1)
	v_readfirstlane_b32 s1, v5
	s_cmp_eq_u32 s1, 0
	s_cbranch_scc1 .LBB3_208
; %bb.207:                              ;   in Loop: Header=BB3_209 Depth=2
	s_sleep 1
	s_cbranch_execnz .LBB3_209
	s_branch .LBB3_211
	.p2align	6
.LBB3_208:                              ;   in Loop: Header=BB3_140 Depth=1
	s_branch .LBB3_211
.LBB3_209:                              ;   Parent Loop BB3_140 Depth=1
                                        ; =>  This Inner Loop Header: Depth=2
	v_mov_b32_e32 v5, 1
	s_and_saveexec_b32 s1, s0
	s_cbranch_execz .LBB3_206
; %bb.210:                              ;   in Loop: Header=BB3_209 Depth=2
	global_load_b32 v5, v[30:31], off offset:20 glc
	s_waitcnt vmcnt(0)
	buffer_gl1_inv
	buffer_gl0_inv
	v_and_b32_e32 v5, 1, v5
	s_branch .LBB3_206
.LBB3_211:                              ;   in Loop: Header=BB3_140 Depth=1
	global_load_b128 v[3:6], v[3:4], off
	s_and_saveexec_b32 s1, s0
	s_cbranch_execz .LBB3_139
; %bb.212:                              ;   in Loop: Header=BB3_140 Depth=1
	s_clause 0x2
	global_load_b64 v[5:6], v7, s[2:3] offset:40
	global_load_b64 v[14:15], v7, s[2:3] offset:24 glc
	global_load_b64 v[12:13], v7, s[2:3]
	s_waitcnt vmcnt(2)
	v_add_co_u32 v16, vcc_lo, v5, 1
	v_add_co_ci_u32_e32 v17, vcc_lo, 0, v6, vcc_lo
	s_delay_alu instid0(VALU_DEP_2) | instskip(NEXT) | instid1(VALU_DEP_2)
	v_add_co_u32 v10, vcc_lo, v16, s12
	v_add_co_ci_u32_e32 v11, vcc_lo, s13, v17, vcc_lo
	s_delay_alu instid0(VALU_DEP_1) | instskip(SKIP_1) | instid1(VALU_DEP_1)
	v_cmp_eq_u64_e32 vcc_lo, 0, v[10:11]
	v_dual_cndmask_b32 v11, v11, v17 :: v_dual_cndmask_b32 v10, v10, v16
	v_and_b32_e32 v6, v11, v6
	s_delay_alu instid0(VALU_DEP_2) | instskip(NEXT) | instid1(VALU_DEP_2)
	v_and_b32_e32 v5, v10, v5
	v_mul_lo_u32 v6, v6, 24
	s_delay_alu instid0(VALU_DEP_2) | instskip(SKIP_1) | instid1(VALU_DEP_2)
	v_mul_hi_u32 v16, v5, 24
	v_mul_lo_u32 v5, v5, 24
	v_add_nc_u32_e32 v6, v16, v6
	s_waitcnt vmcnt(0)
	s_delay_alu instid0(VALU_DEP_2) | instskip(SKIP_1) | instid1(VALU_DEP_3)
	v_add_co_u32 v5, vcc_lo, v12, v5
	v_mov_b32_e32 v12, v14
	v_add_co_ci_u32_e32 v6, vcc_lo, v13, v6, vcc_lo
	v_mov_b32_e32 v13, v15
	global_store_b64 v[5:6], v[14:15], off
	s_waitcnt_vscnt null, 0x0
	global_atomic_cmpswap_b64 v[12:13], v7, v[10:13], s[2:3] offset:24 glc
	s_waitcnt vmcnt(0)
	v_cmp_ne_u64_e32 vcc_lo, v[12:13], v[14:15]
	s_and_b32 exec_lo, exec_lo, vcc_lo
	s_cbranch_execz .LBB3_139
; %bb.213:                              ;   in Loop: Header=BB3_140 Depth=1
	s_mov_b32 s0, 0
.LBB3_214:                              ;   Parent Loop BB3_140 Depth=1
                                        ; =>  This Inner Loop Header: Depth=2
	s_sleep 1
	global_store_b64 v[5:6], v[12:13], off
	s_waitcnt_vscnt null, 0x0
	global_atomic_cmpswap_b64 v[14:15], v7, v[10:13], s[2:3] offset:24 glc
	s_waitcnt vmcnt(0)
	v_cmp_eq_u64_e32 vcc_lo, v[14:15], v[12:13]
	v_dual_mov_b32 v12, v14 :: v_dual_mov_b32 v13, v15
	s_or_b32 s0, vcc_lo, s0
	s_delay_alu instid0(SALU_CYCLE_1)
	s_and_not1_b32 exec_lo, exec_lo, s0
	s_cbranch_execnz .LBB3_214
	s_branch .LBB3_139
.LBB3_215:
                                        ; implicit-def: $vgpr3_vgpr4
	s_cbranch_execnz .LBB3_217
	s_branch .LBB3_244
.LBB3_216:
	s_branch .LBB3_244
.LBB3_217:
	v_readfirstlane_b32 s0, v33
	v_mov_b32_e32 v9, 0
	v_mov_b32_e32 v10, 0
	s_delay_alu instid0(VALU_DEP_3) | instskip(NEXT) | instid1(VALU_DEP_1)
	v_cmp_eq_u32_e64 s0, s0, v33
	s_and_saveexec_b32 s1, s0
	s_cbranch_execz .LBB3_223
; %bb.218:
	s_waitcnt vmcnt(0)
	v_mov_b32_e32 v3, 0
	s_mov_b32 s4, exec_lo
	global_load_b64 v[6:7], v3, s[2:3] offset:24 glc
	s_waitcnt vmcnt(0)
	buffer_gl1_inv
	buffer_gl0_inv
	s_clause 0x1
	global_load_b64 v[4:5], v3, s[2:3] offset:40
	global_load_b64 v[8:9], v3, s[2:3]
	s_waitcnt vmcnt(1)
	v_and_b32_e32 v4, v4, v6
	v_and_b32_e32 v5, v5, v7
	s_delay_alu instid0(VALU_DEP_2) | instskip(NEXT) | instid1(VALU_DEP_2)
	v_mul_hi_u32 v10, v4, 24
	v_mul_lo_u32 v5, v5, 24
	v_mul_lo_u32 v4, v4, 24
	s_delay_alu instid0(VALU_DEP_2) | instskip(SKIP_1) | instid1(VALU_DEP_2)
	v_add_nc_u32_e32 v5, v10, v5
	s_waitcnt vmcnt(0)
	v_add_co_u32 v4, vcc_lo, v8, v4
	s_delay_alu instid0(VALU_DEP_2)
	v_add_co_ci_u32_e32 v5, vcc_lo, v9, v5, vcc_lo
	global_load_b64 v[4:5], v[4:5], off glc
	s_waitcnt vmcnt(0)
	global_atomic_cmpswap_b64 v[9:10], v3, v[4:7], s[2:3] offset:24 glc
	s_waitcnt vmcnt(0)
	buffer_gl1_inv
	buffer_gl0_inv
	v_cmpx_ne_u64_e64 v[9:10], v[6:7]
	s_cbranch_execz .LBB3_222
; %bb.219:
	s_mov_b32 s5, 0
	.p2align	6
.LBB3_220:                              ; =>This Inner Loop Header: Depth=1
	s_sleep 1
	s_clause 0x1
	global_load_b64 v[4:5], v3, s[2:3] offset:40
	global_load_b64 v[11:12], v3, s[2:3]
	v_dual_mov_b32 v6, v9 :: v_dual_mov_b32 v7, v10
	s_waitcnt vmcnt(1)
	s_delay_alu instid0(VALU_DEP_1) | instskip(NEXT) | instid1(VALU_DEP_2)
	v_and_b32_e32 v4, v4, v6
	v_and_b32_e32 v5, v5, v7
	s_waitcnt vmcnt(0)
	s_delay_alu instid0(VALU_DEP_2) | instskip(NEXT) | instid1(VALU_DEP_1)
	v_mad_u64_u32 v[8:9], null, v4, 24, v[11:12]
	v_mov_b32_e32 v4, v9
	s_delay_alu instid0(VALU_DEP_1)
	v_mad_u64_u32 v[9:10], null, v5, 24, v[4:5]
	global_load_b64 v[4:5], v[8:9], off glc
	s_waitcnt vmcnt(0)
	global_atomic_cmpswap_b64 v[9:10], v3, v[4:7], s[2:3] offset:24 glc
	s_waitcnt vmcnt(0)
	buffer_gl1_inv
	buffer_gl0_inv
	v_cmp_eq_u64_e32 vcc_lo, v[9:10], v[6:7]
	s_or_b32 s5, vcc_lo, s5
	s_delay_alu instid0(SALU_CYCLE_1)
	s_and_not1_b32 exec_lo, exec_lo, s5
	s_cbranch_execnz .LBB3_220
; %bb.221:
	s_or_b32 exec_lo, exec_lo, s5
.LBB3_222:
	s_delay_alu instid0(SALU_CYCLE_1)
	s_or_b32 exec_lo, exec_lo, s4
.LBB3_223:
	s_delay_alu instid0(SALU_CYCLE_1)
	s_or_b32 exec_lo, exec_lo, s1
	s_waitcnt vmcnt(0)
	v_mov_b32_e32 v3, 0
	v_readfirstlane_b32 s4, v9
	v_readfirstlane_b32 s5, v10
	s_mov_b32 s1, exec_lo
	s_clause 0x1
	global_load_b64 v[11:12], v3, s[2:3] offset:40
	global_load_b128 v[5:8], v3, s[2:3]
	s_waitcnt vmcnt(1)
	v_readfirstlane_b32 s6, v11
	v_readfirstlane_b32 s7, v12
	s_delay_alu instid0(VALU_DEP_1) | instskip(NEXT) | instid1(SALU_CYCLE_1)
	s_and_b64 s[6:7], s[4:5], s[6:7]
	s_mul_i32 s10, s7, 24
	s_mul_hi_u32 s11, s6, 24
	s_mul_i32 s12, s6, 24
	s_add_i32 s11, s11, s10
	s_waitcnt vmcnt(0)
	v_add_co_u32 v9, vcc_lo, v5, s12
	v_add_co_ci_u32_e32 v10, vcc_lo, s11, v6, vcc_lo
	s_and_saveexec_b32 s10, s0
	s_cbranch_execz .LBB3_225
; %bb.224:
	v_dual_mov_b32 v11, s1 :: v_dual_mov_b32 v12, v3
	v_dual_mov_b32 v13, 2 :: v_dual_mov_b32 v14, 1
	global_store_b128 v[9:10], v[11:14], off offset:8
.LBB3_225:
	s_or_b32 exec_lo, exec_lo, s10
	s_lshl_b64 s[6:7], s[6:7], 12
	s_mov_b32 s12, 0
	v_add_co_u32 v7, vcc_lo, v7, s6
	v_add_co_ci_u32_e32 v8, vcc_lo, s7, v8, vcc_lo
	s_mov_b32 s13, s12
	s_delay_alu instid0(VALU_DEP_2)
	v_readfirstlane_b32 s6, v7
	v_add_co_u32 v7, vcc_lo, v7, v32
	s_mov_b32 s14, s12
	s_mov_b32 s15, s12
	v_and_or_b32 v1, 0xffffff1f, v1, 32
	v_dual_mov_b32 v4, v3 :: v_dual_mov_b32 v11, s12
	v_readfirstlane_b32 s7, v8
	v_add_co_ci_u32_e32 v8, vcc_lo, 0, v8, vcc_lo
	v_dual_mov_b32 v12, s13 :: v_dual_mov_b32 v13, s14
	v_mov_b32_e32 v14, s15
	s_clause 0x3
	global_store_b128 v32, v[1:4], s[6:7]
	global_store_b128 v32, v[11:14], s[6:7] offset:16
	global_store_b128 v32, v[11:14], s[6:7] offset:32
	;; [unrolled: 1-line block ×3, first 2 shown]
	s_and_saveexec_b32 s1, s0
	s_cbranch_execz .LBB3_233
; %bb.226:
	v_dual_mov_b32 v11, 0 :: v_dual_mov_b32 v12, s4
	v_mov_b32_e32 v13, s5
	s_clause 0x1
	global_load_b64 v[14:15], v11, s[2:3] offset:32 glc
	global_load_b64 v[1:2], v11, s[2:3] offset:40
	s_waitcnt vmcnt(0)
	v_readfirstlane_b32 s6, v1
	v_readfirstlane_b32 s7, v2
	s_delay_alu instid0(VALU_DEP_1) | instskip(NEXT) | instid1(SALU_CYCLE_1)
	s_and_b64 s[6:7], s[6:7], s[4:5]
	s_mul_i32 s7, s7, 24
	s_mul_hi_u32 s10, s6, 24
	s_mul_i32 s6, s6, 24
	s_add_i32 s10, s10, s7
	v_add_co_u32 v5, vcc_lo, v5, s6
	v_add_co_ci_u32_e32 v6, vcc_lo, s10, v6, vcc_lo
	s_mov_b32 s6, exec_lo
	global_store_b64 v[5:6], v[14:15], off
	s_waitcnt_vscnt null, 0x0
	global_atomic_cmpswap_b64 v[3:4], v11, v[12:15], s[2:3] offset:32 glc
	s_waitcnt vmcnt(0)
	v_cmpx_ne_u64_e64 v[3:4], v[14:15]
	s_cbranch_execz .LBB3_229
; %bb.227:
	s_mov_b32 s7, 0
.LBB3_228:                              ; =>This Inner Loop Header: Depth=1
	v_dual_mov_b32 v1, s4 :: v_dual_mov_b32 v2, s5
	s_sleep 1
	global_store_b64 v[5:6], v[3:4], off
	s_waitcnt_vscnt null, 0x0
	global_atomic_cmpswap_b64 v[1:2], v11, v[1:4], s[2:3] offset:32 glc
	s_waitcnt vmcnt(0)
	v_cmp_eq_u64_e32 vcc_lo, v[1:2], v[3:4]
	v_dual_mov_b32 v4, v2 :: v_dual_mov_b32 v3, v1
	s_or_b32 s7, vcc_lo, s7
	s_delay_alu instid0(SALU_CYCLE_1)
	s_and_not1_b32 exec_lo, exec_lo, s7
	s_cbranch_execnz .LBB3_228
.LBB3_229:
	s_or_b32 exec_lo, exec_lo, s6
	v_mov_b32_e32 v4, 0
	s_mov_b32 s7, exec_lo
	s_mov_b32 s6, exec_lo
	v_mbcnt_lo_u32_b32 v3, s7, 0
	global_load_b64 v[1:2], v4, s[2:3] offset:16
	v_cmpx_eq_u32_e32 0, v3
	s_cbranch_execz .LBB3_231
; %bb.230:
	s_bcnt1_i32_b32 s7, s7
	s_delay_alu instid0(SALU_CYCLE_1)
	v_mov_b32_e32 v3, s7
	s_waitcnt vmcnt(0)
	global_atomic_add_u64 v[1:2], v[3:4], off offset:8
.LBB3_231:
	s_or_b32 exec_lo, exec_lo, s6
	s_waitcnt vmcnt(0)
	global_load_b64 v[3:4], v[1:2], off offset:16
	s_waitcnt vmcnt(0)
	v_cmp_eq_u64_e32 vcc_lo, 0, v[3:4]
	s_cbranch_vccnz .LBB3_233
; %bb.232:
	global_load_b32 v1, v[1:2], off offset:24
	s_waitcnt vmcnt(0)
	v_dual_mov_b32 v2, 0 :: v_dual_and_b32 v5, 0xffffff, v1
	s_waitcnt_vscnt null, 0x0
	global_store_b64 v[3:4], v[1:2], off
	v_readfirstlane_b32 m0, v5
	s_sendmsg sendmsg(MSG_INTERRUPT)
.LBB3_233:
	s_or_b32 exec_lo, exec_lo, s1
	s_branch .LBB3_237
	.p2align	6
.LBB3_234:                              ;   in Loop: Header=BB3_237 Depth=1
	s_or_b32 exec_lo, exec_lo, s1
	s_delay_alu instid0(VALU_DEP_1) | instskip(NEXT) | instid1(VALU_DEP_1)
	v_readfirstlane_b32 s1, v1
	s_cmp_eq_u32 s1, 0
	s_cbranch_scc1 .LBB3_236
; %bb.235:                              ;   in Loop: Header=BB3_237 Depth=1
	s_sleep 1
	s_cbranch_execnz .LBB3_237
	s_branch .LBB3_239
	.p2align	6
.LBB3_236:
	s_branch .LBB3_239
.LBB3_237:                              ; =>This Inner Loop Header: Depth=1
	v_mov_b32_e32 v1, 1
	s_and_saveexec_b32 s1, s0
	s_cbranch_execz .LBB3_234
; %bb.238:                              ;   in Loop: Header=BB3_237 Depth=1
	global_load_b32 v1, v[9:10], off offset:20 glc
	s_waitcnt vmcnt(0)
	buffer_gl1_inv
	buffer_gl0_inv
	v_and_b32_e32 v1, 1, v1
	s_branch .LBB3_234
.LBB3_239:
	global_load_b64 v[3:4], v[7:8], off
	s_and_saveexec_b32 s1, s0
	s_cbranch_execz .LBB3_243
; %bb.240:
	v_mov_b32_e32 v9, 0
	s_clause 0x2
	global_load_b64 v[1:2], v9, s[2:3] offset:40
	global_load_b64 v[10:11], v9, s[2:3] offset:24 glc
	global_load_b64 v[7:8], v9, s[2:3]
	s_waitcnt vmcnt(2)
	v_add_co_u32 v12, vcc_lo, v1, 1
	v_add_co_ci_u32_e32 v13, vcc_lo, 0, v2, vcc_lo
	s_delay_alu instid0(VALU_DEP_2) | instskip(NEXT) | instid1(VALU_DEP_2)
	v_add_co_u32 v5, vcc_lo, v12, s4
	v_add_co_ci_u32_e32 v6, vcc_lo, s5, v13, vcc_lo
	s_delay_alu instid0(VALU_DEP_1) | instskip(SKIP_1) | instid1(VALU_DEP_1)
	v_cmp_eq_u64_e32 vcc_lo, 0, v[5:6]
	v_dual_cndmask_b32 v6, v6, v13 :: v_dual_cndmask_b32 v5, v5, v12
	v_and_b32_e32 v2, v6, v2
	s_delay_alu instid0(VALU_DEP_2) | instskip(NEXT) | instid1(VALU_DEP_2)
	v_and_b32_e32 v1, v5, v1
	v_mul_lo_u32 v2, v2, 24
	s_delay_alu instid0(VALU_DEP_2) | instskip(SKIP_1) | instid1(VALU_DEP_2)
	v_mul_hi_u32 v12, v1, 24
	v_mul_lo_u32 v1, v1, 24
	v_add_nc_u32_e32 v2, v12, v2
	s_waitcnt vmcnt(0)
	s_delay_alu instid0(VALU_DEP_2) | instskip(SKIP_1) | instid1(VALU_DEP_3)
	v_add_co_u32 v1, vcc_lo, v7, v1
	v_mov_b32_e32 v7, v10
	v_add_co_ci_u32_e32 v2, vcc_lo, v8, v2, vcc_lo
	v_mov_b32_e32 v8, v11
	global_store_b64 v[1:2], v[10:11], off
	s_waitcnt_vscnt null, 0x0
	global_atomic_cmpswap_b64 v[7:8], v9, v[5:8], s[2:3] offset:24 glc
	s_waitcnt vmcnt(0)
	v_cmp_ne_u64_e32 vcc_lo, v[7:8], v[10:11]
	s_and_b32 exec_lo, exec_lo, vcc_lo
	s_cbranch_execz .LBB3_243
; %bb.241:
	s_mov_b32 s0, 0
.LBB3_242:                              ; =>This Inner Loop Header: Depth=1
	s_sleep 1
	global_store_b64 v[1:2], v[7:8], off
	s_waitcnt_vscnt null, 0x0
	global_atomic_cmpswap_b64 v[10:11], v9, v[5:8], s[2:3] offset:24 glc
	s_waitcnt vmcnt(0)
	v_cmp_eq_u64_e32 vcc_lo, v[10:11], v[7:8]
	v_dual_mov_b32 v7, v10 :: v_dual_mov_b32 v8, v11
	s_or_b32 s0, vcc_lo, s0
	s_delay_alu instid0(SALU_CYCLE_1)
	s_and_not1_b32 exec_lo, exec_lo, s0
	s_cbranch_execnz .LBB3_242
.LBB3_243:
	s_or_b32 exec_lo, exec_lo, s1
.LBB3_244:
	v_readfirstlane_b32 s0, v33
	s_waitcnt vmcnt(0)
	v_mov_b32_e32 v1, 0
	v_mov_b32_e32 v2, 0
	s_delay_alu instid0(VALU_DEP_3) | instskip(NEXT) | instid1(VALU_DEP_1)
	v_cmp_eq_u32_e64 s0, s0, v33
	s_and_saveexec_b32 s1, s0
	s_cbranch_execz .LBB3_250
; %bb.245:
	v_mov_b32_e32 v5, 0
	s_mov_b32 s4, exec_lo
	global_load_b64 v[8:9], v5, s[2:3] offset:24 glc
	s_waitcnt vmcnt(0)
	buffer_gl1_inv
	buffer_gl0_inv
	s_clause 0x1
	global_load_b64 v[1:2], v5, s[2:3] offset:40
	global_load_b64 v[6:7], v5, s[2:3]
	s_waitcnt vmcnt(1)
	v_and_b32_e32 v2, v2, v9
	v_and_b32_e32 v1, v1, v8
	s_delay_alu instid0(VALU_DEP_2) | instskip(NEXT) | instid1(VALU_DEP_2)
	v_mul_lo_u32 v2, v2, 24
	v_mul_hi_u32 v10, v1, 24
	v_mul_lo_u32 v1, v1, 24
	s_delay_alu instid0(VALU_DEP_2) | instskip(SKIP_1) | instid1(VALU_DEP_2)
	v_add_nc_u32_e32 v2, v10, v2
	s_waitcnt vmcnt(0)
	v_add_co_u32 v1, vcc_lo, v6, v1
	s_delay_alu instid0(VALU_DEP_2)
	v_add_co_ci_u32_e32 v2, vcc_lo, v7, v2, vcc_lo
	global_load_b64 v[6:7], v[1:2], off glc
	s_waitcnt vmcnt(0)
	global_atomic_cmpswap_b64 v[1:2], v5, v[6:9], s[2:3] offset:24 glc
	s_waitcnt vmcnt(0)
	buffer_gl1_inv
	buffer_gl0_inv
	v_cmpx_ne_u64_e64 v[1:2], v[8:9]
	s_cbranch_execz .LBB3_249
; %bb.246:
	s_mov_b32 s5, 0
	.p2align	6
.LBB3_247:                              ; =>This Inner Loop Header: Depth=1
	s_sleep 1
	s_clause 0x1
	global_load_b64 v[6:7], v5, s[2:3] offset:40
	global_load_b64 v[10:11], v5, s[2:3]
	v_dual_mov_b32 v9, v2 :: v_dual_mov_b32 v8, v1
	s_waitcnt vmcnt(1)
	s_delay_alu instid0(VALU_DEP_1) | instskip(SKIP_1) | instid1(VALU_DEP_1)
	v_and_b32_e32 v6, v6, v8
	s_waitcnt vmcnt(0)
	v_mad_u64_u32 v[1:2], null, v6, 24, v[10:11]
	v_and_b32_e32 v10, v7, v9
	s_delay_alu instid0(VALU_DEP_1) | instskip(NEXT) | instid1(VALU_DEP_1)
	v_mad_u64_u32 v[6:7], null, v10, 24, v[2:3]
	v_mov_b32_e32 v2, v6
	global_load_b64 v[6:7], v[1:2], off glc
	s_waitcnt vmcnt(0)
	global_atomic_cmpswap_b64 v[1:2], v5, v[6:9], s[2:3] offset:24 glc
	s_waitcnt vmcnt(0)
	buffer_gl1_inv
	buffer_gl0_inv
	v_cmp_eq_u64_e32 vcc_lo, v[1:2], v[8:9]
	s_or_b32 s5, vcc_lo, s5
	s_delay_alu instid0(SALU_CYCLE_1)
	s_and_not1_b32 exec_lo, exec_lo, s5
	s_cbranch_execnz .LBB3_247
; %bb.248:
	s_or_b32 exec_lo, exec_lo, s5
.LBB3_249:
	s_delay_alu instid0(SALU_CYCLE_1)
	s_or_b32 exec_lo, exec_lo, s4
.LBB3_250:
	s_delay_alu instid0(SALU_CYCLE_1)
	s_or_b32 exec_lo, exec_lo, s1
	v_mov_b32_e32 v6, 0
	v_readfirstlane_b32 s4, v1
	v_readfirstlane_b32 s5, v2
	s_mov_b32 s1, exec_lo
	s_clause 0x1
	global_load_b64 v[11:12], v6, s[2:3] offset:40
	global_load_b128 v[7:10], v6, s[2:3]
	s_waitcnt vmcnt(1)
	v_readfirstlane_b32 s6, v11
	v_readfirstlane_b32 s7, v12
	s_delay_alu instid0(VALU_DEP_1) | instskip(NEXT) | instid1(SALU_CYCLE_1)
	s_and_b64 s[6:7], s[4:5], s[6:7]
	s_mul_i32 s10, s7, 24
	s_mul_hi_u32 s11, s6, 24
	s_mul_i32 s12, s6, 24
	s_add_i32 s11, s11, s10
	s_waitcnt vmcnt(0)
	v_add_co_u32 v11, vcc_lo, v7, s12
	v_add_co_ci_u32_e32 v12, vcc_lo, s11, v8, vcc_lo
	s_and_saveexec_b32 s10, s0
	s_cbranch_execz .LBB3_252
; %bb.251:
	v_dual_mov_b32 v5, s1 :: v_dual_mov_b32 v16, 1
	v_dual_mov_b32 v15, 2 :: v_dual_mov_b32 v14, v6
	s_delay_alu instid0(VALU_DEP_2)
	v_mov_b32_e32 v13, v5
	global_store_b128 v[11:12], v[13:16], off offset:8
.LBB3_252:
	s_or_b32 exec_lo, exec_lo, s10
	s_lshl_b64 s[6:7], s[6:7], 12
	s_mov_b32 s12, 0
	v_add_co_u32 v1, vcc_lo, v9, s6
	v_add_co_ci_u32_e32 v2, vcc_lo, s7, v10, vcc_lo
	s_mov_b32 s15, s12
	s_delay_alu instid0(VALU_DEP_2)
	v_add_co_u32 v9, vcc_lo, v1, v32
	s_mov_b32 s13, s12
	s_mov_b32 s14, s12
	v_and_or_b32 v3, 0xffffff1f, v3, 32
	v_dual_mov_b32 v5, v0 :: v_dual_mov_b32 v16, s15
	v_readfirstlane_b32 s6, v1
	v_readfirstlane_b32 s7, v2
	v_add_co_ci_u32_e32 v10, vcc_lo, 0, v2, vcc_lo
	v_dual_mov_b32 v15, s14 :: v_dual_mov_b32 v14, s13
	v_mov_b32_e32 v13, s12
	s_clause 0x3
	global_store_b128 v32, v[3:6], s[6:7]
	global_store_b128 v32, v[13:16], s[6:7] offset:16
	global_store_b128 v32, v[13:16], s[6:7] offset:32
	global_store_b128 v32, v[13:16], s[6:7] offset:48
	s_and_saveexec_b32 s1, s0
	s_cbranch_execz .LBB3_260
; %bb.253:
	v_dual_mov_b32 v6, 0 :: v_dual_mov_b32 v13, s4
	v_mov_b32_e32 v14, s5
	s_clause 0x1
	global_load_b64 v[15:16], v6, s[2:3] offset:32 glc
	global_load_b64 v[0:1], v6, s[2:3] offset:40
	s_waitcnt vmcnt(0)
	v_readfirstlane_b32 s6, v0
	v_readfirstlane_b32 s7, v1
	s_delay_alu instid0(VALU_DEP_1) | instskip(NEXT) | instid1(SALU_CYCLE_1)
	s_and_b64 s[6:7], s[6:7], s[4:5]
	s_mul_i32 s7, s7, 24
	s_mul_hi_u32 s10, s6, 24
	s_mul_i32 s6, s6, 24
	s_add_i32 s10, s10, s7
	v_add_co_u32 v4, vcc_lo, v7, s6
	v_add_co_ci_u32_e32 v5, vcc_lo, s10, v8, vcc_lo
	s_mov_b32 s6, exec_lo
	global_store_b64 v[4:5], v[15:16], off
	s_waitcnt_vscnt null, 0x0
	global_atomic_cmpswap_b64 v[2:3], v6, v[13:16], s[2:3] offset:32 glc
	s_waitcnt vmcnt(0)
	v_cmpx_ne_u64_e64 v[2:3], v[15:16]
	s_cbranch_execz .LBB3_256
; %bb.254:
	s_mov_b32 s7, 0
.LBB3_255:                              ; =>This Inner Loop Header: Depth=1
	v_dual_mov_b32 v0, s4 :: v_dual_mov_b32 v1, s5
	s_sleep 1
	global_store_b64 v[4:5], v[2:3], off
	s_waitcnt_vscnt null, 0x0
	global_atomic_cmpswap_b64 v[0:1], v6, v[0:3], s[2:3] offset:32 glc
	s_waitcnt vmcnt(0)
	v_cmp_eq_u64_e32 vcc_lo, v[0:1], v[2:3]
	v_dual_mov_b32 v3, v1 :: v_dual_mov_b32 v2, v0
	s_or_b32 s7, vcc_lo, s7
	s_delay_alu instid0(SALU_CYCLE_1)
	s_and_not1_b32 exec_lo, exec_lo, s7
	s_cbranch_execnz .LBB3_255
.LBB3_256:
	s_or_b32 exec_lo, exec_lo, s6
	v_mov_b32_e32 v3, 0
	s_mov_b32 s7, exec_lo
	s_mov_b32 s6, exec_lo
	v_mbcnt_lo_u32_b32 v2, s7, 0
	global_load_b64 v[0:1], v3, s[2:3] offset:16
	v_cmpx_eq_u32_e32 0, v2
	s_cbranch_execz .LBB3_258
; %bb.257:
	s_bcnt1_i32_b32 s7, s7
	s_delay_alu instid0(SALU_CYCLE_1)
	v_mov_b32_e32 v2, s7
	s_waitcnt vmcnt(0)
	global_atomic_add_u64 v[0:1], v[2:3], off offset:8
.LBB3_258:
	s_or_b32 exec_lo, exec_lo, s6
	s_waitcnt vmcnt(0)
	global_load_b64 v[2:3], v[0:1], off offset:16
	s_waitcnt vmcnt(0)
	v_cmp_eq_u64_e32 vcc_lo, 0, v[2:3]
	s_cbranch_vccnz .LBB3_260
; %bb.259:
	global_load_b32 v0, v[0:1], off offset:24
	s_waitcnt vmcnt(0)
	v_dual_mov_b32 v1, 0 :: v_dual_and_b32 v4, 0xffffff, v0
	s_waitcnt_vscnt null, 0x0
	global_store_b64 v[2:3], v[0:1], off
	v_readfirstlane_b32 m0, v4
	s_sendmsg sendmsg(MSG_INTERRUPT)
.LBB3_260:
	s_or_b32 exec_lo, exec_lo, s1
	s_branch .LBB3_264
	.p2align	6
.LBB3_261:                              ;   in Loop: Header=BB3_264 Depth=1
	s_or_b32 exec_lo, exec_lo, s1
	s_delay_alu instid0(VALU_DEP_1) | instskip(NEXT) | instid1(VALU_DEP_1)
	v_readfirstlane_b32 s1, v0
	s_cmp_eq_u32 s1, 0
	s_cbranch_scc1 .LBB3_263
; %bb.262:                              ;   in Loop: Header=BB3_264 Depth=1
	s_sleep 1
	s_cbranch_execnz .LBB3_264
	s_branch .LBB3_266
	.p2align	6
.LBB3_263:
	s_branch .LBB3_266
.LBB3_264:                              ; =>This Inner Loop Header: Depth=1
	v_mov_b32_e32 v0, 1
	s_and_saveexec_b32 s1, s0
	s_cbranch_execz .LBB3_261
; %bb.265:                              ;   in Loop: Header=BB3_264 Depth=1
	global_load_b32 v0, v[11:12], off offset:20 glc
	s_waitcnt vmcnt(0)
	buffer_gl1_inv
	buffer_gl0_inv
	v_and_b32_e32 v0, 1, v0
	s_branch .LBB3_261
.LBB3_266:
	global_load_b64 v[0:1], v[9:10], off
	s_and_saveexec_b32 s1, s0
	s_cbranch_execz .LBB3_270
; %bb.267:
	v_mov_b32_e32 v8, 0
	s_clause 0x2
	global_load_b64 v[4:5], v8, s[2:3] offset:40
	global_load_b64 v[9:10], v8, s[2:3] offset:24 glc
	global_load_b64 v[6:7], v8, s[2:3]
	s_waitcnt vmcnt(2)
	v_add_co_u32 v11, vcc_lo, v4, 1
	v_add_co_ci_u32_e32 v12, vcc_lo, 0, v5, vcc_lo
	s_delay_alu instid0(VALU_DEP_2) | instskip(NEXT) | instid1(VALU_DEP_2)
	v_add_co_u32 v2, vcc_lo, v11, s4
	v_add_co_ci_u32_e32 v3, vcc_lo, s5, v12, vcc_lo
	s_delay_alu instid0(VALU_DEP_1) | instskip(SKIP_1) | instid1(VALU_DEP_1)
	v_cmp_eq_u64_e32 vcc_lo, 0, v[2:3]
	v_dual_cndmask_b32 v3, v3, v12 :: v_dual_cndmask_b32 v2, v2, v11
	v_and_b32_e32 v5, v3, v5
	s_delay_alu instid0(VALU_DEP_2) | instskip(NEXT) | instid1(VALU_DEP_2)
	v_and_b32_e32 v4, v2, v4
	v_mul_lo_u32 v5, v5, 24
	s_delay_alu instid0(VALU_DEP_2) | instskip(SKIP_1) | instid1(VALU_DEP_2)
	v_mul_hi_u32 v11, v4, 24
	v_mul_lo_u32 v4, v4, 24
	v_add_nc_u32_e32 v5, v11, v5
	s_waitcnt vmcnt(0)
	s_delay_alu instid0(VALU_DEP_2) | instskip(SKIP_1) | instid1(VALU_DEP_3)
	v_add_co_u32 v6, vcc_lo, v6, v4
	v_mov_b32_e32 v4, v9
	v_add_co_ci_u32_e32 v7, vcc_lo, v7, v5, vcc_lo
	v_mov_b32_e32 v5, v10
	global_store_b64 v[6:7], v[9:10], off
	s_waitcnt_vscnt null, 0x0
	global_atomic_cmpswap_b64 v[4:5], v8, v[2:5], s[2:3] offset:24 glc
	s_waitcnt vmcnt(0)
	v_cmp_ne_u64_e32 vcc_lo, v[4:5], v[9:10]
	s_and_b32 exec_lo, exec_lo, vcc_lo
	s_cbranch_execz .LBB3_270
; %bb.268:
	s_mov_b32 s0, 0
.LBB3_269:                              ; =>This Inner Loop Header: Depth=1
	s_sleep 1
	global_store_b64 v[6:7], v[4:5], off
	s_waitcnt_vscnt null, 0x0
	global_atomic_cmpswap_b64 v[9:10], v8, v[2:5], s[2:3] offset:24 glc
	s_waitcnt vmcnt(0)
	v_cmp_eq_u64_e32 vcc_lo, v[9:10], v[4:5]
	v_dual_mov_b32 v4, v9 :: v_dual_mov_b32 v5, v10
	s_or_b32 s0, vcc_lo, s0
	s_delay_alu instid0(SALU_CYCLE_1)
	s_and_not1_b32 exec_lo, exec_lo, s0
	s_cbranch_execnz .LBB3_269
.LBB3_270:
	s_or_b32 exec_lo, exec_lo, s1
	s_getpc_b64 s[0:1]
	s_add_u32 s0, s0, __FUNCTION__._ZL18flash_attn_ext_f16ILi64ELi64ELi8ELi4ELb1ELb0EEvPKcS1_S1_S1_S1_PKiPfP15HIP_vector_typeIfLj2EEffffjfiS5_IjLj3EEiiiiiiiiiiiliiliiiiil@rel32@lo+4
	s_addc_u32 s1, s1, __FUNCTION__._ZL18flash_attn_ext_f16ILi64ELi64ELi8ELi4ELb1ELb0EEvPKcS1_S1_S1_S1_PKiPfP15HIP_vector_typeIfLj2EEffffjfiS5_IjLj3EEiiiiiiiiiiiliiliiiiil@rel32@hi+12
	s_delay_alu instid0(SALU_CYCLE_1) | instskip(SKIP_3) | instid1(SALU_CYCLE_1)
	v_dual_mov_b32 v2, s0 :: v_dual_mov_b32 v3, s1
	s_cmp_lg_u64 s[0:1], 0
	s_mov_b64 s[16:17], s[8:9]
	s_cselect_b32 s4, 19, 0
	v_dual_mov_b32 v5, 0 :: v_dual_mov_b32 v4, s4
	s_getpc_b64 s[2:3]
	s_add_u32 s2, s2, __ockl_printf_append_string_n@rel32@lo+4
	s_addc_u32 s3, s3, __ockl_printf_append_string_n@rel32@hi+12
	s_delay_alu instid0(SALU_CYCLE_1)
	s_swappc_b64 s[30:31], s[2:3]
	v_dual_mov_b32 v2, 0x514 :: v_dual_mov_b32 v3, 0
	v_mov_b32_e32 v4, 1
	s_mov_b64 s[8:9], s[16:17]
	s_getpc_b64 s[0:1]
	s_add_u32 s0, s0, __ockl_printf_append_args@rel32@lo+4
	s_addc_u32 s1, s1, __ockl_printf_append_args@rel32@hi+12
	s_delay_alu instid0(SALU_CYCLE_1)
	s_swappc_b64 s[30:31], s[0:1]
	s_trap 2
	s_sendmsg_rtn_b32 s0, sendmsg(MSG_RTN_GET_DOORBELL)
	s_mov_b32 ttmp2, m0
	s_waitcnt lgkmcnt(0)
	s_and_b32 s0, s0, 0x3ff
	s_delay_alu instid0(SALU_CYCLE_1) | instskip(NEXT) | instid1(SALU_CYCLE_1)
	s_bitset1_b32 s0, 10
	s_mov_b32 m0, s0
	s_sendmsg sendmsg(MSG_INTERRUPT)
	s_mov_b32 m0, ttmp2
.LBB3_271:                              ; =>This Inner Loop Header: Depth=1
	s_sethalt 5
	s_branch .LBB3_271
.Lfunc_end3:
	.size	_ZL14no_device_codePKciS0_iS0_, .Lfunc_end3-_ZL14no_device_codePKciS0_iS0_
                                        ; -- End function
	.section	.AMDGPU.csdata,"",@progbits
; Function info:
; codeLenInByte = 10540
; NumSgprs: 36
; NumVgprs: 37
; ScratchSize: 16
; MemoryBound: 0
	.section	.text._ZL18flash_attn_ext_f16ILi64ELi64ELi8ELi4ELb1ELb0EEvPKcS1_S1_S1_S1_PKiPfP15HIP_vector_typeIfLj2EEffffjfiS5_IjLj3EEiiiiiiiiiiiliiliiiiil,"axG",@progbits,_ZL18flash_attn_ext_f16ILi64ELi64ELi8ELi4ELb1ELb0EEvPKcS1_S1_S1_S1_PKiPfP15HIP_vector_typeIfLj2EEffffjfiS5_IjLj3EEiiiiiiiiiiiliiliiiiil,comdat
	.globl	_ZL18flash_attn_ext_f16ILi64ELi64ELi8ELi4ELb1ELb0EEvPKcS1_S1_S1_S1_PKiPfP15HIP_vector_typeIfLj2EEffffjfiS5_IjLj3EEiiiiiiiiiiiliiliiiiil ; -- Begin function _ZL18flash_attn_ext_f16ILi64ELi64ELi8ELi4ELb1ELb0EEvPKcS1_S1_S1_S1_PKiPfP15HIP_vector_typeIfLj2EEffffjfiS5_IjLj3EEiiiiiiiiiiiliiliiiiil
	.p2align	8
	.type	_ZL18flash_attn_ext_f16ILi64ELi64ELi8ELi4ELb1ELb0EEvPKcS1_S1_S1_S1_PKiPfP15HIP_vector_typeIfLj2EEffffjfiS5_IjLj3EEiiiiiiiiiiiliiliiiiil,@function
_ZL18flash_attn_ext_f16ILi64ELi64ELi8ELi4ELb1ELb0EEvPKcS1_S1_S1_S1_PKiPfP15HIP_vector_typeIfLj2EEffffjfiS5_IjLj3EEiiiiiiiiiiiliiliiiiil: ; @_ZL18flash_attn_ext_f16ILi64ELi64ELi8ELi4ELb1ELb0EEvPKcS1_S1_S1_S1_PKiPfP15HIP_vector_typeIfLj2EEffffjfiS5_IjLj3EEiiiiiiiiiiiliiliiiiil
; %bb.0:
	v_mov_b32_e32 v0, 0x6cc
	s_add_u32 s8, s0, 0xd0
	s_addc_u32 s9, s1, 0
	s_mov_b32 s32, 0
	s_getpc_b64 s[0:1]
	s_add_u32 s0, s0, _ZL14no_device_codePKciS0_iS0_@rel32@lo+4
	s_addc_u32 s1, s1, _ZL14no_device_codePKciS0_iS0_@rel32@hi+12
	s_delay_alu instid0(SALU_CYCLE_1)
	s_swappc_b64 s[30:31], s[0:1]
	.section	.rodata,"a",@progbits
	.p2align	6, 0x0
	.amdhsa_kernel _ZL18flash_attn_ext_f16ILi64ELi64ELi8ELi4ELb1ELb0EEvPKcS1_S1_S1_S1_PKiPfP15HIP_vector_typeIfLj2EEffffjfiS5_IjLj3EEiiiiiiiiiiiliiliiiiil
		.amdhsa_group_segment_fixed_size 0
		.amdhsa_private_segment_fixed_size 16
		.amdhsa_kernarg_size 464
		.amdhsa_user_sgpr_count 15
		.amdhsa_user_sgpr_dispatch_ptr 0
		.amdhsa_user_sgpr_queue_ptr 0
		.amdhsa_user_sgpr_kernarg_segment_ptr 1
		.amdhsa_user_sgpr_dispatch_id 0
		.amdhsa_user_sgpr_private_segment_size 0
		.amdhsa_wavefront_size32 1
		.amdhsa_uses_dynamic_stack 0
		.amdhsa_enable_private_segment 1
		.amdhsa_system_sgpr_workgroup_id_x 1
		.amdhsa_system_sgpr_workgroup_id_y 0
		.amdhsa_system_sgpr_workgroup_id_z 0
		.amdhsa_system_sgpr_workgroup_info 0
		.amdhsa_system_vgpr_workitem_id 0
		.amdhsa_next_free_vgpr 37
		.amdhsa_next_free_sgpr 34
		.amdhsa_reserve_vcc 1
		.amdhsa_float_round_mode_32 0
		.amdhsa_float_round_mode_16_64 0
		.amdhsa_float_denorm_mode_32 3
		.amdhsa_float_denorm_mode_16_64 3
		.amdhsa_dx10_clamp 1
		.amdhsa_ieee_mode 1
		.amdhsa_fp16_overflow 0
		.amdhsa_workgroup_processor_mode 1
		.amdhsa_memory_ordered 1
		.amdhsa_forward_progress 0
		.amdhsa_shared_vgpr_count 0
		.amdhsa_exception_fp_ieee_invalid_op 0
		.amdhsa_exception_fp_denorm_src 0
		.amdhsa_exception_fp_ieee_div_zero 0
		.amdhsa_exception_fp_ieee_overflow 0
		.amdhsa_exception_fp_ieee_underflow 0
		.amdhsa_exception_fp_ieee_inexact 0
		.amdhsa_exception_int_div_zero 0
	.end_amdhsa_kernel
	.section	.text._ZL18flash_attn_ext_f16ILi64ELi64ELi8ELi4ELb1ELb0EEvPKcS1_S1_S1_S1_PKiPfP15HIP_vector_typeIfLj2EEffffjfiS5_IjLj3EEiiiiiiiiiiiliiliiiiil,"axG",@progbits,_ZL18flash_attn_ext_f16ILi64ELi64ELi8ELi4ELb1ELb0EEvPKcS1_S1_S1_S1_PKiPfP15HIP_vector_typeIfLj2EEffffjfiS5_IjLj3EEiiiiiiiiiiiliiliiiiil,comdat
.Lfunc_end4:
	.size	_ZL18flash_attn_ext_f16ILi64ELi64ELi8ELi4ELb1ELb0EEvPKcS1_S1_S1_S1_PKiPfP15HIP_vector_typeIfLj2EEffffjfiS5_IjLj3EEiiiiiiiiiiiliiliiiiil, .Lfunc_end4-_ZL18flash_attn_ext_f16ILi64ELi64ELi8ELi4ELb1ELb0EEvPKcS1_S1_S1_S1_PKiPfP15HIP_vector_typeIfLj2EEffffjfiS5_IjLj3EEiiiiiiiiiiiliiliiiiil
                                        ; -- End function
	.section	.AMDGPU.csdata,"",@progbits
; Kernel info:
; codeLenInByte = 52
; NumSgprs: 36
; NumVgprs: 37
; ScratchSize: 16
; MemoryBound: 0
; FloatMode: 240
; IeeeMode: 1
; LDSByteSize: 0 bytes/workgroup (compile time only)
; SGPRBlocks: 4
; VGPRBlocks: 4
; NumSGPRsForWavesPerEU: 36
; NumVGPRsForWavesPerEU: 37
; Occupancy: 16
; WaveLimiterHint : 1
; COMPUTE_PGM_RSRC2:SCRATCH_EN: 1
; COMPUTE_PGM_RSRC2:USER_SGPR: 15
; COMPUTE_PGM_RSRC2:TRAP_HANDLER: 0
; COMPUTE_PGM_RSRC2:TGID_X_EN: 1
; COMPUTE_PGM_RSRC2:TGID_Y_EN: 0
; COMPUTE_PGM_RSRC2:TGID_Z_EN: 0
; COMPUTE_PGM_RSRC2:TIDIG_COMP_CNT: 0
	.section	.text._ZL25flash_attn_mask_to_KV_maxILi8EEvPK7__half2Piiii,"axG",@progbits,_ZL25flash_attn_mask_to_KV_maxILi8EEvPK7__half2Piiii,comdat
	.globl	_ZL25flash_attn_mask_to_KV_maxILi8EEvPK7__half2Piiii ; -- Begin function _ZL25flash_attn_mask_to_KV_maxILi8EEvPK7__half2Piiii
	.p2align	8
	.type	_ZL25flash_attn_mask_to_KV_maxILi8EEvPK7__half2Piiii,@function
_ZL25flash_attn_mask_to_KV_maxILi8EEvPK7__half2Piiii: ; @_ZL25flash_attn_mask_to_KV_maxILi8EEvPK7__half2Piiii
; %bb.0:
	s_load_b128 s[4:7], s[0:1], 0x0
	s_mov_b32 s2, exec_lo
	v_cmpx_gt_u32_e32 32, v0
	s_cbranch_execz .LBB5_2
; %bb.1:
	v_dual_mov_b32 v2, 1 :: v_dual_lshlrev_b32 v1, 2, v0
	ds_store_b32 v1, v2
.LBB5_2:
	s_or_b32 exec_lo, exec_lo, s2
	s_clause 0x1
	s_load_b128 s[8:11], s[0:1], 0x10
	s_load_b32 s1, s[0:1], 0x20
	v_dual_mov_b32 v2, 0 :: v_dual_and_b32 v1, 31, v0
	v_lshrrev_b32_e32 v5, 3, v0
	s_waitcnt lgkmcnt(0)
	s_barrier
	s_delay_alu instid0(VALU_DEP_2) | instskip(SKIP_4) | instid1(SALU_CYCLE_1)
	v_lshlrev_b32_e32 v6, 2, v1
	buffer_gl0_inv
	s_mul_i32 s0, s14, s9
	s_mul_i32 s2, s15, s10
	s_lshl_b32 s0, s0, 3
	s_add_i32 s2, s2, s0
	v_cmp_eq_u32_e64 s0, 0, v1
	s_ashr_i32 s3, s2, 31
	s_delay_alu instid0(SALU_CYCLE_1) | instskip(NEXT) | instid1(SALU_CYCLE_1)
	s_lshl_b64 s[10:11], s[2:3], 2
	s_add_u32 s3, s4, s10
	s_addc_u32 s4, s5, s11
	s_lshl_b32 s5, s8, 8
	s_branch .LBB5_4
.LBB5_3:                                ;   in Loop: Header=BB5_4 Depth=1
	s_or_b32 exec_lo, exec_lo, s10
	s_waitcnt lgkmcnt(0)
	s_barrier
	buffer_gl0_inv
	ds_load_b32 v1, v6
	s_waitcnt lgkmcnt(0)
	s_barrier
	buffer_gl0_inv
	;;#ASMSTART
	;;#ASMEND
	v_cmp_ne_u32_e32 vcc_lo, 0, v1
	s_cmp_lg_u32 vcc_lo, exec_lo
	s_cselect_b32 s8, -1, 0
	s_delay_alu instid0(SALU_CYCLE_1)
	s_and_b32 vcc_lo, exec_lo, s8
	s_cbranch_vccnz .LBB5_36
.LBB5_4:                                ; =>This Inner Loop Header: Depth=1
	s_mov_b32 s2, s5
	s_addk_i32 s5, 0xff00
	s_delay_alu instid0(SALU_CYCLE_1)
	s_cmp_lt_i32 s5, 0
	s_cbranch_scc1 .LBB5_35
; %bb.5:                                ;   in Loop: Header=BB5_4 Depth=1
	s_lshr_b32 s8, s5, 1
	s_mov_b32 s10, 0
	v_add_nc_u32_e32 v1, s8, v0
	s_delay_alu instid0(VALU_DEP_1) | instskip(NEXT) | instid1(VALU_DEP_1)
	v_lshlrev_b64 v[3:4], 2, v[1:2]
	v_add_co_u32 v3, vcc_lo, s3, v3
	s_delay_alu instid0(VALU_DEP_2) | instskip(SKIP_4) | instid1(VALU_DEP_2)
	v_add_co_ci_u32_e32 v4, vcc_lo, s4, v4, vcc_lo
	global_load_b32 v3, v[3:4], off
	s_waitcnt vmcnt(0)
	v_lshrrev_b32_e32 v4, 16, v3
	v_cmp_class_f16_e64 s8, v3, 0x204
	v_and_b32_e32 v4, 0x7fff, v4
	s_delay_alu instid0(VALU_DEP_1) | instskip(NEXT) | instid1(VALU_DEP_3)
	v_cmp_eq_f16_e32 vcc_lo, 0x7c00, v4
	s_and_b32 s11, s8, vcc_lo
	s_delay_alu instid0(SALU_CYCLE_1)
	s_and_saveexec_b32 s8, s11
	s_cbranch_execz .LBB5_33
; %bb.6:                                ;   in Loop: Header=BB5_4 Depth=1
	v_add_nc_u32_e32 v3, s9, v1
	s_mov_b32 s11, 0
	s_delay_alu instid0(VALU_DEP_1) | instskip(NEXT) | instid1(VALU_DEP_1)
	v_ashrrev_i32_e32 v4, 31, v3
	v_lshlrev_b64 v[7:8], 2, v[3:4]
	s_delay_alu instid0(VALU_DEP_1) | instskip(NEXT) | instid1(VALU_DEP_2)
	v_add_co_u32 v7, vcc_lo, s3, v7
	v_add_co_ci_u32_e32 v8, vcc_lo, s4, v8, vcc_lo
	global_load_b32 v1, v[7:8], off
	s_waitcnt vmcnt(0)
	v_cmp_class_f16_e64 s12, v1, 0x204
	s_delay_alu instid0(VALU_DEP_1)
	s_and_saveexec_b32 s10, s12
	s_cbranch_execz .LBB5_32
; %bb.7:                                ;   in Loop: Header=BB5_4 Depth=1
	v_lshrrev_b32_e32 v1, 16, v1
	s_mov_b32 s12, 0
	s_delay_alu instid0(VALU_DEP_1) | instskip(NEXT) | instid1(VALU_DEP_1)
	v_cmp_class_f16_e64 s13, v1, 0x204
	s_and_saveexec_b32 s11, s13
	s_cbranch_execz .LBB5_31
; %bb.8:                                ;   in Loop: Header=BB5_4 Depth=1
	v_add_nc_u32_e32 v3, s9, v3
	s_mov_b32 s13, 0
	s_delay_alu instid0(VALU_DEP_1) | instskip(NEXT) | instid1(VALU_DEP_1)
	v_ashrrev_i32_e32 v4, 31, v3
	v_lshlrev_b64 v[7:8], 2, v[3:4]
	s_delay_alu instid0(VALU_DEP_1) | instskip(NEXT) | instid1(VALU_DEP_2)
	v_add_co_u32 v7, vcc_lo, s3, v7
	v_add_co_ci_u32_e32 v8, vcc_lo, s4, v8, vcc_lo
	global_load_b32 v1, v[7:8], off
	s_waitcnt vmcnt(0)
	v_cmp_class_f16_e64 s16, v1, 0x204
	s_delay_alu instid0(VALU_DEP_1)
	s_and_saveexec_b32 s12, s16
	s_cbranch_execz .LBB5_30
; %bb.9:                                ;   in Loop: Header=BB5_4 Depth=1
	v_lshrrev_b32_e32 v1, 16, v1
	s_mov_b32 s16, 0
	s_delay_alu instid0(VALU_DEP_1) | instskip(NEXT) | instid1(VALU_DEP_1)
	v_cmp_class_f16_e64 s17, v1, 0x204
	s_and_saveexec_b32 s13, s17
	s_cbranch_execz .LBB5_29
; %bb.10:                               ;   in Loop: Header=BB5_4 Depth=1
	v_add_nc_u32_e32 v3, s9, v3
	s_mov_b32 s17, 0
	s_delay_alu instid0(VALU_DEP_1) | instskip(NEXT) | instid1(VALU_DEP_1)
	v_ashrrev_i32_e32 v4, 31, v3
	v_lshlrev_b64 v[7:8], 2, v[3:4]
	s_delay_alu instid0(VALU_DEP_1) | instskip(NEXT) | instid1(VALU_DEP_2)
	v_add_co_u32 v7, vcc_lo, s3, v7
	v_add_co_ci_u32_e32 v8, vcc_lo, s4, v8, vcc_lo
	global_load_b32 v1, v[7:8], off
	s_waitcnt vmcnt(0)
	v_cmp_class_f16_e64 s18, v1, 0x204
	s_delay_alu instid0(VALU_DEP_1)
	s_and_saveexec_b32 s16, s18
	s_cbranch_execz .LBB5_28
; %bb.11:                               ;   in Loop: Header=BB5_4 Depth=1
	v_lshrrev_b32_e32 v1, 16, v1
	s_mov_b32 s18, 0
	s_delay_alu instid0(VALU_DEP_1) | instskip(NEXT) | instid1(VALU_DEP_1)
	v_cmp_class_f16_e64 s19, v1, 0x204
	s_and_saveexec_b32 s17, s19
	s_cbranch_execz .LBB5_27
; %bb.12:                               ;   in Loop: Header=BB5_4 Depth=1
	v_add_nc_u32_e32 v3, s9, v3
	s_mov_b32 s19, 0
	s_delay_alu instid0(VALU_DEP_1) | instskip(NEXT) | instid1(VALU_DEP_1)
	v_ashrrev_i32_e32 v4, 31, v3
	v_lshlrev_b64 v[7:8], 2, v[3:4]
	s_delay_alu instid0(VALU_DEP_1) | instskip(NEXT) | instid1(VALU_DEP_2)
	v_add_co_u32 v7, vcc_lo, s3, v7
	v_add_co_ci_u32_e32 v8, vcc_lo, s4, v8, vcc_lo
	global_load_b32 v1, v[7:8], off
	s_waitcnt vmcnt(0)
	v_cmp_class_f16_e64 s20, v1, 0x204
	s_delay_alu instid0(VALU_DEP_1)
	s_and_saveexec_b32 s18, s20
	s_cbranch_execz .LBB5_26
; %bb.13:                               ;   in Loop: Header=BB5_4 Depth=1
	;; [unrolled: 22-line block ×4, first 2 shown]
	v_lshrrev_b32_e32 v1, 16, v1
	s_mov_b32 s24, 0
	s_delay_alu instid0(VALU_DEP_1) | instskip(NEXT) | instid1(VALU_DEP_1)
	v_cmp_class_f16_e64 s25, v1, 0x204
	s_and_saveexec_b32 s23, s25
	s_cbranch_execz .LBB5_21
; %bb.18:                               ;   in Loop: Header=BB5_4 Depth=1
	v_add_nc_u32_e32 v3, s9, v3
	s_delay_alu instid0(VALU_DEP_1) | instskip(NEXT) | instid1(VALU_DEP_1)
	v_ashrrev_i32_e32 v4, 31, v3
	v_lshlrev_b64 v[3:4], 2, v[3:4]
	s_delay_alu instid0(VALU_DEP_1) | instskip(NEXT) | instid1(VALU_DEP_2)
	v_add_co_u32 v3, vcc_lo, s3, v3
	v_add_co_ci_u32_e32 v4, vcc_lo, s4, v4, vcc_lo
	global_load_b32 v1, v[3:4], off
	s_waitcnt vmcnt(0)
	v_cmp_class_f16_e64 s26, v1, 0x204
	s_delay_alu instid0(VALU_DEP_1)
	s_and_saveexec_b32 s25, s26
; %bb.19:                               ;   in Loop: Header=BB5_4 Depth=1
	v_lshrrev_b32_e32 v1, 16, v1
	s_delay_alu instid0(VALU_DEP_1) | instskip(NEXT) | instid1(VALU_DEP_1)
	v_cmp_class_f16_e64 s24, v1, 0x204
	s_and_b32 s24, s24, exec_lo
; %bb.20:                               ;   in Loop: Header=BB5_4 Depth=1
	s_or_b32 exec_lo, exec_lo, s25
	s_delay_alu instid0(SALU_CYCLE_1)
	s_and_b32 s24, s24, exec_lo
.LBB5_21:                               ;   in Loop: Header=BB5_4 Depth=1
	s_or_b32 exec_lo, exec_lo, s23
	s_delay_alu instid0(SALU_CYCLE_1)
	s_and_b32 s23, s24, exec_lo
.LBB5_22:                               ;   in Loop: Header=BB5_4 Depth=1
	s_or_b32 exec_lo, exec_lo, s22
	s_delay_alu instid0(SALU_CYCLE_1)
	s_and_b32 s22, s23, exec_lo
.LBB5_23:                               ;   in Loop: Header=BB5_4 Depth=1
	s_or_b32 exec_lo, exec_lo, s21
	s_delay_alu instid0(SALU_CYCLE_1)
	s_and_b32 s21, s22, exec_lo
.LBB5_24:                               ;   in Loop: Header=BB5_4 Depth=1
	s_or_b32 exec_lo, exec_lo, s20
	s_delay_alu instid0(SALU_CYCLE_1)
	s_and_b32 s20, s21, exec_lo
.LBB5_25:                               ;   in Loop: Header=BB5_4 Depth=1
	s_or_b32 exec_lo, exec_lo, s19
	s_delay_alu instid0(SALU_CYCLE_1)
	s_and_b32 s19, s20, exec_lo
.LBB5_26:                               ;   in Loop: Header=BB5_4 Depth=1
	s_or_b32 exec_lo, exec_lo, s18
	s_delay_alu instid0(SALU_CYCLE_1)
	s_and_b32 s18, s19, exec_lo
.LBB5_27:                               ;   in Loop: Header=BB5_4 Depth=1
	s_or_b32 exec_lo, exec_lo, s17
	s_delay_alu instid0(SALU_CYCLE_1)
	s_and_b32 s17, s18, exec_lo
.LBB5_28:                               ;   in Loop: Header=BB5_4 Depth=1
	s_or_b32 exec_lo, exec_lo, s16
	s_delay_alu instid0(SALU_CYCLE_1)
	s_and_b32 s16, s17, exec_lo
.LBB5_29:                               ;   in Loop: Header=BB5_4 Depth=1
	s_or_b32 exec_lo, exec_lo, s13
	s_delay_alu instid0(SALU_CYCLE_1)
	s_and_b32 s13, s16, exec_lo
.LBB5_30:                               ;   in Loop: Header=BB5_4 Depth=1
	s_or_b32 exec_lo, exec_lo, s12
	s_delay_alu instid0(SALU_CYCLE_1)
	s_and_b32 s12, s13, exec_lo
.LBB5_31:                               ;   in Loop: Header=BB5_4 Depth=1
	s_or_b32 exec_lo, exec_lo, s11
	s_delay_alu instid0(SALU_CYCLE_1)
	s_and_b32 s11, s12, exec_lo
.LBB5_32:                               ;   in Loop: Header=BB5_4 Depth=1
	s_or_b32 exec_lo, exec_lo, s10
	s_delay_alu instid0(SALU_CYCLE_1)
	s_and_b32 s10, s11, exec_lo
.LBB5_33:                               ;   in Loop: Header=BB5_4 Depth=1
	s_or_b32 exec_lo, exec_lo, s8
	v_cndmask_b32_e64 v1, 0, 1, s10
	;;#ASMSTART
	;;#ASMEND
	s_delay_alu instid0(VALU_DEP_1)
	v_cmp_ne_u32_e32 vcc_lo, 0, v1
	s_mov_b32 s8, exec_lo
	s_and_saveexec_b32 s10, s0
	s_cbranch_execz .LBB5_3
; %bb.34:                               ;   in Loop: Header=BB5_4 Depth=1
	s_cmp_eq_u32 vcc_lo, s8
	s_cselect_b32 s8, -1, 0
	s_delay_alu instid0(SALU_CYCLE_1)
	v_cndmask_b32_e64 v1, 0, 1, s8
	ds_store_b32 v5, v1
	s_branch .LBB5_3
.LBB5_35:                               ;   in Loop: Header=BB5_4 Depth=1
                                        ; implicit-def: $sgpr5
	s_cbranch_execz .LBB5_4
.LBB5_36:
	s_mov_b32 s0, exec_lo
	v_cmpx_eq_u32_e32 0, v0
	s_cbranch_execz .LBB5_38
; %bb.37:
	s_mul_i32 s0, s1, s15
	v_dual_mov_b32 v0, 0 :: v_dual_mov_b32 v1, s2
	s_add_i32 s0, s0, s14
	s_delay_alu instid0(SALU_CYCLE_1) | instskip(NEXT) | instid1(SALU_CYCLE_1)
	s_ashr_i32 s1, s0, 31
	s_lshl_b64 s[0:1], s[0:1], 2
	s_delay_alu instid0(SALU_CYCLE_1)
	s_add_u32 s0, s6, s0
	s_addc_u32 s1, s7, s1
	global_store_b32 v0, v1, s[0:1]
.LBB5_38:
	s_nop 0
	s_sendmsg sendmsg(MSG_DEALLOC_VGPRS)
	s_endpgm
	.section	.rodata,"a",@progbits
	.p2align	6, 0x0
	.amdhsa_kernel _ZL25flash_attn_mask_to_KV_maxILi8EEvPK7__half2Piiii
		.amdhsa_group_segment_fixed_size 128
		.amdhsa_private_segment_fixed_size 0
		.amdhsa_kernarg_size 288
		.amdhsa_user_sgpr_count 14
		.amdhsa_user_sgpr_dispatch_ptr 0
		.amdhsa_user_sgpr_queue_ptr 0
		.amdhsa_user_sgpr_kernarg_segment_ptr 1
		.amdhsa_user_sgpr_dispatch_id 0
		.amdhsa_user_sgpr_private_segment_size 0
		.amdhsa_wavefront_size32 1
		.amdhsa_uses_dynamic_stack 0
		.amdhsa_enable_private_segment 0
		.amdhsa_system_sgpr_workgroup_id_x 1
		.amdhsa_system_sgpr_workgroup_id_y 1
		.amdhsa_system_sgpr_workgroup_id_z 0
		.amdhsa_system_sgpr_workgroup_info 0
		.amdhsa_system_vgpr_workitem_id 0
		.amdhsa_next_free_vgpr 9
		.amdhsa_next_free_sgpr 27
		.amdhsa_reserve_vcc 1
		.amdhsa_float_round_mode_32 0
		.amdhsa_float_round_mode_16_64 0
		.amdhsa_float_denorm_mode_32 3
		.amdhsa_float_denorm_mode_16_64 3
		.amdhsa_dx10_clamp 1
		.amdhsa_ieee_mode 1
		.amdhsa_fp16_overflow 0
		.amdhsa_workgroup_processor_mode 1
		.amdhsa_memory_ordered 1
		.amdhsa_forward_progress 0
		.amdhsa_shared_vgpr_count 0
		.amdhsa_exception_fp_ieee_invalid_op 0
		.amdhsa_exception_fp_denorm_src 0
		.amdhsa_exception_fp_ieee_div_zero 0
		.amdhsa_exception_fp_ieee_overflow 0
		.amdhsa_exception_fp_ieee_underflow 0
		.amdhsa_exception_fp_ieee_inexact 0
		.amdhsa_exception_int_div_zero 0
	.end_amdhsa_kernel
	.section	.text._ZL25flash_attn_mask_to_KV_maxILi8EEvPK7__half2Piiii,"axG",@progbits,_ZL25flash_attn_mask_to_KV_maxILi8EEvPK7__half2Piiii,comdat
.Lfunc_end5:
	.size	_ZL25flash_attn_mask_to_KV_maxILi8EEvPK7__half2Piiii, .Lfunc_end5-_ZL25flash_attn_mask_to_KV_maxILi8EEvPK7__half2Piiii
                                        ; -- End function
	.section	.AMDGPU.csdata,"",@progbits
; Kernel info:
; codeLenInByte = 1376
; NumSgprs: 29
; NumVgprs: 9
; ScratchSize: 0
; MemoryBound: 0
; FloatMode: 240
; IeeeMode: 1
; LDSByteSize: 128 bytes/workgroup (compile time only)
; SGPRBlocks: 3
; VGPRBlocks: 1
; NumSGPRsForWavesPerEU: 29
; NumVGPRsForWavesPerEU: 9
; Occupancy: 16
; WaveLimiterHint : 0
; COMPUTE_PGM_RSRC2:SCRATCH_EN: 0
; COMPUTE_PGM_RSRC2:USER_SGPR: 14
; COMPUTE_PGM_RSRC2:TRAP_HANDLER: 0
; COMPUTE_PGM_RSRC2:TGID_X_EN: 1
; COMPUTE_PGM_RSRC2:TGID_Y_EN: 1
; COMPUTE_PGM_RSRC2:TGID_Z_EN: 0
; COMPUTE_PGM_RSRC2:TIDIG_COMP_CNT: 0
	.section	.text._ZL33flash_attn_stream_k_fixup_uniformILi64ELi8ELi4EEvPfPK15HIP_vector_typeIfLj2EEiiiiiiS1_IjLj3EES5_S5_,"axG",@progbits,_ZL33flash_attn_stream_k_fixup_uniformILi64ELi8ELi4EEvPfPK15HIP_vector_typeIfLj2EEiiiiiiS1_IjLj3EES5_S5_,comdat
	.globl	_ZL33flash_attn_stream_k_fixup_uniformILi64ELi8ELi4EEvPfPK15HIP_vector_typeIfLj2EEiiiiiiS1_IjLj3EES5_S5_ ; -- Begin function _ZL33flash_attn_stream_k_fixup_uniformILi64ELi8ELi4EEvPfPK15HIP_vector_typeIfLj2EEiiiiiiS1_IjLj3EES5_S5_
	.p2align	8
	.type	_ZL33flash_attn_stream_k_fixup_uniformILi64ELi8ELi4EEvPfPK15HIP_vector_typeIfLj2EEiiiiiiS1_IjLj3EES5_S5_,@function
_ZL33flash_attn_stream_k_fixup_uniformILi64ELi8ELi4EEvPfPK15HIP_vector_typeIfLj2EEiiiiiiS1_IjLj3EES5_S5_: ; @_ZL33flash_attn_stream_k_fixup_uniformILi64ELi8ELi4EEvPfPK15HIP_vector_typeIfLj2EEiiiiiiS1_IjLj3EES5_S5_
; %bb.0:
	s_clause 0x1
	s_load_b256 s[4:11], s[0:1], 0x1c
	s_load_b128 s[16:19], s[0:1], 0x3c
	s_waitcnt lgkmcnt(0)
	s_mul_hi_u32 s2, s7, s13
	s_delay_alu instid0(SALU_CYCLE_1) | instskip(NEXT) | instid1(SALU_CYCLE_1)
	s_add_i32 s2, s13, s2
	s_lshr_b32 s2, s2, s8
	s_delay_alu instid0(SALU_CYCLE_1) | instskip(SKIP_2) | instid1(SALU_CYCLE_1)
	s_mul_i32 s3, s2, s9
	s_load_b64 s[8:9], s[0:1], 0x10
	s_sub_i32 s7, s13, s3
	s_mul_hi_u32 s3, s7, s10
	s_delay_alu instid0(SALU_CYCLE_1) | instskip(NEXT) | instid1(SALU_CYCLE_1)
	s_add_i32 s3, s7, s3
	s_lshr_b32 s3, s3, s11
	s_delay_alu instid0(SALU_CYCLE_1) | instskip(NEXT) | instid1(SALU_CYCLE_1)
	s_mul_i32 s10, s3, s16
	s_sub_i32 s7, s7, s10
	s_delay_alu instid0(SALU_CYCLE_1) | instskip(NEXT) | instid1(SALU_CYCLE_1)
	s_mul_hi_u32 s10, s7, s17
	s_add_i32 s10, s7, s10
	s_delay_alu instid0(SALU_CYCLE_1) | instskip(NEXT) | instid1(SALU_CYCLE_1)
	s_lshr_b32 s10, s10, s18
	s_mul_i32 s11, s10, s19
	s_lshl_b32 s10, s10, 2
	s_sub_i32 s7, s7, s11
	s_delay_alu instid0(SALU_CYCLE_1) | instskip(NEXT) | instid1(SALU_CYCLE_1)
	s_lshl_b32 s11, s7, 3
	s_add_i32 s11, s11, s14
	s_waitcnt lgkmcnt(0)
	s_cmp_lt_i32 s11, s8
	s_cselect_b32 s11, -1, 0
	s_add_i32 s12, s10, s15
	s_delay_alu instid0(SALU_CYCLE_1) | instskip(SKIP_1) | instid1(SALU_CYCLE_1)
	s_cmp_lt_i32 s12, s5
	s_cselect_b32 s12, -1, 0
	s_and_b32 s11, s11, s12
	s_delay_alu instid0(SALU_CYCLE_1)
	s_and_not1_b32 vcc_lo, exec_lo, s11
	s_cbranch_vccnz .LBB6_6
; %bb.1:
	s_mul_i32 s2, s2, s8
	s_mul_i32 s5, s3, s5
	s_add_i32 s2, s2, s14
	s_mul_i32 s7, s9, s7
	s_mul_i32 s2, s2, s9
	s_lshl_b32 s7, s7, 9
	s_add_i32 s8, s2, s15
	s_load_b128 s[0:3], s[0:1], 0x0
	s_add_i32 s5, s8, s5
	s_lshl_b32 s9, s14, 2
	s_add_i32 s5, s5, s10
	s_delay_alu instid0(SALU_CYCLE_1) | instskip(NEXT) | instid1(SALU_CYCLE_1)
	s_lshl_b32 s5, s5, 6
	s_add_i32 s7, s7, s5
	s_mul_i32 s5, s13, s6
	v_or_b32_e32 v1, s7, v0
	s_add_i32 s10, s5, s6
	s_delay_alu instid0(VALU_DEP_1) | instskip(NEXT) | instid1(VALU_DEP_1)
	v_ashrrev_i32_e32 v2, 31, v1
	v_lshlrev_b64 v[1:2], 2, v[1:2]
	s_waitcnt lgkmcnt(0)
	s_delay_alu instid0(VALU_DEP_1) | instskip(NEXT) | instid1(VALU_DEP_2)
	v_add_co_u32 v1, vcc_lo, s0, v1
	v_add_co_ci_u32_e32 v2, vcc_lo, s1, v2, vcc_lo
	s_add_i32 s0, s9, s15
	s_lshl_b32 s1, s10, 5
	s_delay_alu instid0(SALU_CYCLE_1) | instskip(SKIP_2) | instid1(SALU_CYCLE_1)
	s_add_i32 s0, s0, s1
	global_load_b32 v5, v[1:2], off
	s_sub_i32 s0, s0, 32
	s_ashr_i32 s1, s0, 31
	s_delay_alu instid0(SALU_CYCLE_1) | instskip(NEXT) | instid1(SALU_CYCLE_1)
	s_lshl_b64 s[0:1], s[0:1], 3
	s_add_u32 s0, s2, s0
	s_addc_u32 s1, s3, s1
	s_add_i32 s7, s10, -2
	s_load_b32 s11, s[0:1], 0x4
	s_cmp_lt_i32 s7, s5
	s_cbranch_scc1 .LBB6_4
; %bb.2:
	s_lshl_b32 s16, s4, 7
	s_load_b32 s12, s[0:1], 0x0
	s_ashr_i32 s17, s16, 31
	s_delay_alu instid0(SALU_CYCLE_1) | instskip(NEXT) | instid1(SALU_CYCLE_1)
	s_lshl_b64 s[0:1], s[16:17], 2
	s_add_u32 s7, s2, s0
	s_addc_u32 s8, s3, s1
	s_add_i32 s13, s13, 1
	s_lshl_b32 s0, s14, 8
	s_lshl_b32 s1, s15, 6
	s_mul_i32 s6, s6, s13
	s_add_i32 s0, s1, s0
	s_lshl_b32 s1, s6, 11
	s_delay_alu instid0(SALU_CYCLE_1)
	s_add_i32 s0, s0, s1
	s_lshl_b32 s1, s6, 5
	v_or_b32_e32 v0, s0, v0
	s_lshl_b32 s0, s4, 5
	s_add_i32 s1, s15, s1
	s_waitcnt lgkmcnt(0)
	v_mov_b32_e32 v6, s11
	s_add_i32 s0, s1, s0
	v_dual_mov_b32 v0, s12 :: v_dual_add_nc_u32 v3, 0xfffff000, v0
	s_add_i32 s0, s0, s9
	s_add_i32 s4, s10, -1
	s_sub_i32 s0, s0, 64
.LBB6_3:                                ; =>This Inner Loop Header: Depth=1
	s_delay_alu instid0(VALU_DEP_1) | instskip(SKIP_1) | instid1(SALU_CYCLE_1)
	v_ashrrev_i32_e32 v4, 31, v3
	s_ashr_i32 s1, s0, 31
	s_lshl_b64 s[10:11], s[0:1], 3
	s_delay_alu instid0(SALU_CYCLE_1) | instskip(NEXT) | instid1(VALU_DEP_1)
	s_add_u32 s10, s2, s10
	v_lshlrev_b64 v[7:8], 2, v[3:4]
	s_addc_u32 s11, s3, s11
	s_add_i32 s4, s4, -1
	s_sub_i32 s0, s0, 32
	s_cmp_le_i32 s4, s5
	s_load_b64 s[10:11], s[10:11], 0x0
	v_add_co_u32 v7, vcc_lo, s7, v7
	v_add_co_ci_u32_e32 v8, vcc_lo, s8, v8, vcc_lo
	global_load_b32 v4, v[7:8], off
	v_max_f32_e32 v7, v0, v0
	s_waitcnt lgkmcnt(0)
	v_max_f32_e64 v8, s10, s10
	s_delay_alu instid0(VALU_DEP_1) | instskip(NEXT) | instid1(VALU_DEP_1)
	v_max_f32_e32 v7, v7, v8
	v_sub_f32_e32 v8, s10, v7
	s_delay_alu instid0(VALU_DEP_1) | instskip(NEXT) | instid1(VALU_DEP_1)
	v_dual_sub_f32 v0, v0, v7 :: v_dual_mul_f32 v9, 0x3fb8aa3b, v8
	v_fma_f32 v10, 0x3fb8aa3b, v8, -v9
	v_rndne_f32_e32 v11, v9
	s_delay_alu instid0(VALU_DEP_3) | instskip(NEXT) | instid1(VALU_DEP_2)
	v_mul_f32_e32 v12, 0x3fb8aa3b, v0
	v_dual_fmac_f32 v10, 0x32a5705f, v8 :: v_dual_sub_f32 v9, v9, v11
	v_cvt_i32_f32_e32 v11, v11
	s_delay_alu instid0(VALU_DEP_3) | instskip(SKIP_1) | instid1(VALU_DEP_4)
	v_fma_f32 v13, 0x3fb8aa3b, v0, -v12
	v_rndne_f32_e32 v14, v12
	v_add_f32_e32 v9, v9, v10
	v_cmp_ngt_f32_e32 vcc_lo, 0xc2ce8ed0, v8
	s_delay_alu instid0(VALU_DEP_3) | instskip(NEXT) | instid1(VALU_DEP_3)
	v_sub_f32_e32 v10, v12, v14
	v_exp_f32_e32 v9, v9
	s_waitcnt_depctr 0xfff
	v_ldexp_f32 v9, v9, v11
	v_cvt_i32_f32_e32 v11, v14
	s_delay_alu instid0(VALU_DEP_2) | instskip(SKIP_1) | instid1(VALU_DEP_2)
	v_cndmask_b32_e32 v9, 0, v9, vcc_lo
	v_cmp_nlt_f32_e32 vcc_lo, 0x42b17218, v8
	v_cndmask_b32_e32 v9, 0x7f800000, v9, vcc_lo
	v_cmp_ngt_f32_e32 vcc_lo, 0xc2ce8ed0, v0
	v_fmac_f32_e32 v13, 0x32a5705f, v0
	s_delay_alu instid0(VALU_DEP_1) | instskip(NEXT) | instid1(VALU_DEP_1)
	v_add_f32_e32 v10, v10, v13
	v_exp_f32_e32 v10, v10
	s_waitcnt_depctr 0xfff
	v_ldexp_f32 v10, v10, v11
	s_delay_alu instid0(VALU_DEP_1)
	v_dual_mov_b32 v11, v6 :: v_dual_cndmask_b32 v10, 0, v10
	v_cmp_le_f32_e32 vcc_lo, 0xc1a00000, v8
	s_waitcnt vmcnt(1)
	v_dual_cndmask_b32 v8, 0, v9 :: v_dual_mov_b32 v9, v5
	v_cmp_nlt_f32_e32 vcc_lo, 0x42b17218, v0
	v_cndmask_b32_e32 v5, 0x7f800000, v10, vcc_lo
	s_delay_alu instid0(VALU_DEP_3) | instskip(SKIP_2) | instid1(VALU_DEP_3)
	v_mul_f32_e32 v10, s11, v8
	v_cmp_le_f32_e32 vcc_lo, 0xc1a00000, v0
	v_mov_b32_e32 v0, v7
	v_mov_b32_e32 v6, v10
	s_waitcnt vmcnt(0)
	v_dual_cndmask_b32 v12, 0, v5 :: v_dual_mul_f32 v5, v4, v8
	s_delay_alu instid0(VALU_DEP_1) | instskip(NEXT) | instid1(VALU_DEP_2)
	v_dual_fmac_f32 v6, v11, v12 :: v_dual_add_nc_u32 v3, 0xfffff800, v3
	v_fmac_f32_e32 v5, v9, v12
	s_cbranch_scc0 .LBB6_3
	s_branch .LBB6_5
.LBB6_4:
	s_waitcnt lgkmcnt(0)
	v_mov_b32_e32 v6, s11
.LBB6_5:
	s_waitcnt vmcnt(0)
	s_delay_alu instid0(VALU_DEP_1) | instskip(NEXT) | instid1(VALU_DEP_1)
	v_div_scale_f32 v0, null, v6, v6, v5
	v_rcp_f32_e32 v3, v0
	s_waitcnt_depctr 0xfff
	v_fma_f32 v4, -v0, v3, 1.0
	s_delay_alu instid0(VALU_DEP_1) | instskip(SKIP_1) | instid1(VALU_DEP_1)
	v_fmac_f32_e32 v3, v4, v3
	v_div_scale_f32 v4, vcc_lo, v5, v6, v5
	v_mul_f32_e32 v7, v4, v3
	s_delay_alu instid0(VALU_DEP_1) | instskip(NEXT) | instid1(VALU_DEP_1)
	v_fma_f32 v8, -v0, v7, v4
	v_fmac_f32_e32 v7, v8, v3
	s_delay_alu instid0(VALU_DEP_1) | instskip(NEXT) | instid1(VALU_DEP_1)
	v_fma_f32 v0, -v0, v7, v4
	v_div_fmas_f32 v0, v0, v3, v7
	s_delay_alu instid0(VALU_DEP_1)
	v_div_fixup_f32 v0, v0, v6, v5
	global_store_b32 v[1:2], v0, off
.LBB6_6:
	s_nop 0
	s_sendmsg sendmsg(MSG_DEALLOC_VGPRS)
	s_endpgm
	.section	.rodata,"a",@progbits
	.p2align	6, 0x0
	.amdhsa_kernel _ZL33flash_attn_stream_k_fixup_uniformILi64ELi8ELi4EEvPfPK15HIP_vector_typeIfLj2EEiiiiiiS1_IjLj3EES5_S5_
		.amdhsa_group_segment_fixed_size 0
		.amdhsa_private_segment_fixed_size 0
		.amdhsa_kernarg_size 76
		.amdhsa_user_sgpr_count 13
		.amdhsa_user_sgpr_dispatch_ptr 0
		.amdhsa_user_sgpr_queue_ptr 0
		.amdhsa_user_sgpr_kernarg_segment_ptr 1
		.amdhsa_user_sgpr_dispatch_id 0
		.amdhsa_user_sgpr_private_segment_size 0
		.amdhsa_wavefront_size32 1
		.amdhsa_uses_dynamic_stack 0
		.amdhsa_enable_private_segment 0
		.amdhsa_system_sgpr_workgroup_id_x 1
		.amdhsa_system_sgpr_workgroup_id_y 1
		.amdhsa_system_sgpr_workgroup_id_z 1
		.amdhsa_system_sgpr_workgroup_info 0
		.amdhsa_system_vgpr_workitem_id 0
		.amdhsa_next_free_vgpr 15
		.amdhsa_next_free_sgpr 20
		.amdhsa_reserve_vcc 1
		.amdhsa_float_round_mode_32 0
		.amdhsa_float_round_mode_16_64 0
		.amdhsa_float_denorm_mode_32 3
		.amdhsa_float_denorm_mode_16_64 3
		.amdhsa_dx10_clamp 1
		.amdhsa_ieee_mode 1
		.amdhsa_fp16_overflow 0
		.amdhsa_workgroup_processor_mode 1
		.amdhsa_memory_ordered 1
		.amdhsa_forward_progress 0
		.amdhsa_shared_vgpr_count 0
		.amdhsa_exception_fp_ieee_invalid_op 0
		.amdhsa_exception_fp_denorm_src 0
		.amdhsa_exception_fp_ieee_div_zero 0
		.amdhsa_exception_fp_ieee_overflow 0
		.amdhsa_exception_fp_ieee_underflow 0
		.amdhsa_exception_fp_ieee_inexact 0
		.amdhsa_exception_int_div_zero 0
	.end_amdhsa_kernel
	.section	.text._ZL33flash_attn_stream_k_fixup_uniformILi64ELi8ELi4EEvPfPK15HIP_vector_typeIfLj2EEiiiiiiS1_IjLj3EES5_S5_,"axG",@progbits,_ZL33flash_attn_stream_k_fixup_uniformILi64ELi8ELi4EEvPfPK15HIP_vector_typeIfLj2EEiiiiiiS1_IjLj3EES5_S5_,comdat
.Lfunc_end6:
	.size	_ZL33flash_attn_stream_k_fixup_uniformILi64ELi8ELi4EEvPfPK15HIP_vector_typeIfLj2EEiiiiiiS1_IjLj3EES5_S5_, .Lfunc_end6-_ZL33flash_attn_stream_k_fixup_uniformILi64ELi8ELi4EEvPfPK15HIP_vector_typeIfLj2EEiiiiiiS1_IjLj3EES5_S5_
                                        ; -- End function
	.section	.AMDGPU.csdata,"",@progbits
; Kernel info:
; codeLenInByte = 996
; NumSgprs: 22
; NumVgprs: 15
; ScratchSize: 0
; MemoryBound: 0
; FloatMode: 240
; IeeeMode: 1
; LDSByteSize: 0 bytes/workgroup (compile time only)
; SGPRBlocks: 2
; VGPRBlocks: 1
; NumSGPRsForWavesPerEU: 22
; NumVGPRsForWavesPerEU: 15
; Occupancy: 16
; WaveLimiterHint : 0
; COMPUTE_PGM_RSRC2:SCRATCH_EN: 0
; COMPUTE_PGM_RSRC2:USER_SGPR: 13
; COMPUTE_PGM_RSRC2:TRAP_HANDLER: 0
; COMPUTE_PGM_RSRC2:TGID_X_EN: 1
; COMPUTE_PGM_RSRC2:TGID_Y_EN: 1
; COMPUTE_PGM_RSRC2:TGID_Z_EN: 1
; COMPUTE_PGM_RSRC2:TIDIG_COMP_CNT: 0
	.section	.text._ZL33flash_attn_stream_k_fixup_generalILi64ELi8ELi4EEvPfPK15HIP_vector_typeIfLj2EEiiiiS1_IjLj3EES5_S5_S5_,"axG",@progbits,_ZL33flash_attn_stream_k_fixup_generalILi64ELi8ELi4EEvPfPK15HIP_vector_typeIfLj2EEiiiiS1_IjLj3EES5_S5_S5_,comdat
	.globl	_ZL33flash_attn_stream_k_fixup_generalILi64ELi8ELi4EEvPfPK15HIP_vector_typeIfLj2EEiiiiS1_IjLj3EES5_S5_S5_ ; -- Begin function _ZL33flash_attn_stream_k_fixup_generalILi64ELi8ELi4EEvPfPK15HIP_vector_typeIfLj2EEiiiiS1_IjLj3EES5_S5_S5_
	.p2align	8
	.type	_ZL33flash_attn_stream_k_fixup_generalILi64ELi8ELi4EEvPfPK15HIP_vector_typeIfLj2EEiiiiS1_IjLj3EES5_S5_S5_,@function
_ZL33flash_attn_stream_k_fixup_generalILi64ELi8ELi4EEvPfPK15HIP_vector_typeIfLj2EEiiiiS1_IjLj3EES5_S5_S5_: ; @_ZL33flash_attn_stream_k_fixup_generalILi64ELi8ELi4EEvPfPK15HIP_vector_typeIfLj2EEiiiiS1_IjLj3EES5_S5_S5_
; %bb.0:
	s_clause 0x1
	s_load_b128 s[4:7], s[0:1], 0x10
	s_load_b32 s20, s[0:1], 0x50
	s_mov_b32 s2, 0
	s_waitcnt lgkmcnt(0)
	s_mul_hi_i32 s3, s7, s13
	s_mul_i32 s12, s7, s13
	s_cmp_lg_u64 s[2:3], 0
	s_cbranch_scc0 .LBB7_21
; %bb.1:
	v_cvt_f32_ubyte0_e32 v1, 0
	v_cvt_f32_u32_e32 v2, s20
	s_sub_u32 s10, 0, s20
	s_subb_u32 s11, 0, 0
	s_delay_alu instid0(VALU_DEP_1) | instskip(NEXT) | instid1(VALU_DEP_1)
	v_fmamk_f32 v1, v1, 0x4f800000, v2
	v_rcp_f32_e32 v1, v1
	s_waitcnt_depctr 0xfff
	v_mul_f32_e32 v1, 0x5f7ffffc, v1
	s_delay_alu instid0(VALU_DEP_1) | instskip(NEXT) | instid1(VALU_DEP_1)
	v_mul_f32_e32 v2, 0x2f800000, v1
	v_trunc_f32_e32 v2, v2
	s_delay_alu instid0(VALU_DEP_1) | instskip(SKIP_1) | instid1(VALU_DEP_2)
	v_fmamk_f32 v1, v2, 0xcf800000, v1
	v_cvt_u32_f32_e32 v2, v2
	v_cvt_u32_f32_e32 v1, v1
	s_delay_alu instid0(VALU_DEP_2) | instskip(NEXT) | instid1(VALU_DEP_2)
	v_readfirstlane_b32 s8, v2
	v_readfirstlane_b32 s9, v1
	s_delay_alu instid0(VALU_DEP_2) | instskip(NEXT) | instid1(VALU_DEP_1)
	s_mul_i32 s16, s10, s8
	s_mul_hi_u32 s18, s10, s9
	s_mul_i32 s17, s11, s9
	s_add_i32 s16, s18, s16
	s_mul_i32 s19, s10, s9
	s_add_i32 s16, s16, s17
	s_mul_hi_u32 s18, s9, s19
	s_mul_hi_u32 s21, s8, s19
	s_mul_i32 s17, s8, s19
	s_mul_hi_u32 s19, s9, s16
	s_mul_i32 s9, s9, s16
	s_mul_hi_u32 s22, s8, s16
	s_add_u32 s9, s18, s9
	s_addc_u32 s18, 0, s19
	s_add_u32 s9, s9, s17
	s_mul_i32 s16, s8, s16
	s_addc_u32 s9, s18, s21
	s_addc_u32 s17, s22, 0
	s_add_u32 s9, s9, s16
	s_addc_u32 s16, 0, s17
	v_add_co_u32 v1, s9, v1, s9
	s_delay_alu instid0(VALU_DEP_1) | instskip(SKIP_1) | instid1(VALU_DEP_1)
	s_cmp_lg_u32 s9, 0
	s_addc_u32 s8, s8, s16
	v_readfirstlane_b32 s9, v1
	s_mul_i32 s16, s10, s8
	s_delay_alu instid0(VALU_DEP_1)
	s_mul_hi_u32 s17, s10, s9
	s_mul_i32 s11, s11, s9
	s_add_i32 s16, s17, s16
	s_mul_i32 s10, s10, s9
	s_add_i32 s16, s16, s11
	s_mul_hi_u32 s17, s8, s10
	s_mul_i32 s18, s8, s10
	s_mul_hi_u32 s10, s9, s10
	s_mul_hi_u32 s19, s9, s16
	s_mul_i32 s9, s9, s16
	s_mul_hi_u32 s11, s8, s16
	s_add_u32 s9, s10, s9
	s_addc_u32 s10, 0, s19
	s_add_u32 s9, s9, s18
	s_mul_i32 s16, s8, s16
	s_addc_u32 s9, s10, s17
	s_addc_u32 s10, s11, 0
	s_add_u32 s9, s9, s16
	s_addc_u32 s10, 0, s10
	v_add_co_u32 v1, s9, v1, s9
	s_delay_alu instid0(VALU_DEP_1) | instskip(SKIP_2) | instid1(SALU_CYCLE_1)
	s_cmp_lg_u32 s9, 0
	s_addc_u32 s16, s8, s10
	s_ashr_i32 s8, s3, 31
	s_add_u32 s10, s12, s8
	s_addc_u32 s11, s3, s8
	v_readfirstlane_b32 s3, v1
	s_mov_b32 s9, s8
	s_delay_alu instid0(SALU_CYCLE_1) | instskip(NEXT) | instid1(SALU_CYCLE_1)
	s_xor_b64 s[10:11], s[10:11], s[8:9]
	s_mul_i32 s18, s10, s16
	s_delay_alu instid0(VALU_DEP_1)
	s_mul_hi_u32 s19, s10, s3
	s_mul_hi_u32 s17, s10, s16
	;; [unrolled: 1-line block ×3, first 2 shown]
	s_mul_i32 s3, s11, s3
	s_add_u32 s18, s19, s18
	s_addc_u32 s17, 0, s17
	s_mul_hi_u32 s21, s11, s16
	s_add_u32 s3, s18, s3
	s_mul_i32 s16, s11, s16
	s_addc_u32 s3, s17, s22
	s_addc_u32 s17, s21, 0
	s_add_u32 s3, s3, s16
	s_addc_u32 s16, 0, s17
	s_mul_i32 s18, s20, s3
	s_add_u32 s17, s3, 1
	v_sub_co_u32 v1, s10, s10, s18
	s_mul_hi_u32 s18, s20, s3
	s_addc_u32 s19, s16, 0
	s_mul_i32 s21, s20, s16
	s_delay_alu instid0(VALU_DEP_1)
	v_sub_co_u32 v2, s22, v1, s20
	s_add_u32 s23, s3, 2
	s_addc_u32 s24, s16, 0
	s_add_i32 s18, s18, s21
	s_cmp_lg_u32 s10, 0
	v_readfirstlane_b32 s10, v2
	s_subb_u32 s11, s11, s18
	s_cmp_lg_u32 s22, 0
	s_subb_u32 s18, s11, 0
	s_delay_alu instid0(VALU_DEP_1) | instskip(SKIP_4) | instid1(SALU_CYCLE_1)
	s_cmp_ge_u32 s10, s20
	s_cselect_b32 s10, -1, 0
	s_cmp_eq_u32 s18, 0
	v_readfirstlane_b32 s18, v1
	s_cselect_b32 s10, s10, -1
	s_cmp_lg_u32 s10, 0
	s_cselect_b32 s10, s23, s17
	s_cselect_b32 s17, s24, s19
	s_cmp_ge_u32 s18, s20
	s_cselect_b32 s18, -1, 0
	s_cmp_eq_u32 s11, 0
	s_cselect_b32 s11, s18, -1
	s_delay_alu instid0(SALU_CYCLE_1) | instskip(SKIP_2) | instid1(SALU_CYCLE_1)
	s_cmp_lg_u32 s11, 0
	s_cselect_b32 s11, s17, s16
	s_cselect_b32 s10, s10, s3
	s_xor_b64 s[10:11], s[10:11], s[8:9]
	s_delay_alu instid0(SALU_CYCLE_1)
	s_sub_u32 s16, s10, s8
	s_load_b128 s[8:11], s[0:1], 0x44
	s_and_not1_b32 vcc_lo, exec_lo, s2
	s_cbranch_vccnz .LBB7_3
.LBB7_2:
	v_cvt_f32_u32_e32 v1, s20
	s_sub_i32 s3, 0, s20
	s_delay_alu instid0(VALU_DEP_1) | instskip(SKIP_2) | instid1(VALU_DEP_1)
	v_rcp_iflag_f32_e32 v1, v1
	s_waitcnt_depctr 0xfff
	v_mul_f32_e32 v1, 0x4f7ffffe, v1
	v_cvt_u32_f32_e32 v1, v1
	s_delay_alu instid0(VALU_DEP_1) | instskip(NEXT) | instid1(VALU_DEP_1)
	v_readfirstlane_b32 s2, v1
	s_mul_i32 s3, s3, s2
	s_delay_alu instid0(SALU_CYCLE_1) | instskip(NEXT) | instid1(SALU_CYCLE_1)
	s_mul_hi_u32 s3, s2, s3
	s_add_i32 s2, s2, s3
	s_delay_alu instid0(SALU_CYCLE_1) | instskip(NEXT) | instid1(SALU_CYCLE_1)
	s_mul_hi_u32 s2, s12, s2
	s_mul_i32 s3, s2, s20
	s_waitcnt lgkmcnt(0)
	s_add_i32 s11, s2, 1
	s_sub_i32 s3, s12, s3
	s_delay_alu instid0(SALU_CYCLE_1)
	s_sub_i32 s12, s3, s20
	s_cmp_ge_u32 s3, s20
	s_cselect_b32 s2, s11, s2
	s_cselect_b32 s3, s12, s3
	s_add_i32 s11, s2, 1
	s_cmp_ge_u32 s3, s20
	s_cselect_b32 s16, s11, s2
.LBB7_3:
	s_waitcnt lgkmcnt(0)
	s_add_i32 s11, s13, 1
	s_mov_b32 s2, 0
	s_mul_hi_i32 s3, s7, s11
	s_mul_i32 s11, s7, s11
	s_cmp_lg_u64 s[2:3], 0
	s_cbranch_scc0 .LBB7_22
; %bb.4:
	v_cvt_f32_ubyte0_e32 v1, 0
	v_cvt_f32_u32_e32 v2, s20
	s_sub_u32 s18, 0, s20
	s_subb_u32 s19, 0, 0
	s_delay_alu instid0(VALU_DEP_1) | instskip(NEXT) | instid1(VALU_DEP_1)
	v_fmamk_f32 v1, v1, 0x4f800000, v2
	v_rcp_f32_e32 v1, v1
	s_waitcnt_depctr 0xfff
	v_mul_f32_e32 v1, 0x5f7ffffc, v1
	s_delay_alu instid0(VALU_DEP_1) | instskip(NEXT) | instid1(VALU_DEP_1)
	v_mul_f32_e32 v2, 0x2f800000, v1
	v_trunc_f32_e32 v2, v2
	s_delay_alu instid0(VALU_DEP_1) | instskip(SKIP_1) | instid1(VALU_DEP_2)
	v_fmamk_f32 v1, v2, 0xcf800000, v1
	v_cvt_u32_f32_e32 v2, v2
	v_cvt_u32_f32_e32 v1, v1
	s_delay_alu instid0(VALU_DEP_2) | instskip(NEXT) | instid1(VALU_DEP_2)
	v_readfirstlane_b32 s12, v2
	v_readfirstlane_b32 s17, v1
	s_delay_alu instid0(VALU_DEP_2) | instskip(NEXT) | instid1(VALU_DEP_1)
	s_mul_i32 s21, s18, s12
	s_mul_hi_u32 s23, s18, s17
	s_mul_i32 s22, s19, s17
	s_add_i32 s21, s23, s21
	s_mul_i32 s24, s18, s17
	s_add_i32 s21, s21, s22
	s_mul_hi_u32 s23, s17, s24
	s_mul_hi_u32 s25, s12, s24
	s_mul_i32 s22, s12, s24
	s_mul_hi_u32 s24, s17, s21
	s_mul_i32 s17, s17, s21
	s_mul_hi_u32 s26, s12, s21
	s_add_u32 s17, s23, s17
	s_addc_u32 s23, 0, s24
	s_add_u32 s17, s17, s22
	s_mul_i32 s21, s12, s21
	s_addc_u32 s17, s23, s25
	s_addc_u32 s22, s26, 0
	s_add_u32 s17, s17, s21
	s_addc_u32 s21, 0, s22
	v_add_co_u32 v1, s17, v1, s17
	s_delay_alu instid0(VALU_DEP_1) | instskip(SKIP_1) | instid1(VALU_DEP_1)
	s_cmp_lg_u32 s17, 0
	s_addc_u32 s12, s12, s21
	v_readfirstlane_b32 s17, v1
	s_mul_i32 s21, s18, s12
	s_delay_alu instid0(VALU_DEP_1)
	s_mul_hi_u32 s22, s18, s17
	s_mul_i32 s19, s19, s17
	s_add_i32 s21, s22, s21
	s_mul_i32 s18, s18, s17
	s_add_i32 s21, s21, s19
	s_mul_hi_u32 s22, s12, s18
	s_mul_i32 s23, s12, s18
	s_mul_hi_u32 s18, s17, s18
	s_mul_hi_u32 s24, s17, s21
	s_mul_i32 s17, s17, s21
	s_mul_hi_u32 s19, s12, s21
	s_add_u32 s17, s18, s17
	s_addc_u32 s18, 0, s24
	s_add_u32 s17, s17, s23
	s_mul_i32 s21, s12, s21
	s_addc_u32 s17, s18, s22
	s_addc_u32 s18, s19, 0
	s_add_u32 s17, s17, s21
	s_addc_u32 s18, 0, s18
	v_add_co_u32 v1, s17, v1, s17
	s_delay_alu instid0(VALU_DEP_1) | instskip(SKIP_2) | instid1(SALU_CYCLE_1)
	s_cmp_lg_u32 s17, 0
	s_addc_u32 s12, s12, s18
	s_ashr_i32 s18, s3, 31
	s_add_u32 s22, s11, s18
	s_addc_u32 s23, s3, s18
	v_readfirstlane_b32 s3, v1
	s_mov_b32 s19, s18
	s_delay_alu instid0(SALU_CYCLE_1) | instskip(NEXT) | instid1(SALU_CYCLE_1)
	s_xor_b64 s[22:23], s[22:23], s[18:19]
	s_mul_i32 s21, s22, s12
	s_delay_alu instid0(VALU_DEP_1)
	s_mul_hi_u32 s24, s22, s3
	s_mul_hi_u32 s17, s22, s12
	;; [unrolled: 1-line block ×3, first 2 shown]
	s_mul_i32 s3, s23, s3
	s_add_u32 s21, s24, s21
	s_addc_u32 s17, 0, s17
	s_mul_hi_u32 s25, s23, s12
	s_add_u32 s3, s21, s3
	s_mul_i32 s12, s23, s12
	s_addc_u32 s3, s17, s26
	s_addc_u32 s17, s25, 0
	s_add_u32 s3, s3, s12
	s_addc_u32 s12, 0, s17
	s_mul_i32 s21, s20, s3
	s_add_u32 s17, s3, 1
	v_sub_co_u32 v1, s21, s22, s21
	s_mul_hi_u32 s22, s20, s3
	s_addc_u32 s24, s12, 0
	s_mul_i32 s25, s20, s12
	s_delay_alu instid0(VALU_DEP_1)
	v_sub_co_u32 v2, s26, v1, s20
	s_add_u32 s27, s3, 2
	s_addc_u32 s28, s12, 0
	s_add_i32 s22, s22, s25
	s_cmp_lg_u32 s21, 0
	v_readfirstlane_b32 s21, v2
	s_subb_u32 s22, s23, s22
	s_cmp_lg_u32 s26, 0
	s_subb_u32 s23, s22, 0
	s_delay_alu instid0(VALU_DEP_1) | instskip(SKIP_4) | instid1(SALU_CYCLE_1)
	s_cmp_ge_u32 s21, s20
	s_cselect_b32 s21, -1, 0
	s_cmp_eq_u32 s23, 0
	v_readfirstlane_b32 s23, v1
	s_cselect_b32 s21, s21, -1
	s_cmp_lg_u32 s21, 0
	s_cselect_b32 s17, s27, s17
	s_cselect_b32 s21, s28, s24
	s_cmp_ge_u32 s23, s20
	s_cselect_b32 s23, -1, 0
	s_cmp_eq_u32 s22, 0
	s_cselect_b32 s22, s23, -1
	s_delay_alu instid0(SALU_CYCLE_1) | instskip(SKIP_2) | instid1(SALU_CYCLE_1)
	s_cmp_lg_u32 s22, 0
	s_cselect_b32 s23, s21, s12
	s_cselect_b32 s22, s17, s3
	s_xor_b64 s[22:23], s[22:23], s[18:19]
	s_delay_alu instid0(SALU_CYCLE_1)
	s_sub_u32 s18, s22, s18
	s_and_not1_b32 vcc_lo, exec_lo, s2
	s_cbranch_vccnz .LBB7_6
.LBB7_5:
	v_cvt_f32_u32_e32 v1, s20
	s_sub_i32 s3, 0, s20
	s_delay_alu instid0(VALU_DEP_1) | instskip(SKIP_2) | instid1(VALU_DEP_1)
	v_rcp_iflag_f32_e32 v1, v1
	s_waitcnt_depctr 0xfff
	v_mul_f32_e32 v1, 0x4f7ffffe, v1
	v_cvt_u32_f32_e32 v1, v1
	s_delay_alu instid0(VALU_DEP_1) | instskip(NEXT) | instid1(VALU_DEP_1)
	v_readfirstlane_b32 s2, v1
	s_mul_i32 s3, s3, s2
	s_delay_alu instid0(SALU_CYCLE_1) | instskip(NEXT) | instid1(SALU_CYCLE_1)
	s_mul_hi_u32 s3, s2, s3
	s_add_i32 s2, s2, s3
	s_delay_alu instid0(SALU_CYCLE_1) | instskip(NEXT) | instid1(SALU_CYCLE_1)
	s_mul_hi_u32 s2, s11, s2
	s_mul_i32 s3, s2, s20
	s_delay_alu instid0(SALU_CYCLE_1)
	s_sub_i32 s3, s11, s3
	s_add_i32 s11, s2, 1
	s_sub_i32 s12, s3, s20
	s_cmp_ge_u32 s3, s20
	s_cselect_b32 s2, s11, s2
	s_cselect_b32 s3, s12, s3
	s_add_i32 s11, s2, 1
	s_cmp_ge_u32 s3, s20
	s_cselect_b32 s18, s11, s2
.LBB7_6:
	s_delay_alu instid0(SALU_CYCLE_1) | instskip(SKIP_3) | instid1(SALU_CYCLE_1)
	s_cmp_eq_u32 s16, s18
	s_mul_hi_u32 s2, s16, s8
	s_cselect_b32 s3, -1, 0
	s_add_i32 s2, s2, s16
	s_lshr_b32 s11, s2, s9
	s_delay_alu instid0(SALU_CYCLE_1) | instskip(NEXT) | instid1(SALU_CYCLE_1)
	s_mul_i32 s2, s11, s10
	s_cmp_eq_u32 s2, s16
	s_mul_hi_u32 s2, s18, s8
	s_cselect_b32 s12, -1, 0
	s_add_i32 s2, s2, s18
	s_delay_alu instid0(SALU_CYCLE_1) | instskip(NEXT) | instid1(SALU_CYCLE_1)
	s_lshr_b32 s2, s2, s9
	s_cmp_eq_u32 s11, s2
	s_mul_i32 s2, s2, s10
	s_cselect_b32 s17, -1, 0
	s_cmp_lg_u32 s2, s18
	s_cselect_b32 s2, -1, 0
	s_or_b32 s3, s3, s12
	s_and_b32 s2, s17, s2
	s_delay_alu instid0(SALU_CYCLE_1) | instskip(NEXT) | instid1(SALU_CYCLE_1)
	s_or_b32 s2, s3, s2
	s_and_b32 vcc_lo, exec_lo, s2
	s_cbranch_vccnz .LBB7_24
; %bb.7:
	s_load_b256 s[24:31], s[0:1], 0x20
	s_waitcnt lgkmcnt(0)
	s_mul_hi_u32 s2, s16, s24
	s_delay_alu instid0(SALU_CYCLE_1) | instskip(NEXT) | instid1(SALU_CYCLE_1)
	s_add_i32 s2, s2, s16
	s_lshr_b32 s17, s2, s25
	s_load_b32 s2, s[0:1], 0x40
	s_mul_i32 s3, s17, s26
	s_delay_alu instid0(SALU_CYCLE_1) | instskip(NEXT) | instid1(SALU_CYCLE_1)
	s_sub_i32 s3, s16, s3
	s_mul_hi_u32 s12, s3, s27
	s_delay_alu instid0(SALU_CYCLE_1) | instskip(NEXT) | instid1(SALU_CYCLE_1)
	s_add_i32 s12, s3, s12
	s_lshr_b32 s21, s12, s28
	s_delay_alu instid0(SALU_CYCLE_1) | instskip(NEXT) | instid1(SALU_CYCLE_1)
	s_mul_i32 s12, s21, s29
	s_sub_i32 s3, s3, s12
	s_delay_alu instid0(SALU_CYCLE_1) | instskip(NEXT) | instid1(SALU_CYCLE_1)
	s_mul_hi_u32 s12, s3, s30
	s_add_i32 s12, s3, s12
	s_delay_alu instid0(SALU_CYCLE_1)
	s_lshr_b32 s12, s12, s31
	s_waitcnt lgkmcnt(0)
	s_mul_i32 s2, s12, s2
	s_lshl_b32 s23, s12, 2
	s_sub_i32 s2, s3, s2
	s_mov_b32 s12, 0
	s_mul_hi_u32 s3, s2, s8
	s_delay_alu instid0(SALU_CYCLE_1) | instskip(NEXT) | instid1(SALU_CYCLE_1)
	s_add_i32 s2, s2, s3
	s_lshr_b32 s22, s2, s9
	s_delay_alu instid0(SALU_CYCLE_1) | instskip(NEXT) | instid1(SALU_CYCLE_1)
	s_lshl_b32 s2, s22, 3
	s_add_i32 s2, s2, s14
	s_delay_alu instid0(SALU_CYCLE_1) | instskip(SKIP_2) | instid1(SALU_CYCLE_1)
	s_cmp_lt_i32 s2, s4
	s_cselect_b32 s2, -1, 0
	s_add_i32 s3, s23, s15
	s_cmp_lt_i32 s3, s6
	s_cselect_b32 s3, -1, 0
	s_delay_alu instid0(SALU_CYCLE_1) | instskip(NEXT) | instid1(SALU_CYCLE_1)
	s_and_b32 s2, s2, s3
	s_and_not1_b32 vcc_lo, exec_lo, s2
	s_cbranch_vccnz .LBB7_24
; %bb.8:
	s_load_b128 s[0:3], s[0:1], 0x0
	s_lshl_b32 s18, s20, 7
	s_mov_b32 s19, s12
	s_lshl_b32 s24, s14, 2
	s_lshl_b64 s[18:19], s[18:19], 2
	s_mul_i32 s4, s17, s4
	s_add_i32 s17, s24, s15
	s_mul_i32 s21, s21, s6
	v_cvt_f32_ubyte0_e32 v4, 0
	v_cvt_f32_u32_e32 v5, s20
	s_waitcnt lgkmcnt(0)
	s_add_u32 s18, s2, s18
	s_addc_u32 s19, s3, s19
	s_add_i32 s4, s4, s14
	s_delay_alu instid0(SALU_CYCLE_1) | instskip(SKIP_4) | instid1(SALU_CYCLE_1)
	s_mul_i32 s4, s4, s5
	s_mul_i32 s5, s5, s22
	s_add_i32 s4, s4, s15
	s_lshl_b32 s5, s5, 9
	s_add_i32 s4, s4, s21
	s_add_i32 s4, s4, s23
	s_delay_alu instid0(SALU_CYCLE_1) | instskip(NEXT) | instid1(SALU_CYCLE_1)
	s_lshl_b32 s4, s4, 6
	s_add_i32 s5, s5, s4
	s_delay_alu instid0(SALU_CYCLE_1) | instskip(SKIP_1) | instid1(VALU_DEP_2)
	v_or_b32_e32 v1, s5, v0
	v_lshl_or_b32 v0, s17, 6, v0
	v_ashrrev_i32_e32 v2, 31, v1
	s_delay_alu instid0(VALU_DEP_1) | instskip(NEXT) | instid1(VALU_DEP_1)
	v_lshlrev_b64 v[1:2], 2, v[1:2]
	v_add_co_u32 v1, vcc_lo, s0, v1
	s_delay_alu instid0(VALU_DEP_2) | instskip(SKIP_1) | instid1(SALU_CYCLE_1)
	v_add_co_ci_u32_e32 v2, vcc_lo, s1, v2, vcc_lo
	s_lshl_b32 s0, s13, 5
	s_add_i32 s0, s17, s0
	global_load_b32 v3, v[1:2], off
	s_ashr_i32 s1, s0, 31
	s_delay_alu instid0(SALU_CYCLE_1) | instskip(NEXT) | instid1(SALU_CYCLE_1)
	s_lshl_b64 s[0:1], s[0:1], 3
	s_add_u32 s0, s2, s0
	s_addc_u32 s1, s3, s1
	s_add_i32 s14, s13, -1
	s_load_b64 s[0:1], s[0:1], 0x0
	v_fmac_f32_e32 v5, 0x4f800000, v4
	s_sub_i32 s6, 0, s20
	s_waitcnt lgkmcnt(0)
	v_mov_b32_e32 v8, s0
	s_delay_alu instid0(VALU_DEP_2) | instskip(SKIP_2) | instid1(VALU_DEP_2)
	v_rcp_f32_e32 v4, v5
	v_cvt_f32_u32_e32 v5, s20
	v_mov_b32_e32 v7, s1
	v_rcp_iflag_f32_e32 v5, v5
	s_waitcnt_depctr 0xfff
	v_mul_f32_e32 v4, 0x5f7ffffc, v4
	s_delay_alu instid0(VALU_DEP_1) | instskip(SKIP_1) | instid1(VALU_DEP_2)
	v_mul_f32_e32 v6, 0x2f800000, v4
	v_mul_f32_e32 v9, 0x4f7ffffe, v5
	v_trunc_f32_e32 v6, v6
	s_delay_alu instid0(VALU_DEP_1) | instskip(SKIP_1) | instid1(VALU_DEP_4)
	v_fmac_f32_e32 v4, 0xcf800000, v6
	v_cvt_u32_f32_e32 v5, v6
	v_cvt_u32_f32_e32 v6, v9
	s_delay_alu instid0(VALU_DEP_3)
	v_cvt_u32_f32_e32 v4, v4
.LBB7_9:                                ; =>This Inner Loop Header: Depth=1
	s_mul_hi_i32 s13, s14, s7
	s_mul_i32 s4, s14, s7
	s_cmp_lg_u64 s[12:13], 0
	s_mov_b32 s5, -1
                                        ; implicit-def: $sgpr0_sgpr1
	s_cbranch_scc0 .LBB7_11
; %bb.10:                               ;   in Loop: Header=BB7_9 Depth=1
	v_readfirstlane_b32 s0, v4
	v_readfirstlane_b32 s1, v5
	s_sub_u32 s5, 0, s20
	s_subb_u32 s15, 0, 0
	s_delay_alu instid0(VALU_DEP_2) | instskip(NEXT) | instid1(VALU_DEP_1)
	s_mul_hi_u32 s21, s5, s0
	s_mul_i32 s22, s5, s1
	s_mul_i32 s23, s15, s0
	s_add_i32 s21, s21, s22
	s_mul_i32 s22, s5, s0
	s_add_i32 s21, s21, s23
	s_mul_hi_u32 s23, s0, s22
	s_mul_i32 s24, s0, s21
	s_mul_hi_u32 s0, s0, s21
	s_add_u32 s23, s23, s24
	s_mul_i32 s25, s1, s22
	s_addc_u32 s0, 0, s0
	s_mul_hi_u32 s22, s1, s22
	s_mul_hi_u32 s24, s1, s21
	s_add_u32 s23, s23, s25
	s_addc_u32 s0, s0, s22
	s_mul_i32 s21, s1, s21
	s_addc_u32 s22, s24, 0
	s_add_u32 s0, s0, s21
	s_addc_u32 s21, 0, s22
	v_add_co_u32 v9, s0, v4, s0
	s_delay_alu instid0(VALU_DEP_1) | instskip(SKIP_1) | instid1(VALU_DEP_1)
	s_cmp_lg_u32 s0, 0
	s_addc_u32 s1, s1, s21
	v_readfirstlane_b32 s0, v9
	s_mul_i32 s21, s5, s1
	s_delay_alu instid0(VALU_DEP_1)
	s_mul_hi_u32 s22, s5, s0
	s_mul_i32 s15, s15, s0
	s_add_i32 s21, s22, s21
	s_mul_i32 s5, s5, s0
	s_add_i32 s21, s21, s15
	s_mul_hi_u32 s15, s1, s5
	s_mul_i32 s23, s1, s5
	s_mul_i32 s24, s0, s21
	s_mul_hi_u32 s5, s0, s5
	s_mul_hi_u32 s0, s0, s21
	s_add_u32 s5, s5, s24
	s_addc_u32 s0, 0, s0
	s_mul_hi_u32 s22, s1, s21
	s_add_u32 s5, s5, s23
	s_addc_u32 s0, s0, s15
	s_mul_i32 s5, s1, s21
	s_addc_u32 s15, s22, 0
	s_add_u32 s0, s0, s5
	s_addc_u32 s5, 0, s15
	v_add_co_u32 v9, s0, v9, s0
	s_delay_alu instid0(VALU_DEP_1) | instskip(SKIP_2) | instid1(SALU_CYCLE_1)
	s_cmp_lg_u32 s0, 0
	s_addc_u32 s5, s1, s5
	s_ashr_i32 s0, s13, 31
	s_add_u32 s22, s4, s0
	s_addc_u32 s23, s13, s0
	v_readfirstlane_b32 s13, v9
	s_mov_b32 s1, s0
	s_delay_alu instid0(SALU_CYCLE_1) | instskip(NEXT) | instid1(SALU_CYCLE_1)
	s_xor_b64 s[22:23], s[22:23], s[0:1]
	s_mul_i32 s15, s22, s5
	s_delay_alu instid0(VALU_DEP_1)
	s_mul_hi_u32 s21, s22, s13
	s_mul_hi_u32 s24, s22, s5
	s_add_u32 s15, s21, s15
	s_mul_i32 s25, s23, s13
	s_addc_u32 s21, 0, s24
	s_mul_hi_u32 s13, s23, s13
	s_mul_hi_u32 s24, s23, s5
	s_add_u32 s15, s15, s25
	s_addc_u32 s13, s21, s13
	s_mul_i32 s5, s23, s5
	s_addc_u32 s15, s24, 0
	s_add_u32 s5, s13, s5
	s_addc_u32 s13, 0, s15
	s_mul_i32 s21, s20, s5
	s_add_u32 s15, s5, 1
	v_sub_co_u32 v9, s21, s22, s21
	s_addc_u32 s22, s13, 0
	s_mul_i32 s25, s20, s13
	s_mul_hi_u32 s27, s20, s5
	s_delay_alu instid0(VALU_DEP_1)
	v_sub_co_u32 v10, s26, v9, s20
	s_add_u32 s24, s5, 2
	s_addc_u32 s28, s13, 0
	s_add_i32 s27, s27, s25
	s_cmp_lg_u32 s21, 0
	v_readfirstlane_b32 s21, v10
	s_subb_u32 s23, s23, s27
	s_cmp_lg_u32 s26, 0
	s_subb_u32 s25, s23, 0
	s_delay_alu instid0(VALU_DEP_1) | instskip(SKIP_4) | instid1(SALU_CYCLE_1)
	s_cmp_ge_u32 s21, s20
	s_cselect_b32 s21, -1, 0
	s_cmp_eq_u32 s25, 0
	v_readfirstlane_b32 s25, v9
	s_cselect_b32 s21, s21, -1
	s_cmp_lg_u32 s21, 0
	s_cselect_b32 s15, s24, s15
	s_cselect_b32 s21, s28, s22
	s_cmp_ge_u32 s25, s20
	s_cselect_b32 s22, -1, 0
	s_cmp_eq_u32 s23, 0
	s_cselect_b32 s22, s22, -1
	s_delay_alu instid0(SALU_CYCLE_1) | instskip(SKIP_4) | instid1(SALU_CYCLE_1)
	s_cmp_lg_u32 s22, 0
	s_cselect_b32 s23, s21, s13
	s_cselect_b32 s22, s15, s5
	s_mov_b32 s5, 0
	s_xor_b64 s[22:23], s[22:23], s[0:1]
	s_sub_u32 s0, s22, s0
.LBB7_11:                               ;   in Loop: Header=BB7_9 Depth=1
	s_and_not1_b32 vcc_lo, exec_lo, s5
	s_cbranch_vccnz .LBB7_13
; %bb.12:                               ;   in Loop: Header=BB7_9 Depth=1
	v_readfirstlane_b32 s0, v6
	s_delay_alu instid0(VALU_DEP_1) | instskip(NEXT) | instid1(SALU_CYCLE_1)
	s_mul_i32 s1, s6, s0
	s_mul_hi_u32 s1, s0, s1
	s_delay_alu instid0(SALU_CYCLE_1) | instskip(NEXT) | instid1(SALU_CYCLE_1)
	s_add_i32 s0, s0, s1
	s_mul_hi_u32 s0, s4, s0
	s_delay_alu instid0(SALU_CYCLE_1) | instskip(NEXT) | instid1(SALU_CYCLE_1)
	s_mul_i32 s1, s0, s20
	s_sub_i32 s1, s4, s1
	s_add_i32 s4, s0, 1
	s_sub_i32 s5, s1, s20
	s_cmp_ge_u32 s1, s20
	s_cselect_b32 s0, s4, s0
	s_cselect_b32 s1, s5, s1
	s_add_i32 s4, s0, 1
	s_cmp_ge_u32 s1, s20
	s_cselect_b32 s0, s4, s0
.LBB7_13:                               ;   in Loop: Header=BB7_9 Depth=1
	s_delay_alu instid0(SALU_CYCLE_1)
	s_cmp_lg_u32 s16, s0
	s_cbranch_scc0 .LBB7_17
; %bb.14:                               ;   in Loop: Header=BB7_9 Depth=1
	s_add_i32 s1, s14, s20
	s_mov_b32 s5, s12
	s_lshl_b32 s1, s1, 5
	s_mov_b32 s15, s16
	s_add_i32 s4, s1, s17
	s_mul_hi_u32 s1, s0, s8
	s_lshl_b64 s[4:5], s[4:5], 3
	s_delay_alu instid0(SALU_CYCLE_1) | instskip(SKIP_2) | instid1(SALU_CYCLE_1)
	s_add_u32 s4, s2, s4
	s_addc_u32 s5, s3, s5
	s_add_i32 s1, s1, s0
	s_lshr_b32 s1, s1, s9
	s_delay_alu instid0(SALU_CYCLE_1) | instskip(NEXT) | instid1(SALU_CYCLE_1)
	s_mul_i32 s13, s1, s10
	s_cmp_eq_u32 s13, s0
	s_cselect_b32 s13, -1, 0
	s_cmp_lt_u32 s1, s11
	s_cselect_b32 s1, -1, 0
	s_delay_alu instid0(SALU_CYCLE_1)
	s_or_b32 s1, s1, s13
	s_mov_b32 s13, -1
	s_and_b32 vcc_lo, exec_lo, s1
	s_mov_b32 s1, s14
	s_cbranch_vccnz .LBB7_16
; %bb.15:                               ;   in Loop: Header=BB7_9 Depth=1
	s_add_i32 s1, s14, -1
	s_mov_b32 s13, 0
	s_mov_b32 s15, s0
.LBB7_16:                               ;   in Loop: Header=BB7_9 Depth=1
	v_lshl_add_u32 v9, s14, 11, v0
	s_load_b64 s[4:5], s[4:5], 0x0
	s_delay_alu instid0(VALU_DEP_1) | instskip(NEXT) | instid1(VALU_DEP_1)
	v_ashrrev_i32_e32 v10, 31, v9
	v_lshlrev_b64 v[9:10], 2, v[9:10]
	s_delay_alu instid0(VALU_DEP_1) | instskip(NEXT) | instid1(VALU_DEP_2)
	v_add_co_u32 v9, vcc_lo, s18, v9
	v_add_co_ci_u32_e32 v10, vcc_lo, s19, v10, vcc_lo
	s_waitcnt lgkmcnt(0)
	v_max_f32_e64 v11, s4, s4
	global_load_b32 v10, v[9:10], off
	v_max_f32_e32 v9, v8, v8
	s_delay_alu instid0(VALU_DEP_1) | instskip(NEXT) | instid1(VALU_DEP_1)
	v_max_f32_e32 v9, v9, v11
	v_sub_f32_e32 v12, v8, v9
	s_delay_alu instid0(VALU_DEP_1) | instskip(NEXT) | instid1(VALU_DEP_1)
	v_dual_mul_f32 v14, 0x3fb8aa3b, v12 :: v_dual_sub_f32 v11, s4, v9
	v_rndne_f32_e32 v18, v14
	s_delay_alu instid0(VALU_DEP_2) | instskip(SKIP_2) | instid1(VALU_DEP_4)
	v_mul_f32_e32 v13, 0x3fb8aa3b, v11
	v_fma_f32 v17, 0x3fb8aa3b, v12, -v14
	v_cmp_ngt_f32_e32 vcc_lo, 0xc2ce8ed0, v11
	v_sub_f32_e32 v14, v14, v18
	s_delay_alu instid0(VALU_DEP_4) | instskip(SKIP_2) | instid1(VALU_DEP_3)
	v_fma_f32 v15, 0x3fb8aa3b, v11, -v13
	v_rndne_f32_e32 v16, v13
	v_fmac_f32_e32 v17, 0x32a5705f, v12
	v_fmac_f32_e32 v15, 0x32a5705f, v11
	s_delay_alu instid0(VALU_DEP_2) | instskip(NEXT) | instid1(VALU_DEP_1)
	v_dual_sub_f32 v13, v13, v16 :: v_dual_add_f32 v14, v14, v17
	v_add_f32_e32 v13, v13, v15
	s_delay_alu instid0(VALU_DEP_2) | instskip(SKIP_2) | instid1(VALU_DEP_3)
	v_exp_f32_e32 v14, v14
	v_cvt_i32_f32_e32 v15, v16
	v_cvt_i32_f32_e32 v16, v18
	v_exp_f32_e32 v13, v13
	s_waitcnt_depctr 0xfff
	v_ldexp_f32 v14, v14, v16
	v_ldexp_f32 v13, v13, v15
	s_delay_alu instid0(VALU_DEP_1) | instskip(SKIP_1) | instid1(VALU_DEP_4)
	v_cndmask_b32_e32 v13, 0, v13, vcc_lo
	v_cmp_ngt_f32_e32 vcc_lo, 0xc2ce8ed0, v12
	v_cndmask_b32_e32 v14, 0, v14, vcc_lo
	v_cmp_nlt_f32_e32 vcc_lo, 0x42b17218, v11
	s_delay_alu instid0(VALU_DEP_4) | instskip(SKIP_1) | instid1(VALU_DEP_4)
	v_cndmask_b32_e32 v13, 0x7f800000, v13, vcc_lo
	v_cmp_nlt_f32_e32 vcc_lo, 0x42b17218, v12
	v_cndmask_b32_e32 v14, 0x7f800000, v14, vcc_lo
	v_cmp_le_f32_e32 vcc_lo, 0xc1a00000, v11
	s_delay_alu instid0(VALU_DEP_4) | instskip(SKIP_1) | instid1(VALU_DEP_4)
	v_cndmask_b32_e32 v11, 0, v13, vcc_lo
	v_cmp_le_f32_e32 vcc_lo, 0xc1a00000, v12
	v_cndmask_b32_e32 v12, 0, v14, vcc_lo
	s_waitcnt vmcnt(0)
	s_delay_alu instid0(VALU_DEP_3) | instskip(NEXT) | instid1(VALU_DEP_1)
	v_mul_f32_e32 v10, v10, v11
	v_dual_mul_f32 v11, s5, v11 :: v_dual_fmac_f32 v10, v3, v12
	s_delay_alu instid0(VALU_DEP_1)
	v_fmac_f32_e32 v11, v7, v12
	s_cbranch_execz .LBB7_18
	s_branch .LBB7_19
.LBB7_17:                               ;   in Loop: Header=BB7_9 Depth=1
                                        ; implicit-def: $sgpr13
                                        ; implicit-def: $vgpr10
                                        ; implicit-def: $vgpr9
                                        ; implicit-def: $vgpr11
                                        ; implicit-def: $sgpr1
                                        ; implicit-def: $sgpr15
.LBB7_18:                               ;   in Loop: Header=BB7_9 Depth=1
	v_mov_b32_e32 v11, v7
	s_waitcnt vmcnt(0)
	v_dual_mov_b32 v9, v8 :: v_dual_mov_b32 v10, v3
	s_add_i32 s1, s14, -1
	s_mov_b32 s13, 0
	s_mov_b32 s15, s16
.LBB7_19:                               ;   in Loop: Header=BB7_9 Depth=1
	s_and_not1_b32 vcc_lo, exec_lo, s13
	s_cbranch_vccz .LBB7_23
; %bb.20:                               ;   in Loop: Header=BB7_9 Depth=1
	v_dual_mov_b32 v7, v11 :: v_dual_mov_b32 v8, v9
	s_waitcnt vmcnt(0)
	v_mov_b32_e32 v3, v10
	s_mov_b32 s16, s15
	s_mov_b32 s14, s1
	s_branch .LBB7_9
.LBB7_21:
                                        ; implicit-def: $sgpr16_sgpr17
	s_load_b128 s[8:11], s[0:1], 0x44
	s_branch .LBB7_2
.LBB7_22:
                                        ; implicit-def: $sgpr18_sgpr19
	s_branch .LBB7_5
.LBB7_23:
	v_div_scale_f32 v0, null, v11, v11, v10
	s_waitcnt vmcnt(0)
	s_delay_alu instid0(VALU_DEP_1) | instskip(SKIP_2) | instid1(VALU_DEP_1)
	v_rcp_f32_e32 v3, v0
	s_waitcnt_depctr 0xfff
	v_fma_f32 v4, -v0, v3, 1.0
	v_fmac_f32_e32 v3, v4, v3
	v_div_scale_f32 v4, vcc_lo, v10, v11, v10
	s_delay_alu instid0(VALU_DEP_1) | instskip(NEXT) | instid1(VALU_DEP_1)
	v_mul_f32_e32 v5, v4, v3
	v_fma_f32 v6, -v0, v5, v4
	s_delay_alu instid0(VALU_DEP_1) | instskip(NEXT) | instid1(VALU_DEP_1)
	v_fmac_f32_e32 v5, v6, v3
	v_fma_f32 v0, -v0, v5, v4
	s_delay_alu instid0(VALU_DEP_1) | instskip(NEXT) | instid1(VALU_DEP_1)
	v_div_fmas_f32 v0, v0, v3, v5
	v_div_fixup_f32 v0, v0, v11, v10
	global_store_b32 v[1:2], v0, off
.LBB7_24:
	s_nop 0
	s_sendmsg sendmsg(MSG_DEALLOC_VGPRS)
	s_endpgm
	.section	.rodata,"a",@progbits
	.p2align	6, 0x0
	.amdhsa_kernel _ZL33flash_attn_stream_k_fixup_generalILi64ELi8ELi4EEvPfPK15HIP_vector_typeIfLj2EEiiiiS1_IjLj3EES5_S5_S5_
		.amdhsa_group_segment_fixed_size 0
		.amdhsa_private_segment_fixed_size 0
		.amdhsa_kernarg_size 336
		.amdhsa_user_sgpr_count 13
		.amdhsa_user_sgpr_dispatch_ptr 0
		.amdhsa_user_sgpr_queue_ptr 0
		.amdhsa_user_sgpr_kernarg_segment_ptr 1
		.amdhsa_user_sgpr_dispatch_id 0
		.amdhsa_user_sgpr_private_segment_size 0
		.amdhsa_wavefront_size32 1
		.amdhsa_uses_dynamic_stack 0
		.amdhsa_enable_private_segment 0
		.amdhsa_system_sgpr_workgroup_id_x 1
		.amdhsa_system_sgpr_workgroup_id_y 1
		.amdhsa_system_sgpr_workgroup_id_z 1
		.amdhsa_system_sgpr_workgroup_info 0
		.amdhsa_system_vgpr_workitem_id 0
		.amdhsa_next_free_vgpr 19
		.amdhsa_next_free_sgpr 32
		.amdhsa_reserve_vcc 1
		.amdhsa_float_round_mode_32 0
		.amdhsa_float_round_mode_16_64 0
		.amdhsa_float_denorm_mode_32 3
		.amdhsa_float_denorm_mode_16_64 3
		.amdhsa_dx10_clamp 1
		.amdhsa_ieee_mode 1
		.amdhsa_fp16_overflow 0
		.amdhsa_workgroup_processor_mode 1
		.amdhsa_memory_ordered 1
		.amdhsa_forward_progress 0
		.amdhsa_shared_vgpr_count 0
		.amdhsa_exception_fp_ieee_invalid_op 0
		.amdhsa_exception_fp_denorm_src 0
		.amdhsa_exception_fp_ieee_div_zero 0
		.amdhsa_exception_fp_ieee_overflow 0
		.amdhsa_exception_fp_ieee_underflow 0
		.amdhsa_exception_fp_ieee_inexact 0
		.amdhsa_exception_int_div_zero 0
	.end_amdhsa_kernel
	.section	.text._ZL33flash_attn_stream_k_fixup_generalILi64ELi8ELi4EEvPfPK15HIP_vector_typeIfLj2EEiiiiS1_IjLj3EES5_S5_S5_,"axG",@progbits,_ZL33flash_attn_stream_k_fixup_generalILi64ELi8ELi4EEvPfPK15HIP_vector_typeIfLj2EEiiiiS1_IjLj3EES5_S5_S5_,comdat
.Lfunc_end7:
	.size	_ZL33flash_attn_stream_k_fixup_generalILi64ELi8ELi4EEvPfPK15HIP_vector_typeIfLj2EEiiiiS1_IjLj3EES5_S5_S5_, .Lfunc_end7-_ZL33flash_attn_stream_k_fixup_generalILi64ELi8ELi4EEvPfPK15HIP_vector_typeIfLj2EEiiiiS1_IjLj3EES5_S5_S5_
                                        ; -- End function
	.section	.AMDGPU.csdata,"",@progbits
; Kernel info:
; codeLenInByte = 3224
; NumSgprs: 34
; NumVgprs: 19
; ScratchSize: 0
; MemoryBound: 0
; FloatMode: 240
; IeeeMode: 1
; LDSByteSize: 0 bytes/workgroup (compile time only)
; SGPRBlocks: 4
; VGPRBlocks: 2
; NumSGPRsForWavesPerEU: 34
; NumVGPRsForWavesPerEU: 19
; Occupancy: 16
; WaveLimiterHint : 0
; COMPUTE_PGM_RSRC2:SCRATCH_EN: 0
; COMPUTE_PGM_RSRC2:USER_SGPR: 13
; COMPUTE_PGM_RSRC2:TRAP_HANDLER: 0
; COMPUTE_PGM_RSRC2:TGID_X_EN: 1
; COMPUTE_PGM_RSRC2:TGID_Y_EN: 1
; COMPUTE_PGM_RSRC2:TGID_Z_EN: 1
; COMPUTE_PGM_RSRC2:TIDIG_COMP_CNT: 0
	.section	.text._ZL26flash_attn_combine_resultsILi64EEvPKfPK15HIP_vector_typeIfLj2EEPfi,"axG",@progbits,_ZL26flash_attn_combine_resultsILi64EEvPKfPK15HIP_vector_typeIfLj2EEPfi,comdat
	.globl	_ZL26flash_attn_combine_resultsILi64EEvPKfPK15HIP_vector_typeIfLj2EEPfi ; -- Begin function _ZL26flash_attn_combine_resultsILi64EEvPKfPK15HIP_vector_typeIfLj2EEPfi
	.p2align	8
	.type	_ZL26flash_attn_combine_resultsILi64EEvPKfPK15HIP_vector_typeIfLj2EEPfi,@function
_ZL26flash_attn_combine_resultsILi64EEvPKfPK15HIP_vector_typeIfLj2EEPfi: ; @_ZL26flash_attn_combine_resultsILi64EEvPKfPK15HIP_vector_typeIfLj2EEPfi
; %bb.0:
	s_clause 0x3
	s_load_b64 s[2:3], s[0:1], 0x20
	s_load_b32 s11, s[0:1], 0x18
	s_load_b128 s[4:7], s[0:1], 0x0
	s_load_b64 s[8:9], s[0:1], 0x10
	v_lshlrev_b32_e32 v5, 2, v0
	s_mov_b32 s12, exec_lo
	s_waitcnt lgkmcnt(0)
	s_mul_i32 s0, s2, s15
	s_lshl_b32 s1, s11, 1
	s_add_i32 s0, s0, s13
	s_delay_alu instid0(SALU_CYCLE_1) | instskip(NEXT) | instid1(SALU_CYCLE_1)
	s_mul_i32 s10, s0, s3
	s_add_i32 s10, s10, s14
	s_delay_alu instid0(SALU_CYCLE_1)
	s_mul_i32 s2, s10, s11
	v_cmpx_gt_i32_e64 s1, v0
	s_cbranch_execz .LBB8_3
; %bb.1:
	s_ashr_i32 s3, s2, 31
	v_dual_mov_b32 v4, v0 :: v_dual_add_nc_u32 v3, 0, v5
	s_lshl_b64 s[14:15], s[2:3], 3
	s_delay_alu instid0(SALU_CYCLE_1) | instskip(SKIP_2) | instid1(VALU_DEP_1)
	s_add_u32 s0, s6, s14
	s_addc_u32 s3, s7, s15
	v_add_co_u32 v1, s0, s0, v5
	v_add_co_ci_u32_e64 v2, null, s3, 0, s0
	s_mov_b32 s3, 0
.LBB8_2:                                ; =>This Inner Loop Header: Depth=1
	global_load_b32 v6, v[1:2], off
	v_add_nc_u32_e32 v4, 64, v4
	v_add_co_u32 v1, vcc_lo, 0x100, v1
	v_add_co_ci_u32_e32 v2, vcc_lo, 0, v2, vcc_lo
	s_delay_alu instid0(VALU_DEP_3) | instskip(NEXT) | instid1(VALU_DEP_1)
	v_cmp_le_i32_e64 s0, s1, v4
	s_or_b32 s3, s0, s3
	s_waitcnt vmcnt(0)
	ds_store_b32 v3, v6
	v_add_nc_u32_e32 v3, 0x100, v3
	s_and_not1_b32 exec_lo, exec_lo, s3
	s_cbranch_execnz .LBB8_2
.LBB8_3:
	s_or_b32 exec_lo, exec_lo, s12
	v_mov_b32_e32 v1, 0
	s_waitcnt lgkmcnt(0)
	s_barrier
	buffer_gl0_inv
	s_cmp_lt_i32 s11, 2
	ds_load_b32 v6, v1
	s_cbranch_scc1 .LBB8_11
; %bb.4:
	s_add_i32 s1, s11, -2
	s_add_i32 s0, s11, -1
	s_cmp_lt_u32 s1, 7
	s_cbranch_scc1 .LBB8_8
; %bb.5:
	s_mov_b32 s3, 0
	s_add_i32 s1, 0, 8
	s_and_b32 s6, s0, -8
	.p2align	6
.LBB8_6:                                ; =>This Inner Loop Header: Depth=1
	v_mov_b32_e32 v9, s1
	s_mov_b32 s7, s3
	s_add_i32 s3, s3, 8
	s_add_i32 s1, s1, 64
	s_cmp_eq_u32 s6, s3
	ds_load_2addr_b32 v[1:2], v9 offset1:2
	ds_load_2addr_b32 v[3:4], v9 offset0:4 offset1:6
	ds_load_2addr_b32 v[7:8], v9 offset0:8 offset1:10
	;; [unrolled: 1-line block ×3, first 2 shown]
	s_waitcnt lgkmcnt(3)
	v_max3_f32 v1, v6, v1, v2
	s_waitcnt lgkmcnt(2)
	s_delay_alu instid0(VALU_DEP_1) | instskip(SKIP_1) | instid1(VALU_DEP_1)
	v_max3_f32 v1, v1, v3, v4
	s_waitcnt lgkmcnt(1)
	v_max3_f32 v1, v1, v7, v8
	s_waitcnt lgkmcnt(0)
	s_delay_alu instid0(VALU_DEP_1)
	v_max3_f32 v6, v1, v9, v10
	s_cbranch_scc0 .LBB8_6
; %bb.7:
	s_add_i32 s1, s7, 9
	s_and_b32 s0, s0, 7
	s_delay_alu instid0(SALU_CYCLE_1)
	s_cmp_eq_u32 s0, 0
	s_cbranch_scc0 .LBB8_9
	s_branch .LBB8_11
.LBB8_8:
	s_mov_b32 s1, 1
	s_and_b32 s0, s0, 7
	s_delay_alu instid0(SALU_CYCLE_1)
	s_cmp_eq_u32 s0, 0
	s_cbranch_scc1 .LBB8_11
.LBB8_9:
	s_lshl_b32 s1, s1, 3
	s_delay_alu instid0(SALU_CYCLE_1)
	s_add_i32 s1, s1, 0
.LBB8_10:                               ; =>This Inner Loop Header: Depth=1
	s_waitcnt lgkmcnt(0)
	s_delay_alu instid0(VALU_DEP_1)
	v_dual_mov_b32 v1, s1 :: v_dual_max_f32 v2, v6, v6
	s_add_i32 s0, s0, -1
	s_add_i32 s1, s1, 8
	s_cmp_lg_u32 s0, 0
	ds_load_b32 v1, v1
	s_waitcnt lgkmcnt(0)
	v_max_f32_e32 v1, v1, v1
	s_delay_alu instid0(VALU_DEP_1)
	v_max_f32_e32 v6, v2, v1
	s_cbranch_scc1 .LBB8_10
.LBB8_11:
	s_cmp_lt_i32 s11, 1
	s_cbranch_scc1 .LBB8_16
; %bb.12:
	s_lshl_b32 s0, s2, 6
	v_mov_b32_e32 v7, 0
	s_ashr_i32 s1, s0, 31
	s_mov_b32 s13, 0
	s_lshl_b64 s[0:1], s[0:1], 2
	s_delay_alu instid0(SALU_CYCLE_1)
	s_add_u32 s6, s4, s0
	s_addc_u32 s7, s5, s1
	s_cmp_lt_u32 s11, 8
	s_cbranch_scc1 .LBB8_17
; %bb.13:
	v_or_b32_e32 v1, 0x1c0, v0
	v_dual_mov_b32 v4, 0 :: v_dual_mov_b32 v7, 0
	v_mov_b32_e32 v8, 0
	s_and_b32 s12, s11, 0x7ffffff8
	s_mov_b32 s14, 0
.LBB8_14:                               ; =>This Inner Loop Header: Depth=1
	s_delay_alu instid0(VALU_DEP_2) | instskip(SKIP_3) | instid1(VALU_DEP_2)
	v_dual_mov_b32 v2, v4 :: v_dual_add_nc_u32 v3, 0xfffffe40, v1
	v_mov_b32_e32 v21, s13
	s_add_i32 s14, s14, 8
	s_add_i32 s13, s13, 64
	v_lshlrev_b64 v[9:10], 2, v[3:4]
	v_add_nc_u32_e32 v3, 0xfffffe80, v1
	v_lshlrev_b64 v[11:12], 2, v[1:2]
	s_cmp_eq_u32 s12, s14
	s_delay_alu instid0(VALU_DEP_2) | instskip(NEXT) | instid1(VALU_DEP_4)
	v_lshlrev_b64 v[13:14], 2, v[3:4]
	v_add_co_u32 v9, vcc_lo, s6, v9
	v_add_co_ci_u32_e32 v10, vcc_lo, s7, v10, vcc_lo
	v_add_nc_u32_e32 v3, 0xfffffec0, v1
	s_delay_alu instid0(VALU_DEP_4)
	v_add_co_u32 v13, vcc_lo, s6, v13
	global_load_b32 v25, v[9:10], off
	v_add_co_ci_u32_e32 v14, vcc_lo, s7, v14, vcc_lo
	v_lshlrev_b64 v[15:16], 2, v[3:4]
	v_add_nc_u32_e32 v3, 0xffffff00, v1
	global_load_b32 v26, v[13:14], off
	v_lshlrev_b64 v[9:10], 2, v[3:4]
	v_add_nc_u32_e32 v3, 0xffffff40, v1
	v_add_co_u32 v13, vcc_lo, s6, v15
	v_add_co_ci_u32_e32 v14, vcc_lo, s7, v16, vcc_lo
	s_delay_alu instid0(VALU_DEP_4) | instskip(NEXT) | instid1(VALU_DEP_4)
	v_add_co_u32 v9, vcc_lo, s6, v9
	v_lshlrev_b64 v[15:16], 2, v[3:4]
	v_add_nc_u32_e32 v3, 0xffffff80, v1
	v_add_co_ci_u32_e32 v10, vcc_lo, s7, v10, vcc_lo
	s_clause 0x1
	global_load_b32 v27, v[13:14], off
	global_load_b32 v28, v[9:10], off
	v_lshlrev_b64 v[13:14], 2, v[3:4]
	v_subrev_nc_u32_e32 v3, 64, v1
	v_add_co_u32 v9, vcc_lo, s6, v15
	v_add_co_ci_u32_e32 v10, vcc_lo, s7, v16, vcc_lo
	s_delay_alu instid0(VALU_DEP_4) | instskip(NEXT) | instid1(VALU_DEP_4)
	v_add_co_u32 v13, vcc_lo, s6, v13
	v_lshlrev_b64 v[2:3], 2, v[3:4]
	v_add_co_ci_u32_e32 v14, vcc_lo, s7, v14, vcc_lo
	s_clause 0x1
	global_load_b32 v29, v[9:10], off
	global_load_b32 v30, v[13:14], off
	v_add_co_u32 v2, vcc_lo, s6, v2
	v_add_co_ci_u32_e32 v3, vcc_lo, s7, v3, vcc_lo
	v_add_co_u32 v9, vcc_lo, s6, v11
	v_add_co_ci_u32_e32 v10, vcc_lo, s7, v12, vcc_lo
	s_clause 0x1
	global_load_b32 v2, v[2:3], off
	global_load_b32 v3, v[9:10], off
	ds_load_2addr_b64 v[9:12], v21 offset1:1
	ds_load_2addr_b64 v[13:16], v21 offset0:2 offset1:3
	ds_load_2addr_b64 v[17:20], v21 offset0:4 offset1:5
	;; [unrolled: 1-line block ×3, first 2 shown]
	v_add_nc_u32_e32 v1, 0x200, v1
	s_waitcnt lgkmcnt(1)
	v_sub_f32_e32 v19, v19, v6
	v_sub_f32_e32 v11, v11, v6
	s_waitcnt lgkmcnt(0)
	v_sub_f32_e32 v23, v23, v6
	s_delay_alu instid0(VALU_DEP_3) | instskip(NEXT) | instid1(VALU_DEP_3)
	v_dual_sub_f32 v13, v13, v6 :: v_dual_mul_f32 v36, 0x3fb8aa3b, v19
	v_mul_f32_e32 v32, 0x3fb8aa3b, v11
	s_delay_alu instid0(VALU_DEP_2) | instskip(SKIP_1) | instid1(VALU_DEP_4)
	v_dual_mul_f32 v38, 0x3fb8aa3b, v23 :: v_dual_mul_f32 v33, 0x3fb8aa3b, v13
	v_cmp_ngt_f32_e32 vcc_lo, 0xc2ce8ed0, v13
	v_fma_f32 v49, 0x3fb8aa3b, v19, -v36
	s_delay_alu instid0(VALU_DEP_4) | instskip(SKIP_4) | instid1(VALU_DEP_4)
	v_fma_f32 v41, 0x3fb8aa3b, v11, -v32
	v_rndne_f32_e32 v42, v32
	v_fma_f32 v43, 0x3fb8aa3b, v13, -v33
	v_rndne_f32_e32 v44, v33
	v_rndne_f32_e32 v54, v38
	v_dual_fmac_f32 v41, 0x32a5705f, v11 :: v_dual_sub_f32 v32, v32, v42
	v_sub_f32_e32 v15, v15, v6
	v_fmac_f32_e32 v43, 0x32a5705f, v13
	v_sub_f32_e32 v33, v33, v44
	v_cvt_i32_f32_e32 v42, v42
	v_dual_add_f32 v32, v32, v41 :: v_dual_sub_f32 v9, v9, v6
	v_mul_f32_e32 v34, 0x3fb8aa3b, v15
	s_delay_alu instid0(VALU_DEP_4) | instskip(SKIP_1) | instid1(VALU_DEP_4)
	v_add_f32_e32 v33, v33, v43
	v_cvt_i32_f32_e32 v44, v44
	v_exp_f32_e32 v32, v32
	v_mul_f32_e32 v31, 0x3fb8aa3b, v9
	v_fma_f32 v45, 0x3fb8aa3b, v15, -v34
	v_rndne_f32_e32 v46, v34
	v_exp_f32_e32 v33, v33
	v_cmp_ngt_f32_e64 s5, 0xc2ce8ed0, v9
	v_fma_f32 v39, 0x3fb8aa3b, v9, -v31
	v_rndne_f32_e32 v40, v31
	v_dual_fmac_f32 v45, 0x32a5705f, v15 :: v_dual_sub_f32 v34, v34, v46
	v_sub_f32_e32 v17, v17, v6
	s_delay_alu instid0(VALU_DEP_4) | instskip(NEXT) | instid1(VALU_DEP_4)
	v_fmac_f32_e32 v39, 0x32a5705f, v9
	v_sub_f32_e32 v31, v31, v40
	v_cvt_i32_f32_e32 v40, v40
	v_add_f32_e32 v34, v34, v45
	v_ldexp_f32 v32, v32, v42
	v_ldexp_f32 v33, v33, v44
	v_add_f32_e32 v31, v31, v39
	v_cvt_i32_f32_e32 v46, v46
	v_exp_f32_e32 v34, v34
	v_cmp_ngt_f32_e64 s0, 0xc2ce8ed0, v15
	v_cmp_ngt_f32_e64 s1, 0xc2ce8ed0, v17
	v_exp_f32_e32 v31, v31
	v_rndne_f32_e32 v50, v36
	s_delay_alu instid0(VALU_DEP_1)
	v_dual_fmac_f32 v49, 0x32a5705f, v19 :: v_dual_sub_f32 v36, v36, v50
	s_waitcnt_depctr 0xfff
	v_ldexp_f32 v34, v34, v46
	v_cvt_i32_f32_e32 v50, v50
	v_ldexp_f32 v31, v31, v40
	v_add_f32_e32 v36, v36, v49
	v_cmp_ngt_f32_e64 s2, 0xc2ce8ed0, v19
	s_delay_alu instid0(VALU_DEP_3) | instskip(SKIP_1) | instid1(VALU_DEP_4)
	v_cndmask_b32_e64 v31, 0, v31, s5
	v_cmp_ngt_f32_e64 s5, 0xc2ce8ed0, v11
	v_exp_f32_e32 v36, v36
	s_delay_alu instid0(VALU_DEP_1) | instskip(SKIP_1) | instid1(VALU_DEP_1)
	v_cndmask_b32_e64 v32, 0, v32, s5
	v_cmp_nlt_f32_e64 s5, 0x42b17218, v9
	v_cndmask_b32_e64 v9, 0x7f800000, v31, s5
	v_cndmask_b32_e32 v31, 0, v33, vcc_lo
	v_cmp_nlt_f32_e32 vcc_lo, 0x42b17218, v11
	s_waitcnt_depctr 0xfff
	v_ldexp_f32 v36, v36, v50
	v_dual_fmac_f32 v8, v9, v10 :: v_dual_cndmask_b32 v11, 0x7f800000, v32
	v_cmp_nlt_f32_e32 vcc_lo, 0x42b17218, v13
	s_delay_alu instid0(VALU_DEP_2)
	v_fmac_f32_e32 v8, v11, v12
	v_cndmask_b32_e32 v10, 0x7f800000, v31, vcc_lo
	v_cmp_nlt_f32_e32 vcc_lo, 0x42b17218, v15
	v_fma_f32 v53, 0x3fb8aa3b, v23, -v38
	v_sub_f32_e32 v38, v38, v54
	v_cvt_i32_f32_e32 v54, v54
	v_fmac_f32_e32 v8, v10, v14
	v_cmp_ngt_f32_e64 s4, 0xc2ce8ed0, v23
	v_fmac_f32_e32 v53, 0x32a5705f, v23
	s_delay_alu instid0(VALU_DEP_1) | instskip(NEXT) | instid1(VALU_DEP_1)
	v_dual_sub_f32 v21, v21, v6 :: v_dual_add_f32 v38, v38, v53
	v_cmp_ngt_f32_e64 s3, 0xc2ce8ed0, v21
	s_delay_alu instid0(VALU_DEP_2)
	v_exp_f32_e32 v38, v38
	s_waitcnt_depctr 0xfff
	v_ldexp_f32 v38, v38, v54
	s_waitcnt vmcnt(7)
	v_fmac_f32_e32 v7, v25, v9
	v_cndmask_b32_e64 v9, 0, v34, s0
	s_delay_alu instid0(VALU_DEP_1)
	v_cndmask_b32_e32 v9, 0x7f800000, v9, vcc_lo
	v_mul_f32_e32 v35, 0x3fb8aa3b, v17
	s_waitcnt vmcnt(6)
	v_fmac_f32_e32 v7, v26, v11
	v_cmp_nlt_f32_e32 vcc_lo, 0x42b17218, v17
	v_fmac_f32_e32 v8, v9, v16
	v_fma_f32 v47, 0x3fb8aa3b, v17, -v35
	v_rndne_f32_e32 v48, v35
	s_delay_alu instid0(VALU_DEP_2) | instskip(NEXT) | instid1(VALU_DEP_2)
	v_fmac_f32_e32 v47, 0x32a5705f, v17
	v_sub_f32_e32 v35, v35, v48
	v_cvt_i32_f32_e32 v48, v48
	s_waitcnt vmcnt(5)
	v_fmac_f32_e32 v7, v27, v10
	v_cndmask_b32_e64 v10, 0, v36, s2
	v_add_f32_e32 v35, v35, v47
	s_waitcnt vmcnt(4)
	s_delay_alu instid0(VALU_DEP_3) | instskip(NEXT) | instid1(VALU_DEP_2)
	v_fmac_f32_e32 v7, v28, v9
	v_exp_f32_e32 v35, v35
	s_waitcnt_depctr 0xfff
	v_ldexp_f32 v35, v35, v48
	s_delay_alu instid0(VALU_DEP_1) | instskip(NEXT) | instid1(VALU_DEP_1)
	v_cndmask_b32_e64 v11, 0, v35, s1
	v_cndmask_b32_e32 v11, 0x7f800000, v11, vcc_lo
	v_mul_f32_e32 v37, 0x3fb8aa3b, v21
	v_cmp_nlt_f32_e32 vcc_lo, 0x42b17218, v19
	s_delay_alu instid0(VALU_DEP_3) | instskip(NEXT) | instid1(VALU_DEP_3)
	v_fmac_f32_e32 v8, v11, v18
	v_fma_f32 v51, 0x3fb8aa3b, v21, -v37
	v_rndne_f32_e32 v52, v37
	s_waitcnt vmcnt(3)
	v_dual_cndmask_b32 v10, 0x7f800000, v10 :: v_dual_fmac_f32 v7, v29, v11
	v_cmp_nlt_f32_e32 vcc_lo, 0x42b17218, v21
	v_fmac_f32_e32 v51, 0x32a5705f, v21
	v_sub_f32_e32 v37, v37, v52
	v_cvt_i32_f32_e32 v52, v52
	v_cndmask_b32_e64 v11, 0, v38, s4
	v_fmac_f32_e32 v8, v10, v20
	s_waitcnt vmcnt(2)
	v_fmac_f32_e32 v7, v30, v10
	v_add_f32_e32 v37, v37, v51
	s_delay_alu instid0(VALU_DEP_1) | instskip(SKIP_2) | instid1(VALU_DEP_1)
	v_exp_f32_e32 v37, v37
	s_waitcnt_depctr 0xfff
	v_ldexp_f32 v37, v37, v52
	v_cndmask_b32_e64 v9, 0, v37, s3
	s_delay_alu instid0(VALU_DEP_1) | instskip(SKIP_1) | instid1(VALU_DEP_2)
	v_cndmask_b32_e32 v9, 0x7f800000, v9, vcc_lo
	v_cmp_nlt_f32_e32 vcc_lo, 0x42b17218, v23
	v_fmac_f32_e32 v8, v9, v22
	s_waitcnt vmcnt(1)
	v_dual_cndmask_b32 v10, 0x7f800000, v11 :: v_dual_fmac_f32 v7, v2, v9
	s_waitcnt vmcnt(0)
	s_delay_alu instid0(VALU_DEP_1)
	v_dual_fmac_f32 v8, v10, v24 :: v_dual_fmac_f32 v7, v3, v10
	s_cbranch_scc0 .LBB8_14
; %bb.15:
	s_and_b32 s0, s11, 7
	s_delay_alu instid0(SALU_CYCLE_1)
	s_cmp_eq_u32 s0, 0
	s_cbranch_scc0 .LBB8_18
	s_branch .LBB8_20
.LBB8_16:
	v_mov_b32_e32 v0, 0x7fc00000
	s_branch .LBB8_21
.LBB8_17:
	v_mov_b32_e32 v8, 0
	s_mov_b32 s12, 0
	s_and_b32 s0, s11, 7
	s_delay_alu instid0(SALU_CYCLE_1)
	s_cmp_eq_u32 s0, 0
	s_cbranch_scc1 .LBB8_20
.LBB8_18:
	v_lshl_or_b32 v0, s12, 6, v0
	v_mov_b32_e32 v1, 0
	s_lshl_b32 s1, s12, 3
	s_delay_alu instid0(SALU_CYCLE_1)
	s_add_i32 s1, s1, 0
	s_set_inst_prefetch_distance 0x1
	.p2align	6
.LBB8_19:                               ; =>This Inner Loop Header: Depth=1
	s_delay_alu instid0(VALU_DEP_1) | instskip(SKIP_2) | instid1(VALU_DEP_2)
	v_lshlrev_b64 v[2:3], 2, v[0:1]
	s_add_i32 s0, s0, -1
	v_add_nc_u32_e32 v0, 64, v0
	v_add_co_u32 v2, vcc_lo, s6, v2
	s_delay_alu instid0(VALU_DEP_3)
	v_add_co_ci_u32_e32 v3, vcc_lo, s7, v3, vcc_lo
	global_load_b32 v4, v[2:3], off
	v_mov_b32_e32 v2, s1
	s_add_i32 s1, s1, 8
	s_cmp_lg_u32 s0, 0
	ds_load_b64 v[2:3], v2
	s_waitcnt lgkmcnt(0)
	v_sub_f32_e32 v2, v2, v6
	s_delay_alu instid0(VALU_DEP_1) | instskip(SKIP_1) | instid1(VALU_DEP_2)
	v_mul_f32_e32 v9, 0x3fb8aa3b, v2
	v_cmp_ngt_f32_e32 vcc_lo, 0xc2ce8ed0, v2
	v_fma_f32 v10, 0x3fb8aa3b, v2, -v9
	v_rndne_f32_e32 v11, v9
	s_delay_alu instid0(VALU_DEP_1) | instskip(NEXT) | instid1(VALU_DEP_1)
	v_dual_fmac_f32 v10, 0x32a5705f, v2 :: v_dual_sub_f32 v9, v9, v11
	v_add_f32_e32 v9, v9, v10
	v_cvt_i32_f32_e32 v10, v11
	s_delay_alu instid0(VALU_DEP_2) | instskip(SKIP_2) | instid1(VALU_DEP_1)
	v_exp_f32_e32 v9, v9
	s_waitcnt_depctr 0xfff
	v_ldexp_f32 v9, v9, v10
	v_cndmask_b32_e32 v9, 0, v9, vcc_lo
	v_cmp_nlt_f32_e32 vcc_lo, 0x42b17218, v2
	s_delay_alu instid0(VALU_DEP_2) | instskip(SKIP_1) | instid1(VALU_DEP_1)
	v_cndmask_b32_e32 v2, 0x7f800000, v9, vcc_lo
	s_waitcnt vmcnt(0)
	v_dual_fmac_f32 v8, v2, v3 :: v_dual_fmac_f32 v7, v4, v2
	s_cbranch_scc1 .LBB8_19
.LBB8_20:
	s_set_inst_prefetch_distance 0x2
	s_delay_alu instid0(VALU_DEP_1) | instskip(NEXT) | instid1(VALU_DEP_1)
	v_div_scale_f32 v0, null, v8, v8, v7
	v_rcp_f32_e32 v1, v0
	s_waitcnt_depctr 0xfff
	v_fma_f32 v2, -v0, v1, 1.0
	s_delay_alu instid0(VALU_DEP_1) | instskip(SKIP_1) | instid1(VALU_DEP_1)
	v_fmac_f32_e32 v1, v2, v1
	v_div_scale_f32 v2, vcc_lo, v7, v8, v7
	v_mul_f32_e32 v3, v2, v1
	s_delay_alu instid0(VALU_DEP_1) | instskip(NEXT) | instid1(VALU_DEP_1)
	v_fma_f32 v4, -v0, v3, v2
	v_fmac_f32_e32 v3, v4, v1
	s_delay_alu instid0(VALU_DEP_1) | instskip(NEXT) | instid1(VALU_DEP_1)
	v_fma_f32 v0, -v0, v3, v2
	v_div_fmas_f32 v0, v0, v1, v3
	s_delay_alu instid0(VALU_DEP_1)
	v_div_fixup_f32 v0, v0, v8, v7
.LBB8_21:
	s_lshl_b32 s0, s10, 6
	s_delay_alu instid0(SALU_CYCLE_1) | instskip(NEXT) | instid1(SALU_CYCLE_1)
	s_ashr_i32 s1, s0, 31
	s_lshl_b64 s[0:1], s[0:1], 2
	s_delay_alu instid0(SALU_CYCLE_1)
	s_add_u32 s0, s8, s0
	s_addc_u32 s1, s9, s1
	global_store_b32 v5, v0, s[0:1]
	s_nop 0
	s_sendmsg sendmsg(MSG_DEALLOC_VGPRS)
	s_endpgm
	.section	.rodata,"a",@progbits
	.p2align	6, 0x0
	.amdhsa_kernel _ZL26flash_attn_combine_resultsILi64EEvPKfPK15HIP_vector_typeIfLj2EEPfi
		.amdhsa_group_segment_fixed_size 0
		.amdhsa_private_segment_fixed_size 0
		.amdhsa_kernarg_size 288
		.amdhsa_user_sgpr_count 13
		.amdhsa_user_sgpr_dispatch_ptr 0
		.amdhsa_user_sgpr_queue_ptr 0
		.amdhsa_user_sgpr_kernarg_segment_ptr 1
		.amdhsa_user_sgpr_dispatch_id 0
		.amdhsa_user_sgpr_private_segment_size 0
		.amdhsa_wavefront_size32 1
		.amdhsa_uses_dynamic_stack 0
		.amdhsa_enable_private_segment 0
		.amdhsa_system_sgpr_workgroup_id_x 1
		.amdhsa_system_sgpr_workgroup_id_y 1
		.amdhsa_system_sgpr_workgroup_id_z 1
		.amdhsa_system_sgpr_workgroup_info 0
		.amdhsa_system_vgpr_workitem_id 0
		.amdhsa_next_free_vgpr 55
		.amdhsa_next_free_sgpr 16
		.amdhsa_reserve_vcc 1
		.amdhsa_float_round_mode_32 0
		.amdhsa_float_round_mode_16_64 0
		.amdhsa_float_denorm_mode_32 3
		.amdhsa_float_denorm_mode_16_64 3
		.amdhsa_dx10_clamp 1
		.amdhsa_ieee_mode 1
		.amdhsa_fp16_overflow 0
		.amdhsa_workgroup_processor_mode 1
		.amdhsa_memory_ordered 1
		.amdhsa_forward_progress 0
		.amdhsa_shared_vgpr_count 0
		.amdhsa_exception_fp_ieee_invalid_op 0
		.amdhsa_exception_fp_denorm_src 0
		.amdhsa_exception_fp_ieee_div_zero 0
		.amdhsa_exception_fp_ieee_overflow 0
		.amdhsa_exception_fp_ieee_underflow 0
		.amdhsa_exception_fp_ieee_inexact 0
		.amdhsa_exception_int_div_zero 0
	.end_amdhsa_kernel
	.section	.text._ZL26flash_attn_combine_resultsILi64EEvPKfPK15HIP_vector_typeIfLj2EEPfi,"axG",@progbits,_ZL26flash_attn_combine_resultsILi64EEvPKfPK15HIP_vector_typeIfLj2EEPfi,comdat
.Lfunc_end8:
	.size	_ZL26flash_attn_combine_resultsILi64EEvPKfPK15HIP_vector_typeIfLj2EEPfi, .Lfunc_end8-_ZL26flash_attn_combine_resultsILi64EEvPKfPK15HIP_vector_typeIfLj2EEPfi
                                        ; -- End function
	.section	.AMDGPU.csdata,"",@progbits
; Kernel info:
; codeLenInByte = 2344
; NumSgprs: 18
; NumVgprs: 55
; ScratchSize: 0
; MemoryBound: 0
; FloatMode: 240
; IeeeMode: 1
; LDSByteSize: 0 bytes/workgroup (compile time only)
; SGPRBlocks: 2
; VGPRBlocks: 6
; NumSGPRsForWavesPerEU: 18
; NumVGPRsForWavesPerEU: 55
; Occupancy: 16
; WaveLimiterHint : 0
; COMPUTE_PGM_RSRC2:SCRATCH_EN: 0
; COMPUTE_PGM_RSRC2:USER_SGPR: 13
; COMPUTE_PGM_RSRC2:TRAP_HANDLER: 0
; COMPUTE_PGM_RSRC2:TGID_X_EN: 1
; COMPUTE_PGM_RSRC2:TGID_Y_EN: 1
; COMPUTE_PGM_RSRC2:TGID_Z_EN: 1
; COMPUTE_PGM_RSRC2:TIDIG_COMP_CNT: 0
	.section	.text._ZL18flash_attn_ext_f16ILi80ELi80ELi8ELi4ELb0ELb0EEvPKcS1_S1_S1_S1_PKiPfP15HIP_vector_typeIfLj2EEffffjfiS5_IjLj3EEiiiiiiiiiiiliiliiiiil,"axG",@progbits,_ZL18flash_attn_ext_f16ILi80ELi80ELi8ELi4ELb0ELb0EEvPKcS1_S1_S1_S1_PKiPfP15HIP_vector_typeIfLj2EEffffjfiS5_IjLj3EEiiiiiiiiiiiliiliiiiil,comdat
	.globl	_ZL18flash_attn_ext_f16ILi80ELi80ELi8ELi4ELb0ELb0EEvPKcS1_S1_S1_S1_PKiPfP15HIP_vector_typeIfLj2EEffffjfiS5_IjLj3EEiiiiiiiiiiiliiliiiiil ; -- Begin function _ZL18flash_attn_ext_f16ILi80ELi80ELi8ELi4ELb0ELb0EEvPKcS1_S1_S1_S1_PKiPfP15HIP_vector_typeIfLj2EEffffjfiS5_IjLj3EEiiiiiiiiiiiliiliiiiil
	.p2align	8
	.type	_ZL18flash_attn_ext_f16ILi80ELi80ELi8ELi4ELb0ELb0EEvPKcS1_S1_S1_S1_PKiPfP15HIP_vector_typeIfLj2EEffffjfiS5_IjLj3EEiiiiiiiiiiiliiliiiiil,@function
_ZL18flash_attn_ext_f16ILi80ELi80ELi8ELi4ELb0ELb0EEvPKcS1_S1_S1_S1_PKiPfP15HIP_vector_typeIfLj2EEffffjfiS5_IjLj3EEiiiiiiiiiiiliiliiiiil: ; @_ZL18flash_attn_ext_f16ILi80ELi80ELi8ELi4ELb0ELb0EEvPKcS1_S1_S1_S1_PKiPfP15HIP_vector_typeIfLj2EEffffjfiS5_IjLj3EEiiiiiiiiiiiliiliiiiil
; %bb.0:
	s_clause 0x2
	s_load_b64 s[2:3], s[0:1], 0x80
	s_load_b128 s[44:47], s[0:1], 0x64
	s_load_b32 s36, s[0:1], 0xd0
                                        ; implicit-def: $vgpr255 : SGPR spill to VGPR lane
	s_waitcnt lgkmcnt(0)
	s_abs_i32 s4, s3
	s_abs_i32 s7, s45
	v_cvt_f32_u32_e32 v1, s4
	s_sub_i32 s6, 0, s4
	v_cvt_f32_u32_e32 v3, s36
	s_delay_alu instid0(VALU_DEP_2) | instskip(SKIP_2) | instid1(VALU_DEP_1)
	v_rcp_iflag_f32_e32 v1, v1
	s_waitcnt_depctr 0xfff
	v_mul_f32_e32 v1, 0x4f7ffffe, v1
	v_cvt_u32_f32_e32 v1, v1
	s_delay_alu instid0(VALU_DEP_1) | instskip(SKIP_1) | instid1(VALU_DEP_2)
	v_readfirstlane_b32 s5, v1
	v_cvt_f32_ubyte0_e32 v1, 0
	s_mul_i32 s6, s6, s5
	s_delay_alu instid0(SALU_CYCLE_1) | instskip(NEXT) | instid1(SALU_CYCLE_1)
	s_mul_hi_u32 s6, s5, s6
	s_add_i32 s5, s5, s6
	s_xor_b32 s6, s45, s3
	s_mul_hi_u32 s5, s7, s5
	s_ashr_i32 s6, s6, 31
	s_mul_i32 s8, s5, s4
	s_delay_alu instid0(SALU_CYCLE_1)
	s_sub_i32 s7, s7, s8
	s_add_i32 s8, s5, 1
	s_sub_i32 s9, s7, s4
	s_cmp_ge_u32 s7, s4
	s_cselect_b32 s5, s8, s5
	s_cselect_b32 s7, s9, s7
	s_add_i32 s8, s5, 1
	s_cmp_ge_u32 s7, s4
	s_cselect_b32 s4, s8, s5
	s_add_i32 s2, s2, 63
	s_xor_b32 s4, s4, s6
	s_add_i32 s5, s44, 7
	s_sub_i32 s33, s4, s6
	s_ashr_i32 s7, s2, 31
	s_add_i32 s4, s33, 3
	s_lshr_b32 s75, s5, 3
	s_lshr_b32 s5, s7, 26
	s_ashr_i32 s6, s4, 31
	s_add_i32 s2, s2, s5
	s_lshr_b32 s5, s6, 30
	s_ashr_i32 s80, s2, 6
	s_add_i32 s4, s4, s5
	s_mul_i32 s20, s75, s80
	s_ashr_i32 s2, s4, 2
	s_delay_alu instid0(SALU_CYCLE_1) | instskip(NEXT) | instid1(SALU_CYCLE_1)
	s_mul_i32 s2, s20, s2
	v_writelane_b32 v255, s2, 0
	s_mul_i32 s2, s2, s3
	s_delay_alu instid0(SALU_CYCLE_1) | instskip(NEXT) | instid1(SALU_CYCLE_1)
	s_mul_i32 s4, s2, s46
	s_ashr_i32 s5, s4, 31
	s_mul_hi_u32 s3, s4, s15
	s_mul_i32 s6, s5, s15
	v_writelane_b32 v255, s2, 1
	s_mov_b32 s2, 0
	s_add_i32 s3, s3, s6
	s_mul_i32 s6, s4, s15
	s_cmp_lg_u64 s[2:3], 0
	s_cbranch_scc0 .LBB9_5
; %bb.1:
	v_fmamk_f32 v2, v1, 0x4f800000, v3
	s_sub_u32 s9, 0, s36
	s_subb_u32 s10, 0, 0
	s_delay_alu instid0(VALU_DEP_1) | instskip(SKIP_2) | instid1(VALU_DEP_1)
	v_rcp_f32_e32 v2, v2
	s_waitcnt_depctr 0xfff
	v_mul_f32_e32 v2, 0x5f7ffffc, v2
	v_mul_f32_e32 v4, 0x2f800000, v2
	s_delay_alu instid0(VALU_DEP_1) | instskip(NEXT) | instid1(VALU_DEP_1)
	v_trunc_f32_e32 v4, v4
	v_fmamk_f32 v2, v4, 0xcf800000, v2
	v_cvt_u32_f32_e32 v4, v4
	s_delay_alu instid0(VALU_DEP_2) | instskip(NEXT) | instid1(VALU_DEP_2)
	v_cvt_u32_f32_e32 v2, v2
	v_readfirstlane_b32 s7, v4
	s_delay_alu instid0(VALU_DEP_2) | instskip(NEXT) | instid1(VALU_DEP_2)
	v_readfirstlane_b32 s8, v2
	s_mul_i32 s11, s9, s7
	s_delay_alu instid0(VALU_DEP_1)
	s_mul_hi_u32 s13, s9, s8
	s_mul_i32 s12, s10, s8
	s_add_i32 s11, s13, s11
	s_mul_i32 s14, s9, s8
	s_add_i32 s11, s11, s12
	s_mul_hi_u32 s13, s8, s14
	s_mul_hi_u32 s17, s7, s14
	s_mul_i32 s12, s7, s14
	s_mul_hi_u32 s14, s8, s11
	s_mul_i32 s8, s8, s11
	s_mul_hi_u32 s16, s7, s11
	s_add_u32 s8, s13, s8
	s_addc_u32 s13, 0, s14
	s_add_u32 s8, s8, s12
	s_mul_i32 s11, s7, s11
	s_addc_u32 s8, s13, s17
	s_addc_u32 s12, s16, 0
	s_add_u32 s8, s8, s11
	s_addc_u32 s11, 0, s12
	v_add_co_u32 v2, s8, v2, s8
	s_delay_alu instid0(VALU_DEP_1) | instskip(SKIP_1) | instid1(VALU_DEP_1)
	s_cmp_lg_u32 s8, 0
	s_addc_u32 s7, s7, s11
	v_readfirstlane_b32 s8, v2
	s_mul_i32 s11, s9, s7
	s_delay_alu instid0(VALU_DEP_1)
	s_mul_hi_u32 s12, s9, s8
	s_mul_i32 s10, s10, s8
	s_add_i32 s11, s12, s11
	s_mul_i32 s9, s9, s8
	s_add_i32 s11, s11, s10
	s_mul_hi_u32 s12, s7, s9
	s_mul_i32 s13, s7, s9
	s_mul_hi_u32 s9, s8, s9
	s_mul_hi_u32 s14, s8, s11
	s_mul_i32 s8, s8, s11
	s_mul_hi_u32 s10, s7, s11
	s_add_u32 s8, s9, s8
	s_addc_u32 s9, 0, s14
	s_add_u32 s8, s8, s13
	s_mul_i32 s11, s7, s11
	s_addc_u32 s8, s9, s12
	s_addc_u32 s9, s10, 0
	s_add_u32 s8, s8, s11
	s_addc_u32 s9, 0, s9
	v_add_co_u32 v2, s8, v2, s8
	s_delay_alu instid0(VALU_DEP_1) | instskip(SKIP_2) | instid1(SALU_CYCLE_1)
	s_cmp_lg_u32 s8, 0
	s_addc_u32 s7, s7, s9
	s_ashr_i32 s8, s3, 31
	s_add_u32 s10, s6, s8
	s_addc_u32 s11, s3, s8
	v_readfirstlane_b32 s3, v2
	s_mov_b32 s9, s8
	s_delay_alu instid0(SALU_CYCLE_1) | instskip(NEXT) | instid1(SALU_CYCLE_1)
	s_xor_b64 s[10:11], s[10:11], s[8:9]
	s_mul_i32 s13, s10, s7
	s_delay_alu instid0(VALU_DEP_1)
	s_mul_hi_u32 s14, s10, s3
	s_mul_hi_u32 s12, s10, s7
	;; [unrolled: 1-line block ×3, first 2 shown]
	s_mul_i32 s3, s11, s3
	s_add_u32 s13, s14, s13
	s_addc_u32 s12, 0, s12
	s_mul_hi_u32 s17, s11, s7
	s_add_u32 s3, s13, s3
	s_mul_i32 s7, s11, s7
	s_addc_u32 s3, s12, s16
	s_addc_u32 s12, s17, 0
	s_add_u32 s3, s3, s7
	s_addc_u32 s7, 0, s12
	s_mul_i32 s13, s36, s3
	s_add_u32 s12, s3, 1
	v_sub_co_u32 v2, s10, s10, s13
	s_mul_hi_u32 s13, s36, s3
	s_addc_u32 s14, s7, 0
	s_mul_i32 s19, s36, s7
	s_delay_alu instid0(VALU_DEP_1)
	v_sub_co_u32 v4, s16, v2, s36
	s_add_u32 s17, s3, 2
	s_addc_u32 s18, s7, 0
	s_add_i32 s13, s13, s19
	s_cmp_lg_u32 s10, 0
	v_readfirstlane_b32 s10, v4
	s_subb_u32 s11, s11, s13
	s_cmp_lg_u32 s16, 0
	s_subb_u32 s13, s11, 0
	s_delay_alu instid0(VALU_DEP_1) | instskip(SKIP_4) | instid1(SALU_CYCLE_1)
	s_cmp_ge_u32 s10, s36
	s_cselect_b32 s10, -1, 0
	s_cmp_eq_u32 s13, 0
	v_readfirstlane_b32 s13, v2
	s_cselect_b32 s10, s10, -1
	s_cmp_lg_u32 s10, 0
	s_cselect_b32 s10, s17, s12
	s_cselect_b32 s12, s18, s14
	s_cmp_ge_u32 s13, s36
	s_cselect_b32 s13, -1, 0
	s_cmp_eq_u32 s11, 0
	s_cselect_b32 s11, s13, -1
	s_delay_alu instid0(SALU_CYCLE_1) | instskip(SKIP_2) | instid1(SALU_CYCLE_1)
	s_cmp_lg_u32 s11, 0
	s_cselect_b32 s11, s12, s7
	s_cselect_b32 s10, s10, s3
	s_xor_b64 s[10:11], s[10:11], s[8:9]
	s_delay_alu instid0(SALU_CYCLE_1)
	s_sub_u32 s58, s10, s8
	s_load_b64 s[56:57], s[0:1], 0x74
	v_cvt_f32_u32_e32 v2, s36
	s_and_not1_b32 vcc_lo, exec_lo, s2
	s_cbranch_vccnz .LBB9_3
.LBB9_2:
	s_delay_alu instid0(VALU_DEP_1) | instskip(SKIP_3) | instid1(VALU_DEP_1)
	v_rcp_iflag_f32_e32 v4, v2
	s_sub_i32 s3, 0, s36
	s_waitcnt_depctr 0xfff
	v_mul_f32_e32 v4, 0x4f7ffffe, v4
	v_cvt_u32_f32_e32 v4, v4
	s_delay_alu instid0(VALU_DEP_1) | instskip(NEXT) | instid1(VALU_DEP_1)
	v_readfirstlane_b32 s2, v4
	s_mul_i32 s3, s3, s2
	s_delay_alu instid0(SALU_CYCLE_1) | instskip(NEXT) | instid1(SALU_CYCLE_1)
	s_mul_hi_u32 s3, s2, s3
	s_add_i32 s2, s2, s3
	s_delay_alu instid0(SALU_CYCLE_1) | instskip(NEXT) | instid1(SALU_CYCLE_1)
	s_mul_hi_u32 s2, s6, s2
	s_mul_i32 s3, s2, s36
	s_delay_alu instid0(SALU_CYCLE_1)
	s_sub_i32 s3, s6, s3
	s_add_i32 s6, s2, 1
	s_sub_i32 s7, s3, s36
	s_cmp_ge_u32 s3, s36
	s_cselect_b32 s2, s6, s2
	s_cselect_b32 s3, s7, s3
	s_add_i32 s6, s2, 1
	s_cmp_ge_u32 s3, s36
	s_cselect_b32 s58, s6, s2
.LBB9_3:
	s_add_i32 s6, s15, 1
	s_delay_alu instid0(SALU_CYCLE_1) | instskip(SKIP_4) | instid1(SALU_CYCLE_1)
	s_mul_i32 s2, s5, s6
	s_mul_hi_u32 s3, s4, s6
	s_mul_i32 s4, s4, s6
	s_add_i32 s3, s3, s2
	s_mov_b32 s2, 0
	s_cmp_lg_u64 s[2:3], 0
	s_cbranch_scc0 .LBB9_6
; %bb.4:
	v_fmamk_f32 v1, v1, 0x4f800000, v3
	s_sub_u32 s7, 0, s36
	s_subb_u32 s8, 0, 0
	s_delay_alu instid0(VALU_DEP_1) | instskip(SKIP_2) | instid1(VALU_DEP_1)
	v_rcp_f32_e32 v1, v1
	s_waitcnt_depctr 0xfff
	v_mul_f32_e32 v1, 0x5f7ffffc, v1
	v_mul_f32_e32 v3, 0x2f800000, v1
	s_delay_alu instid0(VALU_DEP_1) | instskip(NEXT) | instid1(VALU_DEP_1)
	v_trunc_f32_e32 v3, v3
	v_fmamk_f32 v1, v3, 0xcf800000, v1
	v_cvt_u32_f32_e32 v3, v3
	s_delay_alu instid0(VALU_DEP_2) | instskip(NEXT) | instid1(VALU_DEP_2)
	v_cvt_u32_f32_e32 v1, v1
	v_readfirstlane_b32 s5, v3
	s_delay_alu instid0(VALU_DEP_2) | instskip(NEXT) | instid1(VALU_DEP_2)
	v_readfirstlane_b32 s6, v1
	s_mul_i32 s9, s7, s5
	s_delay_alu instid0(VALU_DEP_1)
	s_mul_hi_u32 s11, s7, s6
	s_mul_i32 s10, s8, s6
	s_add_i32 s9, s11, s9
	s_mul_i32 s12, s7, s6
	s_add_i32 s9, s9, s10
	s_mul_hi_u32 s11, s6, s12
	s_mul_hi_u32 s13, s5, s12
	s_mul_i32 s10, s5, s12
	s_mul_hi_u32 s12, s6, s9
	s_mul_i32 s6, s6, s9
	s_mul_hi_u32 s14, s5, s9
	s_add_u32 s6, s11, s6
	s_addc_u32 s11, 0, s12
	s_add_u32 s6, s6, s10
	s_mul_i32 s9, s5, s9
	s_addc_u32 s6, s11, s13
	s_addc_u32 s10, s14, 0
	s_add_u32 s6, s6, s9
	s_addc_u32 s9, 0, s10
	v_add_co_u32 v1, s6, v1, s6
	s_delay_alu instid0(VALU_DEP_1) | instskip(SKIP_1) | instid1(VALU_DEP_1)
	s_cmp_lg_u32 s6, 0
	s_addc_u32 s5, s5, s9
	v_readfirstlane_b32 s6, v1
	s_mul_i32 s9, s7, s5
	s_delay_alu instid0(VALU_DEP_1)
	s_mul_hi_u32 s10, s7, s6
	s_mul_i32 s8, s8, s6
	s_add_i32 s9, s10, s9
	s_mul_i32 s7, s7, s6
	s_add_i32 s9, s9, s8
	s_mul_hi_u32 s10, s5, s7
	s_mul_i32 s11, s5, s7
	s_mul_hi_u32 s7, s6, s7
	s_mul_hi_u32 s12, s6, s9
	s_mul_i32 s6, s6, s9
	s_mul_hi_u32 s8, s5, s9
	s_add_u32 s6, s7, s6
	s_addc_u32 s7, 0, s12
	s_add_u32 s6, s6, s11
	s_mul_i32 s9, s5, s9
	s_addc_u32 s6, s7, s10
	s_addc_u32 s7, s8, 0
	s_add_u32 s6, s6, s9
	s_addc_u32 s7, 0, s7
	v_add_co_u32 v1, s6, v1, s6
	s_delay_alu instid0(VALU_DEP_1) | instskip(SKIP_2) | instid1(SALU_CYCLE_1)
	s_cmp_lg_u32 s6, 0
	s_addc_u32 s5, s5, s7
	s_ashr_i32 s6, s3, 31
	s_add_u32 s8, s4, s6
	s_addc_u32 s9, s3, s6
	v_readfirstlane_b32 s3, v1
	s_mov_b32 s7, s6
	s_delay_alu instid0(SALU_CYCLE_1) | instskip(NEXT) | instid1(SALU_CYCLE_1)
	s_xor_b64 s[8:9], s[8:9], s[6:7]
	s_mul_i32 s11, s8, s5
	s_delay_alu instid0(VALU_DEP_1)
	s_mul_hi_u32 s12, s8, s3
	s_mul_hi_u32 s10, s8, s5
	;; [unrolled: 1-line block ×3, first 2 shown]
	s_mul_i32 s3, s9, s3
	s_add_u32 s11, s12, s11
	s_addc_u32 s10, 0, s10
	s_mul_hi_u32 s13, s9, s5
	s_add_u32 s3, s11, s3
	s_mul_i32 s5, s9, s5
	s_addc_u32 s3, s10, s14
	s_addc_u32 s10, s13, 0
	s_add_u32 s3, s3, s5
	s_addc_u32 s5, 0, s10
	s_mul_i32 s11, s36, s3
	s_add_u32 s10, s3, 1
	v_sub_co_u32 v1, s8, s8, s11
	s_mul_hi_u32 s11, s36, s3
	s_addc_u32 s12, s5, 0
	s_mul_i32 s13, s36, s5
	s_delay_alu instid0(VALU_DEP_1)
	v_sub_co_u32 v3, s14, v1, s36
	s_add_u32 s17, s3, 2
	s_addc_u32 s16, s5, 0
	s_add_i32 s11, s11, s13
	s_cmp_lg_u32 s8, 0
	v_readfirstlane_b32 s8, v3
	s_subb_u32 s9, s9, s11
	s_cmp_lg_u32 s14, 0
	s_subb_u32 s11, s9, 0
	s_delay_alu instid0(VALU_DEP_1) | instskip(SKIP_4) | instid1(SALU_CYCLE_1)
	s_cmp_ge_u32 s8, s36
	s_cselect_b32 s8, -1, 0
	s_cmp_eq_u32 s11, 0
	v_readfirstlane_b32 s11, v1
	s_cselect_b32 s8, s8, -1
	s_cmp_lg_u32 s8, 0
	s_cselect_b32 s8, s17, s10
	s_cselect_b32 s10, s16, s12
	s_cmp_ge_u32 s11, s36
	s_cselect_b32 s11, -1, 0
	s_cmp_eq_u32 s9, 0
	s_cselect_b32 s9, s11, -1
	s_delay_alu instid0(SALU_CYCLE_1) | instskip(SKIP_2) | instid1(SALU_CYCLE_1)
	s_cmp_lg_u32 s9, 0
	s_cselect_b32 s9, s10, s5
	s_cselect_b32 s8, s8, s3
	s_xor_b64 s[8:9], s[8:9], s[6:7]
	s_delay_alu instid0(SALU_CYCLE_1)
	s_sub_u32 s62, s8, s6
	s_branch .LBB9_7
.LBB9_5:
                                        ; implicit-def: $sgpr58_sgpr59
	s_load_b64 s[56:57], s[0:1], 0x74
	v_cvt_f32_u32_e32 v2, s36
	s_branch .LBB9_2
.LBB9_6:
	s_mov_b32 s2, -1
                                        ; implicit-def: $sgpr62_sgpr63
.LBB9_7:
	s_load_b64 s[34:35], s[0:1], 0x5c
	v_writelane_b32 v255, s20, 2
	s_and_not1_b32 vcc_lo, exec_lo, s2
	s_cbranch_vccnz .LBB9_9
; %bb.8:
	v_rcp_iflag_f32_e32 v1, v2
	s_sub_i32 s3, 0, s36
	s_waitcnt_depctr 0xfff
	v_mul_f32_e32 v1, 0x4f7ffffe, v1
	s_delay_alu instid0(VALU_DEP_1) | instskip(NEXT) | instid1(VALU_DEP_1)
	v_cvt_u32_f32_e32 v1, v1
	v_readfirstlane_b32 s2, v1
	s_delay_alu instid0(VALU_DEP_1) | instskip(NEXT) | instid1(SALU_CYCLE_1)
	s_mul_i32 s3, s3, s2
	s_mul_hi_u32 s3, s2, s3
	s_delay_alu instid0(SALU_CYCLE_1) | instskip(NEXT) | instid1(SALU_CYCLE_1)
	s_add_i32 s2, s2, s3
	s_mul_hi_u32 s2, s4, s2
	s_delay_alu instid0(SALU_CYCLE_1) | instskip(NEXT) | instid1(SALU_CYCLE_1)
	s_mul_i32 s3, s2, s36
	s_sub_i32 s3, s4, s3
	s_add_i32 s4, s2, 1
	s_sub_i32 s5, s3, s36
	s_cmp_ge_u32 s3, s36
	s_cselect_b32 s2, s4, s2
	s_cselect_b32 s3, s5, s3
	s_add_i32 s4, s2, 1
	s_cmp_ge_u32 s3, s36
	s_cselect_b32 s62, s4, s2
.LBB9_9:
	s_abs_i32 s81, s80
	v_bfe_u32 v235, v0, 10, 10
	v_cvt_f32_u32_e32 v1, s81
	s_clause 0x6
	s_load_b512 s[16:31], s[0:1], 0x0
	s_load_b32 s2, s[0:1], 0x40
	s_load_b64 s[90:91], s[0:1], 0x8c
	s_load_b64 s[38:39], s[0:1], 0xb8
	s_load_b128 s[48:51], s[0:1], 0x98
	s_load_b64 s[52:53], s[0:1], 0xa8
	s_load_b64 s[54:55], s[0:1], 0xc8
	s_sub_i32 s1, 0, s81
	s_abs_i32 s3, s58
	v_rcp_iflag_f32_e32 v1, v1
	s_ashr_i32 s59, s47, 3
	s_waitcnt lgkmcnt(0)
	s_ashr_i32 s14, s56, 3
	s_ashr_i32 s0, s58, 31
	;; [unrolled: 1-line block ×3, first 2 shown]
	v_and_b32_e32 v236, 0x3ff, v0
	v_add_nc_u32_e32 v129, 4, v235
	v_and_b32_e32 v223, 1, v235
	v_and_b32_e32 v179, 3, v235
	v_lshrrev_b32_e32 v188, 2, v235
	s_waitcnt_depctr 0xfff
	v_dual_mul_f32 v1, 0x4f7ffffe, v1 :: v_dual_lshlrev_b32 v222, 3, v235
	v_add_nc_u32_e32 v71, 8, v235
	v_add_nc_u32_e32 v70, 12, v235
	v_cvt_f16_f32_e32 v0, s2
	s_delay_alu instid0(VALU_DEP_4)
	v_cvt_u32_f32_e32 v1, v1
	s_ashr_i32 s12, s90, 2
	s_ashr_i32 s46, s39, 1
	;; [unrolled: 1-line block ×3, first 2 shown]
	v_add_nc_u32_e32 v69, 16, v235
	v_readfirstlane_b32 s83, v1
	v_add_nc_u32_e32 v68, 20, v235
	v_add_nc_u32_e32 v67, 24, v235
	v_pack_b32_f16 v147, v0, v0
	v_add_nc_u32_e32 v66, 28, v235
	s_mul_i32 s1, s1, s83
	v_mov_b32_e32 v0, v236
	s_mul_hi_u32 s1, s83, s1
	s_mov_b32 s65, 0
	s_add_i32 s83, s83, s1
	scratch_store_b64 off, v[0:1], off offset:120 ; 8-byte Folded Spill
	s_mul_hi_u32 s1, s3, s83
	s_delay_alu instid0(SALU_CYCLE_1) | instskip(NEXT) | instid1(SALU_CYCLE_1)
	s_mul_i32 s1, s1, s81
	s_sub_i32 s1, s3, s1
	s_delay_alu instid0(SALU_CYCLE_1) | instskip(SKIP_2) | instid1(SALU_CYCLE_1)
	s_sub_i32 s3, s1, s81
	s_cmp_ge_u32 s1, s81
	s_cselect_b32 s1, s3, s1
	s_sub_i32 s3, s1, s81
	s_cmp_ge_u32 s1, s81
	s_cselect_b32 s1, s3, s1
	s_sub_i32 s3, s62, s58
	s_xor_b32 s1, s1, s0
	s_delay_alu instid0(SALU_CYCLE_1) | instskip(NEXT) | instid1(SALU_CYCLE_1)
	s_sub_i32 s104, s1, s0
	s_add_i32 s0, s3, s104
	s_delay_alu instid0(SALU_CYCLE_1)
	s_min_i32 s103, s80, s0
	s_cmp_gt_i32 s62, s58
	s_cselect_b32 s3, -1, 0
	s_cmp_le_i32 s62, s58
	s_cselect_b32 s1, -1, 0
	s_cmp_gt_i32 s80, s0
	s_cselect_b32 s0, -1, 0
	s_delay_alu instid0(SALU_CYCLE_1) | instskip(NEXT) | instid1(SALU_CYCLE_1)
	s_or_b32 s0, s0, s1
	s_and_b32 vcc_lo, exec_lo, s0
	s_cbranch_vccnz .LBB9_320
; %bb.10:
	v_lshrrev_b32_e32 v15, 3, v236
	v_writelane_b32 v255, s36, 3
	s_cmp_eq_u64 s[24:25], 0
	v_lshrrev_b32_e32 v2, 1, v236
	s_cselect_b32 s0, -1, 0
	v_lshl_add_u32 v24, v235, 2, v15
	v_writelane_b32 v255, s0, 4
	s_cmp_lg_u64 s[26:27], 0
	v_bfe_u32 v115, v236, 3, 2
	v_lshlrev_b32_e32 v25, 4, v235
	v_mul_lo_u32 v0, s12, v24
	s_cselect_b32 s0, -1, 0
	s_lshl_b32 s64, s15, 5
	v_writelane_b32 v255, s0, 5
	s_lshl_b32 s0, s12, 4
	v_add_nc_u32_e32 v19, v25, v2
	v_dual_mov_b32 v118, 0 :: v_dual_and_b32 v1, 0x3f0, v222
	s_delay_alu instid0(VALU_DEP_4)
	v_add_nc_u32_e32 v2, s0, v0
	v_lshlrev_b32_e32 v156, 2, v236
	v_add_nc_u32_e32 v26, 16, v24
	s_lshl_b64 s[4:5], s[64:65], 3
	s_ashr_i32 s47, s46, 31
	v_add_nc_u32_e32 v4, s0, v2
	s_ashr_i32 s13, s12, 31
	s_ashr_i32 s11, s10, 31
	v_and_b32_e32 v18, 4, v156
	v_and_or_b32 v11, v236, 12, v1
	v_add_nc_u32_e32 v6, s0, v4
	s_lshl_b32 s0, s10, 4
	s_add_u32 s3, s30, s4
	s_addc_u32 s4, s31, s5
	s_abs_i32 s88, s38
	v_lshrrev_b32_e32 v237, 2, v26
	v_cvt_f32_u32_e32 v64, s88
	v_mul_lo_u32 v8, s12, v19
	v_mul_lo_u32 v16, s10, v19
	v_lshrrev_b32_e32 v160, 4, v236
	v_lshrrev_b32_e32 v21, 2, v11
	v_and_b32_e32 v22, 8, v222
	v_mad_u32_u24 v19, 0xb0, v19, 0
	v_rcp_iflag_f32_e32 v64, v64
	v_and_b32_e32 v20, 16, v25
	v_mad_u64_u32 v[183:184], null, v179, s14, v[236:237]
	v_lshlrev_b32_e32 v27, 2, v18
	v_and_b32_e32 v23, 15, v236
	s_delay_alu instid0(VALU_DEP_4)
	v_mul_u32_u24_e32 v159, 0xb0, v20
	v_mul_u32_u24_e32 v22, 0x160, v22
	v_mad_u32_u24 v21, 0x90, v21, 0
	v_lshlrev_b32_e32 v28, 1, v160
	v_lshlrev_b32_e32 v20, 1, v20
	v_add3_u32 v161, v19, v27, 0x80
	v_lshrrev_b32_e32 v27, 1, v235
	v_lshlrev_b32_e32 v29, 1, v23
	v_add3_u32 v19, 0, 64, v22
	v_add3_u32 v162, v21, v28, v20
	;; [unrolled: 1-line block ×3, first 2 shown]
	v_add_nc_u32_e32 v31, 8, v27
	v_add3_u32 v30, 0, 32, v22
	v_add3_u32 v165, v19, v29, 0x1600
	;; [unrolled: 1-line block ×4, first 2 shown]
	v_or_b32_e32 v20, v25, v23
	v_lshlrev_b32_e32 v33, 1, v31
	v_and_b32_e32 v34, 15, v31
	v_add_nc_u32_e32 v19, 2, v27
	v_add3_u32 v163, 0, v22, v29
	v_mul_u32_u24_e32 v20, 0xb0, v20
	v_add3_u32 v164, v30, v29, 0x1600
	v_and_or_b32 v33, 0xe0, v33, v34
	v_add_nc_u32_e32 v34, 14, v27
	v_add3_u32 v167, v21, v29, 0x1600
	v_lshlrev_b32_e32 v21, 1, v19
	v_and_b32_e32 v22, 15, v19
	v_add_nc_u32_e32 v30, 4, v27
	v_add3_u32 v168, 0, v20, v28
	v_add_nc_u32_e32 v20, 6, v27
	v_lshlrev_b32_e32 v39, 1, v34
	v_and_b32_e32 v40, 15, v34
	v_lshl_add_u32 v29, v235, 1, v15
	v_and_or_b32 v28, 0xe0, v21, v22
	v_lshlrev_b32_e32 v15, 1, v30
	v_and_b32_e32 v21, 15, v30
	v_lshlrev_b32_e32 v22, 1, v20
	v_and_b32_e32 v32, 15, v20
	v_add_nc_u32_e32 v36, 10, v27
	v_add_nc_u32_e32 v37, 12, v27
	v_and_or_b32 v39, 0xe0, v39, v40
	v_add_nc_u32_e32 v40, 22, v27
	v_and_or_b32 v35, 0xe0, v15, v21
	v_and_or_b32 v32, 0xe0, v22, v32
	v_lshlrev_b32_e32 v15, 1, v36
	v_and_b32_e32 v21, 15, v36
	v_lshlrev_b32_e32 v22, 1, v37
	v_and_b32_e32 v38, 15, v37
	v_add_nc_u32_e32 v42, 18, v27
	v_add_nc_u32_e32 v43, 20, v27
	v_lshlrev_b32_e32 v45, 1, v40
	v_and_b32_e32 v46, 15, v40
	v_and_or_b32 v41, 0xe0, v15, v21
	v_and_or_b32 v38, 0xe0, v22, v38
	v_lshlrev_b32_e32 v15, 1, v42
	v_and_b32_e32 v21, 15, v42
	v_lshlrev_b32_e32 v22, 1, v43
	v_and_b32_e32 v44, 15, v43
	v_add_nc_u32_e32 v47, 24, v27
	v_add_nc_u32_e32 v49, 26, v27
	v_and_or_b32 v45, 0xe0, v45, v46
	v_add_nc_u32_e32 v46, 28, v27
	v_and_or_b32 v48, 0xe0, v15, v21
	v_and_or_b32 v44, 0xe0, v22, v44
	v_lshlrev_b32_e32 v15, 1, v47
	v_and_b32_e32 v21, 15, v47
	v_lshlrev_b32_e32 v22, 1, v49
	v_add_nc_u32_e32 v50, 30, v27
	v_and_b32_e32 v51, 15, v49
	v_lshlrev_b32_e32 v52, 1, v46
	v_and_b32_e32 v53, 15, v46
	v_writelane_b32 v255, s15, 6
	v_and_or_b32 v54, 0xe0, v15, v21
	v_lshlrev_b32_e32 v15, 1, v50
	v_and_b32_e32 v21, 15, v50
	v_and_or_b32 v51, 0xe0, v22, v51
	v_and_or_b32 v52, 0xe0, v52, v53
	v_lshlrev_b32_e32 v22, 1, v29
	v_and_b32_e32 v53, 15, v29
	v_add_nc_u32_e32 v56, 8, v29
	v_readlane_b32 s9, v255, 0
	v_and_or_b32 v55, 0xe0, v15, v21
	s_mul_i32 s90, s75, s80
	v_and_or_b32 v58, 0x3e0, v22, v53
	v_lshlrev_b32_e32 v21, 1, v56
	v_and_b32_e32 v22, 15, v56
	s_abs_i32 s86, s9
	s_abs_i32 s87, s90
	v_readlane_b32 s15, v255, 1
	v_cvt_f32_u32_e32 v63, s87
	v_and_or_b32 v61, 0x7e0, v21, v22
	v_cvt_f32_u32_e32 v21, s86
	s_mov_b32 s2, s38
	s_abs_i32 s85, s15
	v_rcp_iflag_f32_e32 v63, v63
	v_cvt_f32_u32_e32 v15, s85
	v_rcp_iflag_f32_e32 v62, v21
	v_writelane_b32 v255, s2, 7
	v_mad_u32_u24 v189, 0xb0, v1, 0
	v_ashrrev_i32_e32 v1, 31, v0
	v_rcp_iflag_f32_e32 v15, v15
	v_and_b32_e32 v193, 7, v236
	v_writelane_b32 v255, s3, 8
	v_add_nc_u32_e32 v57, 16, v29
	v_lshlrev_b64 v[253:254], 2, v[0:1]
	v_mul_lo_u32 v0, s14, v115
	v_mul_f32_e32 v62, 0x4f7ffffe, v62
	v_mul_u32_u24_e32 v190, 0xb0, v23
	v_mad_u32_u24 v120, 0xb0, v23, 0
	v_mul_f32_e32 v23, 0x4f7ffffe, v63
	v_mul_f32_e32 v63, 0x4f7ffffe, v64
	v_cvt_u32_f32_e32 v62, v62
	v_dual_mul_f32 v15, 0x4f7ffffe, v15 :: v_dual_add_nc_u32 v136, 0, v156
	s_delay_alu instid0(VALU_DEP_4) | instskip(NEXT) | instid1(VALU_DEP_4)
	v_cvt_u32_f32_e32 v23, v23
	v_cvt_u32_f32_e32 v63, v63
	s_delay_alu instid0(VALU_DEP_4)
	v_readfirstlane_b32 s6, v62
	v_or_b32_e32 v62, v222, v236
	v_add3_u32 v116, v0, v193, 32
	v_readfirstlane_b32 s7, v23
	v_mul_u32_u24_e32 v23, 44, v235
	v_readfirstlane_b32 s8, v63
	v_lshlrev_b32_e32 v62, 3, v62
	v_and_b32_e32 v0, 3, v236
	v_lshlrev_b32_e32 v59, 1, v57
	v_lshl_add_u32 v191, v23, 2, v136
	v_add_nc_u32_e32 v23, 16, v27
	v_add_co_u32 v62, s3, s3, v62
	s_delay_alu instid0(VALU_DEP_1)
	v_add_co_ci_u32_e64 v63, null, s4, 0, s3
	v_add_nc_u32_e32 v60, 24, v29
	v_and_or_b32 v53, 0x7e0, v59, v53
	v_ashrrev_i32_e32 v17, 31, v16
	scratch_store_b64 off, v[62:63], off offset:276 ; 8-byte Folded Spill
	v_lshlrev_b32_e32 v63, 1, v23
	v_lshrrev_b32_e32 v23, 2, v23
	v_lshlrev_b32_e32 v22, 1, v60
	v_and_b32_e32 v59, 15, v60
	v_lshlrev_b64 v[124:125], 2, v[16:17]
	v_ashrrev_i32_e32 v9, 31, v8
	scratch_store_b32 off, v23, off offset:452 ; 4-byte Folded Spill
	v_mul_u32_u24_e32 v23, 44, v48
	v_and_or_b32 v59, 0x7e0, v22, v59
	v_mul_lo_u32 v10, s10, v24
	v_lshlrev_b64 v[157:158], 2, v[8:9]
	v_cvt_u32_f32_e32 v65, v15
	v_lshl_add_u32 v23, v23, 2, v136
	v_ashrrev_i32_e32 v3, 31, v2
	v_ashrrev_i32_e32 v5, 31, v4
	;; [unrolled: 1-line block ×3, first 2 shown]
	v_mad_u32_u24 v27, 0xb0, v24, 0
	scratch_store_b32 off, v23, off offset:480 ; 4-byte Folded Spill
	v_lshrrev_b32_e32 v23, 2, v43
	v_ashrrev_i32_e32 v11, 31, v10
	v_add_nc_u32_e32 v12, s0, v10
	v_lshlrev_b64 v[143:144], 2, v[2:3]
	v_lshlrev_b64 v[177:178], 2, v[4:5]
	scratch_store_b32 off, v23, off offset:484 ; 4-byte Folded Spill
	v_mul_u32_u24_e32 v23, 44, v45
	v_lshlrev_b64 v[209:210], 2, v[10:11]
	scratch_store_b32 off, v0, off offset:48 ; 4-byte Folded Spill
	v_lshrrev_b32_e32 v0, 3, v235
	v_ashrrev_i32_e32 v13, 31, v12
	v_lshl_add_u32 v23, v23, 2, v136
	v_add_nc_u32_e32 v14, s0, v12
	v_lshlrev_b64 v[196:197], 2, v[6:7]
	v_lshrrev_b32_e32 v192, 2, v24
	v_lshlrev_b64 v[194:195], 2, v[12:13]
	scratch_store_b32 off, v23, off offset:512 ; 4-byte Folded Spill
	v_lshrrev_b32_e32 v23, 2, v47
	v_ashrrev_i32_e32 v15, 31, v14
	v_add_nc_u32_e32 v21, s0, v14
	v_or_b32_e32 v24, v25, v236
	v_bfe_u32 v62, v235, 1, 4
	scratch_store_b32 off, v23, off offset:516 ; 4-byte Folded Spill
	v_mul_u32_u24_e32 v23, 44, v51
	v_lshlrev_b64 v[249:250], 2, v[14:15]
	v_ashrrev_i32_e32 v22, 31, v21
	v_mul_u32_u24_e32 v24, 0xb0, v24
	v_readfirstlane_b32 s5, v65
	v_lshl_add_u32 v23, v23, 2, v136
	v_and_or_b32 v65, 0x60, v235, v62
	v_lshlrev_b64 v[251:252], 2, v[21:22]
	v_and_or_b32 v62, 0xe0, v63, v62
	s_sub_i32 s3, 0, s85
	scratch_store_b32 off, v23, off offset:544 ; 4-byte Folded Spill
	v_lshrrev_b32_e32 v23, 2, v46
	v_mul_u32_u24_e32 v26, 44, v65
	s_ashr_i32 s4, s15, 31
	s_mul_i32 s3, s3, s5
	v_writelane_b32 v255, s4, 9
	scratch_store_b32 off, v23, off offset:548 ; 4-byte Folded Spill
	v_mul_u32_u24_e32 v23, 44, v55
	s_sub_i32 s4, 0, s86
	s_mul_hi_u32 s3, s5, s3
	s_mul_i32 s4, s4, s6
	s_add_i32 s3, s5, s3
	v_lshl_add_u32 v23, v23, 2, v136
	v_writelane_b32 v255, s3, 10
	s_mul_hi_u32 s3, s6, s4
	s_sub_i32 s4, 0, s88
	v_and_b32_e32 v64, 28, v156
	scratch_store_b32 off, v23, off offset:576 ; 4-byte Folded Spill
	v_lshrrev_b32_e32 v23, 2, v29
	s_mul_i32 s4, s4, s8
	v_lshlrev_b32_e32 v117, 1, v236
	s_mul_hi_u32 s4, s8, s4
	v_lshl_add_u32 v146, v64, 2, v27
	scratch_store_b32 off, v23, off offset:24 ; 4-byte Folded Spill
	v_mul_u32_u24_e32 v23, 0xb0, v58
	s_clause 0x1
	scratch_store_b32 off, v222, off offset:340
	scratch_store_b32 off, v0, off offset:80
	v_lshrrev_b32_e32 v0, 2, v19
	s_clause 0x1
	scratch_store_b32 off, v223, off offset:344
	scratch_store_b32 off, v23, off offset:140
	v_mad_u32_u24 v23, v61, 44, v193
	s_add_i32 s95, s8, s4
	scratch_store_b32 off, v0, off offset:152 ; 4-byte Folded Spill
	v_and_b32_e32 v0, 3, v19
	s_lshl_b64 s[4:5], s[46:47], 1
	v_lshl_add_u32 v23, v23, 2, 0
	v_writelane_b32 v255, s4, 11
	s_add_i32 s92, s6, s3
	scratch_store_b64 off, v[0:1], off offset:112 ; 8-byte Folded Spill
	v_lshrrev_b32_e32 v0, 2, v20
	scratch_store_b32 off, v23, off offset:300 ; 4-byte Folded Spill
	v_lshrrev_b32_e32 v23, 2, v57
	v_writelane_b32 v255, s5, 12
	s_sub_i32 s3, 0, s87
	scratch_store_b32 off, v0, off offset:336 ; 4-byte Folded Spill
	v_and_b32_e32 v0, 3, v20
	scratch_store_b32 off, v23, off offset:304 ; 4-byte Folded Spill
	v_mad_u32_u24 v23, v59, 44, v193
	v_lshrrev_b32_e32 v119, 2, v129
	v_lshrrev_b32_e32 v140, 2, v71
	scratch_store_b64 off, v[0:1], off offset:308 ; 8-byte Folded Spill
	v_lshrrev_b32_e32 v0, 2, v36
	v_lshl_add_u32 v23, v23, 2, 0
	s_mul_i32 s3, s3, s7
	v_lshrrev_b32_e32 v141, 2, v70
	v_cmp_eq_u32_e64 s0, 0, v223
	s_clause 0x1
	scratch_store_b32 off, v0, off offset:408
	scratch_store_b32 off, v23, off offset:364
	v_and_b32_e32 v23, 1, v236
	v_and_b32_e32 v0, 3, v36
	scratch_store_b32 off, v66, off offset:368 ; 4-byte Folded Spill
	v_cmp_eq_u32_e64 s1, 1, v223
	v_cmp_gt_u32_e64 s2, 16, v236
	v_lshlrev_b32_e32 v16, 4, v23
	scratch_store_b64 off, v[0:1], off offset:392 ; 8-byte Folded Spill
	v_lshrrev_b32_e32 v0, 2, v34
	v_lshl_add_u32 v206, v193, 2, v27
	v_lshlrev_b32_e32 v180, 2, v18
	v_add_co_u32 v17, vcc_lo, v16, v124
	v_add_co_ci_u32_e32 v23, vcc_lo, 0, v125, vcc_lo
	scratch_store_b32 off, v0, off offset:440 ; 4-byte Folded Spill
	v_add_co_u32 v17, vcc_lo, v17, s20
	v_add_co_ci_u32_e32 v23, vcc_lo, s21, v23, vcc_lo
	v_and_b32_e32 v0, 3, v34
	s_delay_alu instid0(VALU_DEP_3)
	v_add_co_u32 v8, vcc_lo, 0x80, v17
	v_lshlrev_b32_e32 v207, 2, v64
	v_mul_u32_u24_e32 v238, 0x90, v235
	s_clause 0x1
	scratch_store_b64 off, v[0:1], off offset:424
	scratch_store_b32 off, v8, off offset:196
	v_add_co_ci_u32_e32 v8, vcc_lo, 0, v23, vcc_lo
	v_lshrrev_b32_e32 v0, 2, v42
	v_xor_b32_e32 v239, 1, v160
	v_add_nc_u32_e32 v240, 0xb00, v146
	s_clause 0x1
	scratch_store_b32 off, v8, off offset:200
	scratch_store_b32 off, v67, off offset:372
	v_add_co_u32 v8, vcc_lo, v16, v157
	v_add_co_ci_u32_e32 v9, vcc_lo, 0, v158, vcc_lo
	scratch_store_b32 off, v0, off offset:472 ; 4-byte Folded Spill
	v_add_co_u32 v8, vcc_lo, v8, s18
	v_add_co_ci_u32_e32 v9, vcc_lo, s19, v9, vcc_lo
	v_and_b32_e32 v0, 3, v42
	s_delay_alu instid0(VALU_DEP_3)
	v_add_co_u32 v8, vcc_lo, 0x80, v8
	v_add_nc_u32_e32 v241, 0x1600, v146
	v_add_nc_u32_e32 v242, 0x2100, v146
	s_clause 0x1
	scratch_store_b64 off, v[0:1], off offset:456
	scratch_store_b32 off, v8, off offset:204
	v_lshrrev_b32_e32 v0, 2, v40
	v_add_co_ci_u32_e32 v8, vcc_lo, 0, v9, vcc_lo
	v_add_nc_u32_e32 v243, 0x2c00, v162
	v_add_nc_u32_e32 v244, 0x1600, v163
	scratch_store_b32 off, v0, off offset:504 ; 4-byte Folded Spill
	v_and_b32_e32 v0, 3, v40
	scratch_store_b32 off, v8, off offset:208 ; 4-byte Folded Spill
	v_add_nc_u32_e32 v245, 32, v163
	v_add_nc_u32_e32 v246, 64, v163
	;; [unrolled: 1-line block ×3, first 2 shown]
	scratch_store_b64 off, v[0:1], off offset:488 ; 8-byte Folded Spill
	v_lshrrev_b32_e32 v0, 2, v49
	v_add_nc_u32_e32 v248, 0x80, v163
	v_lshrrev_b32_e32 v142, 2, v69
	v_lshrrev_b32_e32 v145, 2, v68
	;; [unrolled: 1-line block ×3, first 2 shown]
	scratch_store_b32 off, v0, off offset:536 ; 4-byte Folded Spill
	v_and_b32_e32 v0, 3, v49
	v_lshrrev_b32_e32 v182, 2, v66
	v_lshlrev_b32_e32 v208, 4, v193
	v_writelane_b32 v255, s14, 13
	v_mbcnt_lo_u32_b32 v185, -1, 0
	scratch_store_b64 off, v[0:1], off offset:520 ; 8-byte Folded Spill
	v_lshrrev_b32_e32 v0, 2, v50
	scratch_store_b64 off, v[124:125], off  ; 8-byte Folded Spill
	s_mul_hi_u32 s3, s7, s3
	s_ashr_i32 s89, s9, 31
	s_ashr_i32 s93, s90, 31
	scratch_store_b32 off, v0, off offset:568 ; 4-byte Folded Spill
	v_and_b32_e32 v0, 3, v50
	s_add_i32 s94, s7, s3
	s_lshl_b64 s[68:69], s[10:11], 8
	s_lshl_b64 s[70:71], s[12:13], 8
	s_mov_b32 s36, s65
	scratch_store_b64 off, v[0:1], off offset:552 ; 8-byte Folded Spill
	v_add_co_u32 v0, vcc_lo, s20, v209
	scratch_store_b32 off, v68, off offset:376 ; 4-byte Folded Spill
	s_mov_b32 s37, s65
	s_mov_b32 s38, s65
	scratch_store_b32 off, v0, off offset:212 ; 4-byte Folded Spill
	v_add_co_ci_u32_e32 v0, vcc_lo, s21, v210, vcc_lo
	scratch_store_b32 off, v69, off offset:380 ; 4-byte Folded Spill
	s_mov_b32 s39, s65
	s_mov_b32 s40, s65
	scratch_store_b32 off, v0, off offset:216 ; 4-byte Folded Spill
	v_add_co_u32 v0, vcc_lo, s20, v194
	scratch_store_b32 off, v70, off offset:384 ; 4-byte Folded Spill
	s_mov_b32 s41, s65
	s_mov_b32 s42, s65
	scratch_store_b32 off, v0, off offset:220 ; 4-byte Folded Spill
	v_add_co_ci_u32_e32 v0, vcc_lo, s21, v195, vcc_lo
	scratch_store_b32 off, v71, off offset:388 ; 4-byte Folded Spill
	s_mov_b32 s43, s65
	scratch_store_b32 off, v0, off offset:224 ; 4-byte Folded Spill
	v_add_co_u32 v0, vcc_lo, s20, v249
	scratch_store_b32 off, v0, off offset:228 ; 4-byte Folded Spill
	v_add_co_ci_u32_e32 v0, vcc_lo, s21, v250, vcc_lo
	scratch_store_b32 off, v0, off offset:232 ; 4-byte Folded Spill
	v_add_co_u32 v0, vcc_lo, s20, v251
	scratch_store_b32 off, v0, off offset:236 ; 4-byte Folded Spill
	v_add_co_ci_u32_e32 v0, vcc_lo, s21, v252, vcc_lo
	;; [unrolled: 4-line block ×6, first 2 shown]
	scratch_store_b32 off, v0, off offset:272 ; 4-byte Folded Spill
	v_bfe_u32 v0, v235, 1, 2
	s_clause 0x1
	scratch_store_b32 off, v24, off offset:16
	scratch_store_b64 off, v[0:1], off offset:8
	v_dual_mov_b32 v0, v115 :: v_dual_add_nc_u32 v25, v25, v236
	scratch_store_b64 off, v[0:1], off offset:28 ; 8-byte Folded Spill
	v_mul_u32_u24_e32 v24, 0xb0, v25
	v_mul_u32_u24_e32 v25, 0xb0, v65
	v_mov_b32_e32 v0, v116
	scratch_store_b32 off, v24, off offset:20 ; 4-byte Folded Spill
	v_mul_u32_u24_e32 v24, 44, v28
	s_delay_alu instid0(VALU_DEP_1)
	v_lshl_add_u32 v24, v24, 2, v136
	scratch_store_b32 off, v25, off offset:132 ; 4-byte Folded Spill
	v_lshl_add_u32 v25, v26, 2, v136
	v_mul_u32_u24_e32 v26, 0xb0, v35
	scratch_store_b32 off, v24, off offset:288 ; 4-byte Folded Spill
	v_lshrrev_b32_e32 v24, 2, v30
	scratch_store_b32 off, v25, off offset:136 ; 4-byte Folded Spill
	v_mul_u32_u24_e32 v25, 0xb0, v28
	scratch_store_b32 off, v24, off offset:292 ; 4-byte Folded Spill
	v_mul_u32_u24_e32 v24, 44, v32
	s_delay_alu instid0(VALU_DEP_1)
	v_lshl_add_u32 v24, v24, 2, v136
	scratch_store_b32 off, v25, off offset:284 ; 4-byte Folded Spill
	v_mul_u32_u24_e32 v25, 44, v35
	scratch_store_b32 off, v24, off offset:352 ; 4-byte Folded Spill
	v_lshrrev_b32_e32 v24, 2, v31
	v_lshl_add_u32 v25, v25, 2, v136
	s_clause 0x1
	scratch_store_b32 off, v24, off offset:356
	scratch_store_b32 off, v25, off offset:320
	v_mul_u32_u24_e32 v25, 0xb0, v32
	v_mul_u32_u24_e32 v24, 44, v41
	s_delay_alu instid0(VALU_DEP_1)
	v_lshl_add_u32 v24, v24, 2, v136
	scratch_store_b32 off, v25, off offset:348 ; 4-byte Folded Spill
	v_mul_u32_u24_e32 v25, 44, v33
	scratch_store_b32 off, v24, off offset:416 ; 4-byte Folded Spill
	v_lshrrev_b32_e32 v24, 2, v37
	v_lshl_add_u32 v25, v25, 2, v136
	s_clause 0x1
	scratch_store_b32 off, v24, off offset:420
	scratch_store_b32 off, v25, off offset:404
	v_mul_u32_u24_e32 v25, 0xb0, v41
	v_mul_u32_u24_e32 v24, 44, v39
	s_delay_alu instid0(VALU_DEP_1)
	v_lshl_add_u32 v24, v24, 2, v136
	scratch_store_b32 off, v25, off offset:412 ; 4-byte Folded Spill
	v_mul_u32_u24_e32 v25, 44, v38
	scratch_store_b32 off, v24, off offset:448 ; 4-byte Folded Spill
	v_mul_u32_u24_e32 v24, 0xb0, v62
	v_lshl_add_u32 v25, v25, 2, v136
	s_clause 0x1
	scratch_store_b32 off, v24, off offset:464
	scratch_store_b32 off, v25, off offset:436
	v_mul_u32_u24_e32 v25, 0xb0, v39
	scratch_store_b32 off, v25, off offset:444 ; 4-byte Folded Spill
	v_mul_u32_u24_e32 v25, 44, v62
	s_delay_alu instid0(VALU_DEP_1)
	v_lshl_add_u32 v24, v25, 2, v136
	v_mul_u32_u24_e32 v25, 0xb0, v44
	scratch_store_b32 off, v24, off offset:468 ; 4-byte Folded Spill
	v_mul_u32_u24_e32 v24, 0xb0, v48
	scratch_store_b32 off, v25, off offset:496 ; 4-byte Folded Spill
	;; [unrolled: 2-line block ×4, first 2 shown]
	v_mul_u32_u24_e32 v25, 0xb0, v52
	v_lshl_add_u32 v24, v24, 2, v136
	scratch_store_b32 off, v25, off offset:560 ; 4-byte Folded Spill
	v_mul_u32_u24_e32 v25, 0xb0, v53
	scratch_store_b32 off, v24, off offset:500 ; 4-byte Folded Spill
	v_mul_u32_u24_e32 v24, 0xb0, v45
	;; [unrolled: 2-line block ×3, first 2 shown]
	s_delay_alu instid0(VALU_DEP_1) | instskip(SKIP_4) | instid1(VALU_DEP_1)
	v_lshl_add_u32 v24, v24, 2, v136
	scratch_store_b32 off, v24, off offset:532 ; 4-byte Folded Spill
	v_mul_u32_u24_e32 v24, 0xb0, v51
	scratch_store_b32 off, v24, off offset:540 ; 4-byte Folded Spill
	v_mul_u32_u24_e32 v24, 44, v52
	v_lshl_add_u32 v24, v24, 2, v136
	scratch_store_b32 off, v24, off offset:564 ; 4-byte Folded Spill
	v_mul_u32_u24_e32 v24, 0xb0, v55
	scratch_store_b32 off, v24, off offset:572 ; 4-byte Folded Spill
	v_mad_u32_u24 v24, v58, 44, v193
	s_delay_alu instid0(VALU_DEP_1)
	v_lshl_add_u32 v24, v24, 2, 0
	scratch_store_b32 off, v26, off offset:316 ; 4-byte Folded Spill
	v_mul_u32_u24_e32 v26, 0xb0, v33
	scratch_store_b32 off, v24, off offset:144 ; 4-byte Folded Spill
	v_lshrrev_b32_e32 v24, 2, v56
	scratch_store_b32 off, v24, off offset:148 ; 4-byte Folded Spill
	v_mul_u32_u24_e32 v24, 0xb0, v61
	scratch_store_b32 off, v26, off offset:400 ; 4-byte Folded Spill
	v_mul_u32_u24_e32 v26, 0xb0, v38
	scratch_store_b32 off, v24, off offset:296 ; 4-byte Folded Spill
	v_mad_u32_u24 v24, v53, 44, v193
	s_delay_alu instid0(VALU_DEP_1)
	v_lshl_add_u32 v24, v24, 2, 0
	s_clause 0x2
	scratch_store_b32 off, v25, off offset:324
	scratch_store_b32 off, v26, off offset:432
	scratch_store_b32 off, v24, off offset:328
	v_lshrrev_b32_e32 v24, 2, v60
	scratch_store_b32 off, v24, off offset:332 ; 4-byte Folded Spill
	v_mul_u32_u24_e32 v24, 0xb0, v59
	s_clause 0x9
	scratch_store_b32 off, v24, off offset:360
	scratch_store_b64 off, v[0:1], off offset:36
	scratch_store_b32 off, v117, off offset:44
	scratch_store_b32 off, v119, off offset:52
	;; [unrolled: 1-line block ×8, first 2 shown]
	v_mov_b32_e32 v0, v183
	s_clause 0xb
	scratch_store_b64 off, v[0:1], off offset:84
	scratch_store_b32 off, v235, off offset:128
	scratch_store_b32 off, v129, off offset:156
	;; [unrolled: 1-line block ×11, first 2 shown]
	s_branch .LBB9_13
.LBB9_11:                               ;   in Loop: Header=BB9_13 Depth=1
	s_or_b32 exec_lo, exec_lo, s6
	s_waitcnt_vscnt null, 0x0
	s_barrier
.LBB9_12:                               ;   in Loop: Header=BB9_13 Depth=1
	s_add_i32 s3, s58, s80
	s_mov_b32 s104, 0
	s_abs_i32 s4, s3
	s_waitcnt_vscnt null, 0x0
	buffer_gl0_inv
	s_mul_hi_u32 s5, s4, s83
	s_delay_alu instid0(SALU_CYCLE_1) | instskip(NEXT) | instid1(SALU_CYCLE_1)
	s_mul_i32 s5, s5, s81
	s_sub_i32 s4, s4, s5
	s_ashr_i32 s5, s3, 31
	s_sub_i32 s6, s4, s81
	s_cmp_ge_u32 s4, s81
	s_cselect_b32 s4, s6, s4
	s_delay_alu instid0(SALU_CYCLE_1) | instskip(SKIP_2) | instid1(SALU_CYCLE_1)
	s_sub_i32 s6, s4, s81
	s_cmp_ge_u32 s4, s81
	s_cselect_b32 s4, s6, s4
	s_xor_b32 s4, s4, s5
	s_delay_alu instid0(SALU_CYCLE_1) | instskip(NEXT) | instid1(SALU_CYCLE_1)
	s_sub_i32 s4, s5, s4
	s_add_i32 s58, s3, s4
	s_delay_alu instid0(SALU_CYCLE_1) | instskip(NEXT) | instid1(SALU_CYCLE_1)
	s_sub_i32 s4, s62, s58
	s_min_i32 s103, s80, s4
	s_cmp_gt_i32 s62, s58
	s_cselect_b32 s3, -1, 0
	s_cmp_le_i32 s80, s4
	s_cselect_b32 s4, -1, 0
	s_delay_alu instid0(SALU_CYCLE_1) | instskip(NEXT) | instid1(SALU_CYCLE_1)
	s_and_b32 s4, s4, s3
	s_and_b32 vcc_lo, exec_lo, s4
	s_cbranch_vccz .LBB9_322
.LBB9_13:                               ; =>This Loop Header: Depth=1
                                        ;     Child Loop BB9_215 Depth 2
                                        ;     Child Loop BB9_62 Depth 2
	v_readlane_b32 s4, v255, 10
	s_abs_i32 s3, s58
	v_readlane_b32 s7, v255, 9
	s_ashr_i32 s5, s58, 31
	s_delay_alu instid0(VALU_DEP_2) | instskip(NEXT) | instid1(VALU_DEP_1)
	s_mul_hi_u32 s4, s3, s4
	s_xor_b32 s5, s5, s7
	s_mul_i32 s6, s4, s85
	s_delay_alu instid0(SALU_CYCLE_1)
	s_sub_i32 s3, s3, s6
	s_add_i32 s6, s4, 1
	s_sub_i32 s7, s3, s85
	s_cmp_ge_u32 s3, s85
	s_cselect_b32 s4, s6, s4
	s_cselect_b32 s3, s7, s3
	s_add_i32 s6, s4, 1
	s_cmp_ge_u32 s3, s85
	s_cselect_b32 s3, s6, s4
	v_readlane_b32 s4, v255, 1
	s_xor_b32 s3, s3, s5
	s_delay_alu instid0(SALU_CYCLE_1)
	s_sub_i32 s3, s3, s5
	s_delay_alu instid0(VALU_DEP_1) | instid1(SALU_CYCLE_1)
	s_mul_i32 s4, s3, s4
	s_delay_alu instid0(SALU_CYCLE_1) | instskip(NEXT) | instid1(SALU_CYCLE_1)
	s_sub_i32 s5, s58, s4
	s_abs_i32 s4, s5
	s_ashr_i32 s7, s5, 31
	s_mul_hi_u32 s6, s4, s92
	s_xor_b32 s7, s7, s89
	s_mul_i32 s8, s6, s86
	s_delay_alu instid0(SALU_CYCLE_1)
	s_sub_i32 s4, s4, s8
	s_add_i32 s8, s6, 1
	s_sub_i32 s9, s4, s86
	s_cmp_ge_u32 s4, s86
	s_cselect_b32 s6, s8, s6
	s_cselect_b32 s4, s9, s4
	s_add_i32 s8, s6, 1
	s_cmp_ge_u32 s4, s86
	s_cselect_b32 s4, s8, s6
	v_readlane_b32 s6, v255, 0
	s_xor_b32 s4, s4, s7
	s_delay_alu instid0(SALU_CYCLE_1)
	s_sub_i32 s4, s4, s7
	s_delay_alu instid0(VALU_DEP_1) | instid1(SALU_CYCLE_1)
	s_mul_i32 s6, s4, s6
	s_delay_alu instid0(SALU_CYCLE_1) | instskip(NEXT) | instid1(SALU_CYCLE_1)
	s_sub_i32 s6, s5, s6
	s_abs_i32 s5, s6
	s_ashr_i32 s8, s6, 31
	s_mul_hi_u32 s7, s5, s94
	s_xor_b32 s8, s8, s93
	s_mul_i32 s9, s7, s87
	s_delay_alu instid0(SALU_CYCLE_1)
	s_sub_i32 s5, s5, s9
	s_add_i32 s9, s7, 1
	s_sub_i32 s14, s5, s87
	s_cmp_ge_u32 s5, s87
	s_cselect_b32 s7, s9, s7
	s_cselect_b32 s5, s14, s5
	s_add_i32 s9, s7, 1
	s_cmp_ge_u32 s5, s87
	s_cselect_b32 s5, s9, s7
	s_delay_alu instid0(SALU_CYCLE_1) | instskip(NEXT) | instid1(SALU_CYCLE_1)
	s_xor_b32 s5, s5, s8
	s_sub_i32 s5, s5, s8
	s_delay_alu instid0(SALU_CYCLE_1) | instskip(NEXT) | instid1(SALU_CYCLE_1)
	s_mul_i32 s7, s5, s90
	s_sub_i32 s6, s6, s7
	s_delay_alu instid0(SALU_CYCLE_1) | instskip(SKIP_4) | instid1(SALU_CYCLE_1)
	s_abs_i32 s7, s6
	s_ashr_i32 s6, s6, 31
	s_mul_hi_u32 s8, s7, s83
	s_xor_b32 s6, s6, s82
	s_mul_i32 s9, s8, s81
	s_sub_i32 s7, s7, s9
	s_add_i32 s9, s8, 1
	s_sub_i32 s14, s7, s81
	s_cmp_ge_u32 s7, s81
	s_cselect_b32 s8, s9, s8
	s_cselect_b32 s7, s14, s7
	s_add_i32 s9, s8, 1
	s_cmp_ge_u32 s7, s81
	s_cselect_b32 s7, s9, s8
	v_readlane_b32 s8, v255, 5
	s_xor_b32 s7, s7, s6
	s_delay_alu instid0(SALU_CYCLE_1) | instskip(NEXT) | instid1(VALU_DEP_1)
	s_sub_i32 s76, s7, s6
	s_and_not1_b32 vcc_lo, exec_lo, s8
	s_cbranch_vccnz .LBB9_15
; %bb.14:                               ;   in Loop: Header=BB9_13 Depth=1
	s_mul_i32 s6, s3, s75
	s_delay_alu instid0(SALU_CYCLE_1) | instskip(NEXT) | instid1(SALU_CYCLE_1)
	s_add_i32 s6, s76, s6
	s_ashr_i32 s7, s6, 31
	s_delay_alu instid0(SALU_CYCLE_1) | instskip(NEXT) | instid1(SALU_CYCLE_1)
	s_lshl_b64 s[6:7], s[6:7], 2
	s_add_u32 s6, s26, s6
	s_addc_u32 s7, s27, s7
	global_load_b32 v0, v118, s[6:7]
	s_waitcnt vmcnt(0)
	v_readfirstlane_b32 s6, v0
	s_delay_alu instid0(VALU_DEP_1) | instskip(NEXT) | instid1(SALU_CYCLE_1)
	s_ashr_i32 s7, s6, 31
	s_lshr_b32 s7, s7, 26
	s_delay_alu instid0(SALU_CYCLE_1) | instskip(NEXT) | instid1(SALU_CYCLE_1)
	s_add_i32 s6, s6, s7
	s_ashr_i32 s6, s6, 6
	s_delay_alu instid0(SALU_CYCLE_1)
	s_min_i32 s103, s103, s6
.LBB9_15:                               ;   in Loop: Header=BB9_13 Depth=1
	s_mul_i32 s6, s4, s33
	s_lshl_b32 s96, s5, 2
	s_mul_i32 s5, s3, s57
	s_add_i32 s6, s96, s6
	s_ashr_i32 s7, s5, 31
	s_mul_i32 s8, s6, s56
	s_add_u32 s5, s16, s5
	s_addc_u32 s7, s17, s7
	s_ashr_i32 s9, s8, 31
	s_add_u32 s78, s5, s8
	s_addc_u32 s79, s7, s9
	s_mul_i32 s5, s3, s49
	s_mul_hi_u32 s7, s3, s48
	s_ashr_i32 s61, s3, 31
	s_add_i32 s5, s7, s5
	s_mul_i32 s7, s61, s48
	s_mul_i32 s63, s3, s48
	s_add_i32 vcc_hi, s5, s7
	s_mul_i32 s15, s4, s91
	s_add_u32 s5, s18, s63
	s_addc_u32 s7, s19, vcc_hi
	s_ashr_i32 s60, s15, 31
	s_add_u32 s99, s5, s15
	s_addc_u32 s100, s7, s60
	s_abs_i32 s5, s3
	v_or_b32_e32 v134, s96, v179
	s_mul_hi_u32 s7, s5, s95
	s_delay_alu instid0(SALU_CYCLE_1) | instskip(NEXT) | instid1(SALU_CYCLE_1)
	s_mul_i32 s7, s7, s88
	s_sub_i32 s5, s5, s7
	s_delay_alu instid0(VALU_DEP_1) | instskip(SKIP_3) | instid1(SALU_CYCLE_1)
	v_cmp_gt_i32_e32 vcc_lo, s33, v134
	s_sub_i32 s7, s5, s88
	s_cmp_ge_u32 s5, s88
	s_cselect_b32 s5, s7, s5
	s_sub_i32 s7, s5, s88
	s_cmp_ge_u32 s5, s88
	s_cselect_b32 s5, s7, s5
	s_delay_alu instid0(SALU_CYCLE_1) | instskip(NEXT) | instid1(SALU_CYCLE_1)
	s_xor_b32 s5, s5, s61
	s_sub_i32 s5, s5, s61
	s_mul_i32 s61, s61, s52
	s_mul_i32 s7, s5, s55
	s_mul_hi_u32 s8, s5, s54
	s_ashr_i32 s9, s5, 31
	s_add_i32 s7, s8, s7
	s_mul_i32 s9, s9, s54
	s_mul_i32 s14, s5, s54
	;; [unrolled: 1-line block ×3, first 2 shown]
	s_add_i32 s50, s7, s9
	s_mul_i32 s5, s5, s3
	s_add_u32 s101, s22, s14
	s_addc_u32 s102, s23, s50
	s_add_i32 s5, s6, s5
	s_mul_hi_u32 s7, s3, s52
	s_mul_i32 s64, s5, 40
	s_mul_i32 s5, s3, s53
	s_lshl_b64 s[8:9], s[64:65], 3
	s_mul_i32 s64, s3, s52
	s_add_u32 s47, s28, s8
	s_addc_u32 s67, s29, s9
	s_add_i32 s5, s7, s5
	s_mul_i32 s9, s4, s51
	s_add_i32 s66, s5, s61
	s_add_u32 s3, s20, s64
	s_addc_u32 s4, s21, s66
	s_ashr_i32 s77, s9, 31
	s_add_u32 s97, s3, s9
	s_addc_u32 s98, s4, s77
	s_ashr_i32 s7, s6, 31
	s_delay_alu instid0(SALU_CYCLE_1) | instskip(NEXT) | instid1(SALU_CYCLE_1)
	s_lshl_b64 s[4:5], s[6:7], 2
	s_add_u32 s3, s24, s4
	s_addc_u32 s4, s25, s5
	v_readlane_b32 s5, v255, 4
	s_delay_alu instid0(VALU_DEP_1)
	s_and_b32 s5, s5, exec_lo
	s_cselect_b32 s73, 0, s4
	s_cselect_b32 s72, 0, s3
	s_cmp_lg_u32 s104, 0
	s_cbranch_scc0 .LBB9_58
; %bb.16:                               ;   in Loop: Header=BB9_13 Depth=1
	s_lshl_b32 s61, s76, 3
	s_xor_b32 s4, vcc_lo, -1
	v_add_nc_u32_e32 v0, s61, v188
	s_delay_alu instid0(VALU_DEP_1) | instskip(NEXT) | instid1(VALU_DEP_1)
	v_cmp_le_i32_e64 s3, s44, v0
	s_or_b32 s3, s3, s4
	s_delay_alu instid0(SALU_CYCLE_1) | instskip(NEXT) | instid1(SALU_CYCLE_1)
	s_and_saveexec_b32 s5, s3
	s_xor_b32 s3, exec_lo, s5
	s_cbranch_execz .LBB9_18
; %bb.17:                               ;   in Loop: Header=BB9_13 Depth=1
	ds_store_b32 v191, v118
                                        ; implicit-def: $vgpr0
.LBB9_18:                               ;   in Loop: Header=BB9_13 Depth=1
	s_and_not1_saveexec_b32 s3, s3
	s_cbranch_execz .LBB9_20
; %bb.19:                               ;   in Loop: Header=BB9_13 Depth=1
	v_mad_u64_u32 v[1:2], null, v0, s59, v[183:184]
	s_delay_alu instid0(VALU_DEP_1) | instskip(NEXT) | instid1(VALU_DEP_1)
	v_ashrrev_i32_e32 v2, 31, v1
	v_lshlrev_b64 v[0:1], 3, v[1:2]
	s_delay_alu instid0(VALU_DEP_1) | instskip(NEXT) | instid1(VALU_DEP_2)
	v_add_co_u32 v0, vcc_lo, s78, v0
	v_add_co_ci_u32_e32 v1, vcc_lo, s79, v1, vcc_lo
	global_load_b64 v[0:1], v[0:1], off
	s_waitcnt vmcnt(0)
	v_cvt_f16_f32_e32 v0, v0
	v_cvt_f16_f32_e32 v1, v1
	s_delay_alu instid0(VALU_DEP_1) | instskip(NEXT) | instid1(VALU_DEP_1)
	v_pack_b32_f16 v0, v0, v1
	v_pk_mul_f16 v0, v147, v0
	ds_store_b32 v191, v0
.LBB9_20:                               ;   in Loop: Header=BB9_13 Depth=1
	s_or_b32 exec_lo, exec_lo, s3
	v_add_nc_u32_e32 v0, s61, v119
	s_delay_alu instid0(VALU_DEP_1) | instskip(SKIP_1) | instid1(SALU_CYCLE_1)
	v_cmp_le_i32_e32 vcc_lo, s44, v0
	s_or_b32 s3, vcc_lo, s4
	s_and_saveexec_b32 s5, s3
	s_delay_alu instid0(SALU_CYCLE_1)
	s_xor_b32 s3, exec_lo, s5
	s_cbranch_execz .LBB9_22
; %bb.21:                               ;   in Loop: Header=BB9_13 Depth=1
	ds_store_b32 v191, v118 offset:704
                                        ; implicit-def: $vgpr0
.LBB9_22:                               ;   in Loop: Header=BB9_13 Depth=1
	s_and_not1_saveexec_b32 s3, s3
	s_cbranch_execz .LBB9_24
; %bb.23:                               ;   in Loop: Header=BB9_13 Depth=1
	v_mad_u64_u32 v[1:2], null, v0, s59, v[183:184]
	s_delay_alu instid0(VALU_DEP_1) | instskip(NEXT) | instid1(VALU_DEP_1)
	v_ashrrev_i32_e32 v2, 31, v1
	v_lshlrev_b64 v[0:1], 3, v[1:2]
	s_delay_alu instid0(VALU_DEP_1) | instskip(NEXT) | instid1(VALU_DEP_2)
	v_add_co_u32 v0, vcc_lo, s78, v0
	v_add_co_ci_u32_e32 v1, vcc_lo, s79, v1, vcc_lo
	global_load_b64 v[0:1], v[0:1], off
	s_waitcnt vmcnt(0)
	v_cvt_f16_f32_e32 v0, v0
	v_cvt_f16_f32_e32 v1, v1
	s_delay_alu instid0(VALU_DEP_1) | instskip(NEXT) | instid1(VALU_DEP_1)
	v_pack_b32_f16 v0, v0, v1
	v_pk_mul_f16 v0, v147, v0
	ds_store_b32 v191, v0 offset:704
.LBB9_24:                               ;   in Loop: Header=BB9_13 Depth=1
	s_or_b32 exec_lo, exec_lo, s3
	v_add_nc_u32_e32 v0, s61, v140
	s_delay_alu instid0(VALU_DEP_1) | instskip(SKIP_1) | instid1(SALU_CYCLE_1)
	v_cmp_le_i32_e32 vcc_lo, s44, v0
	s_or_b32 s3, vcc_lo, s4
	s_and_saveexec_b32 s5, s3
	s_delay_alu instid0(SALU_CYCLE_1)
	s_xor_b32 s3, exec_lo, s5
	s_cbranch_execz .LBB9_26
; %bb.25:                               ;   in Loop: Header=BB9_13 Depth=1
	ds_store_b32 v191, v118 offset:1408
                                        ; implicit-def: $vgpr0
.LBB9_26:                               ;   in Loop: Header=BB9_13 Depth=1
	s_and_not1_saveexec_b32 s3, s3
	s_cbranch_execz .LBB9_28
; %bb.27:                               ;   in Loop: Header=BB9_13 Depth=1
	v_mad_u64_u32 v[1:2], null, v0, s59, v[183:184]
	s_delay_alu instid0(VALU_DEP_1) | instskip(NEXT) | instid1(VALU_DEP_1)
	v_ashrrev_i32_e32 v2, 31, v1
	v_lshlrev_b64 v[0:1], 3, v[1:2]
	s_delay_alu instid0(VALU_DEP_1) | instskip(NEXT) | instid1(VALU_DEP_2)
	v_add_co_u32 v0, vcc_lo, s78, v0
	v_add_co_ci_u32_e32 v1, vcc_lo, s79, v1, vcc_lo
	global_load_b64 v[0:1], v[0:1], off
	s_waitcnt vmcnt(0)
	v_cvt_f16_f32_e32 v0, v0
	v_cvt_f16_f32_e32 v1, v1
	s_delay_alu instid0(VALU_DEP_1) | instskip(NEXT) | instid1(VALU_DEP_1)
	v_pack_b32_f16 v0, v0, v1
	v_pk_mul_f16 v0, v147, v0
	ds_store_b32 v191, v0 offset:1408
.LBB9_28:                               ;   in Loop: Header=BB9_13 Depth=1
	s_or_b32 exec_lo, exec_lo, s3
	v_add_nc_u32_e32 v0, s61, v141
	s_delay_alu instid0(VALU_DEP_1) | instskip(SKIP_1) | instid1(SALU_CYCLE_1)
	v_cmp_le_i32_e32 vcc_lo, s44, v0
	s_or_b32 s3, vcc_lo, s4
	s_and_saveexec_b32 s5, s3
	s_delay_alu instid0(SALU_CYCLE_1)
	s_xor_b32 s3, exec_lo, s5
	s_cbranch_execz .LBB9_30
; %bb.29:                               ;   in Loop: Header=BB9_13 Depth=1
	ds_store_b32 v191, v118 offset:2112
                                        ; implicit-def: $vgpr0
.LBB9_30:                               ;   in Loop: Header=BB9_13 Depth=1
	s_and_not1_saveexec_b32 s3, s3
	s_cbranch_execz .LBB9_32
; %bb.31:                               ;   in Loop: Header=BB9_13 Depth=1
	v_mad_u64_u32 v[1:2], null, v0, s59, v[183:184]
	s_delay_alu instid0(VALU_DEP_1) | instskip(NEXT) | instid1(VALU_DEP_1)
	v_ashrrev_i32_e32 v2, 31, v1
	v_lshlrev_b64 v[0:1], 3, v[1:2]
	s_delay_alu instid0(VALU_DEP_1) | instskip(NEXT) | instid1(VALU_DEP_2)
	v_add_co_u32 v0, vcc_lo, s78, v0
	v_add_co_ci_u32_e32 v1, vcc_lo, s79, v1, vcc_lo
	global_load_b64 v[0:1], v[0:1], off
	s_waitcnt vmcnt(0)
	v_cvt_f16_f32_e32 v0, v0
	v_cvt_f16_f32_e32 v1, v1
	s_delay_alu instid0(VALU_DEP_1) | instskip(NEXT) | instid1(VALU_DEP_1)
	v_pack_b32_f16 v0, v0, v1
	v_pk_mul_f16 v0, v147, v0
	ds_store_b32 v191, v0 offset:2112
.LBB9_32:                               ;   in Loop: Header=BB9_13 Depth=1
	s_or_b32 exec_lo, exec_lo, s3
	v_add_nc_u32_e32 v0, s61, v142
	s_delay_alu instid0(VALU_DEP_1) | instskip(SKIP_1) | instid1(SALU_CYCLE_1)
	v_cmp_le_i32_e32 vcc_lo, s44, v0
	s_or_b32 s3, vcc_lo, s4
	s_and_saveexec_b32 s5, s3
	s_delay_alu instid0(SALU_CYCLE_1)
	s_xor_b32 s3, exec_lo, s5
	s_cbranch_execz .LBB9_34
; %bb.33:                               ;   in Loop: Header=BB9_13 Depth=1
	ds_store_b32 v191, v118 offset:2816
                                        ; implicit-def: $vgpr0
.LBB9_34:                               ;   in Loop: Header=BB9_13 Depth=1
	s_and_not1_saveexec_b32 s3, s3
	s_cbranch_execz .LBB9_36
; %bb.35:                               ;   in Loop: Header=BB9_13 Depth=1
	v_mad_u64_u32 v[1:2], null, v0, s59, v[183:184]
	s_delay_alu instid0(VALU_DEP_1) | instskip(NEXT) | instid1(VALU_DEP_1)
	v_ashrrev_i32_e32 v2, 31, v1
	v_lshlrev_b64 v[0:1], 3, v[1:2]
	s_delay_alu instid0(VALU_DEP_1) | instskip(NEXT) | instid1(VALU_DEP_2)
	v_add_co_u32 v0, vcc_lo, s78, v0
	v_add_co_ci_u32_e32 v1, vcc_lo, s79, v1, vcc_lo
	global_load_b64 v[0:1], v[0:1], off
	s_waitcnt vmcnt(0)
	v_cvt_f16_f32_e32 v0, v0
	v_cvt_f16_f32_e32 v1, v1
	s_delay_alu instid0(VALU_DEP_1) | instskip(NEXT) | instid1(VALU_DEP_1)
	v_pack_b32_f16 v0, v0, v1
	v_pk_mul_f16 v0, v147, v0
	ds_store_b32 v191, v0 offset:2816
.LBB9_36:                               ;   in Loop: Header=BB9_13 Depth=1
	s_or_b32 exec_lo, exec_lo, s3
	v_add_nc_u32_e32 v0, s61, v145
	s_delay_alu instid0(VALU_DEP_1) | instskip(SKIP_1) | instid1(SALU_CYCLE_1)
	v_cmp_le_i32_e32 vcc_lo, s44, v0
	s_or_b32 s3, vcc_lo, s4
	s_and_saveexec_b32 s5, s3
	s_delay_alu instid0(SALU_CYCLE_1)
	s_xor_b32 s3, exec_lo, s5
	s_cbranch_execz .LBB9_38
; %bb.37:                               ;   in Loop: Header=BB9_13 Depth=1
	ds_store_b32 v191, v118 offset:3520
                                        ; implicit-def: $vgpr0
.LBB9_38:                               ;   in Loop: Header=BB9_13 Depth=1
	s_and_not1_saveexec_b32 s3, s3
	s_cbranch_execz .LBB9_40
; %bb.39:                               ;   in Loop: Header=BB9_13 Depth=1
	v_mad_u64_u32 v[1:2], null, v0, s59, v[183:184]
	s_delay_alu instid0(VALU_DEP_1) | instskip(NEXT) | instid1(VALU_DEP_1)
	v_ashrrev_i32_e32 v2, 31, v1
	v_lshlrev_b64 v[0:1], 3, v[1:2]
	s_delay_alu instid0(VALU_DEP_1) | instskip(NEXT) | instid1(VALU_DEP_2)
	v_add_co_u32 v0, vcc_lo, s78, v0
	v_add_co_ci_u32_e32 v1, vcc_lo, s79, v1, vcc_lo
	global_load_b64 v[0:1], v[0:1], off
	s_waitcnt vmcnt(0)
	v_cvt_f16_f32_e32 v0, v0
	v_cvt_f16_f32_e32 v1, v1
	s_delay_alu instid0(VALU_DEP_1) | instskip(NEXT) | instid1(VALU_DEP_1)
	v_pack_b32_f16 v0, v0, v1
	v_pk_mul_f16 v0, v147, v0
	ds_store_b32 v191, v0 offset:3520
.LBB9_40:                               ;   in Loop: Header=BB9_13 Depth=1
	s_or_b32 exec_lo, exec_lo, s3
	v_add_nc_u32_e32 v0, s61, v181
	s_delay_alu instid0(VALU_DEP_1) | instskip(SKIP_1) | instid1(SALU_CYCLE_1)
	v_cmp_le_i32_e32 vcc_lo, s44, v0
	s_or_b32 s3, vcc_lo, s4
	s_and_saveexec_b32 s5, s3
	s_delay_alu instid0(SALU_CYCLE_1)
	s_xor_b32 s3, exec_lo, s5
	s_cbranch_execz .LBB9_42
; %bb.41:                               ;   in Loop: Header=BB9_13 Depth=1
	ds_store_b32 v191, v118 offset:4224
                                        ; implicit-def: $vgpr0
.LBB9_42:                               ;   in Loop: Header=BB9_13 Depth=1
	s_and_not1_saveexec_b32 s3, s3
	s_cbranch_execz .LBB9_44
; %bb.43:                               ;   in Loop: Header=BB9_13 Depth=1
	v_mad_u64_u32 v[1:2], null, v0, s59, v[183:184]
	s_delay_alu instid0(VALU_DEP_1) | instskip(NEXT) | instid1(VALU_DEP_1)
	v_ashrrev_i32_e32 v2, 31, v1
	v_lshlrev_b64 v[0:1], 3, v[1:2]
	s_delay_alu instid0(VALU_DEP_1) | instskip(NEXT) | instid1(VALU_DEP_2)
	v_add_co_u32 v0, vcc_lo, s78, v0
	v_add_co_ci_u32_e32 v1, vcc_lo, s79, v1, vcc_lo
	global_load_b64 v[0:1], v[0:1], off
	s_waitcnt vmcnt(0)
	v_cvt_f16_f32_e32 v0, v0
	v_cvt_f16_f32_e32 v1, v1
	s_delay_alu instid0(VALU_DEP_1) | instskip(NEXT) | instid1(VALU_DEP_1)
	v_pack_b32_f16 v0, v0, v1
	v_pk_mul_f16 v0, v147, v0
	ds_store_b32 v191, v0 offset:4224
.LBB9_44:                               ;   in Loop: Header=BB9_13 Depth=1
	s_or_b32 exec_lo, exec_lo, s3
	v_add_nc_u32_e32 v0, s61, v182
	s_delay_alu instid0(VALU_DEP_1) | instskip(SKIP_1) | instid1(SALU_CYCLE_1)
	v_cmp_le_i32_e32 vcc_lo, s44, v0
	s_or_b32 s3, vcc_lo, s4
	s_and_saveexec_b32 s4, s3
	s_delay_alu instid0(SALU_CYCLE_1)
	s_xor_b32 s3, exec_lo, s4
	s_cbranch_execz .LBB9_46
; %bb.45:                               ;   in Loop: Header=BB9_13 Depth=1
	ds_store_b32 v191, v118 offset:4928
                                        ; implicit-def: $vgpr0
.LBB9_46:                               ;   in Loop: Header=BB9_13 Depth=1
	s_and_not1_saveexec_b32 s3, s3
	s_cbranch_execz .LBB9_48
; %bb.47:                               ;   in Loop: Header=BB9_13 Depth=1
	v_mad_u64_u32 v[1:2], null, v0, s59, v[183:184]
	s_delay_alu instid0(VALU_DEP_1) | instskip(NEXT) | instid1(VALU_DEP_1)
	v_ashrrev_i32_e32 v2, 31, v1
	v_lshlrev_b64 v[0:1], 3, v[1:2]
	s_delay_alu instid0(VALU_DEP_1) | instskip(NEXT) | instid1(VALU_DEP_2)
	v_add_co_u32 v0, vcc_lo, s78, v0
	v_add_co_ci_u32_e32 v1, vcc_lo, s79, v1, vcc_lo
	global_load_b64 v[0:1], v[0:1], off
	s_waitcnt vmcnt(0)
	v_cvt_f16_f32_e32 v0, v0
	v_cvt_f16_f32_e32 v1, v1
	s_delay_alu instid0(VALU_DEP_1) | instskip(NEXT) | instid1(VALU_DEP_1)
	v_pack_b32_f16 v0, v0, v1
	v_pk_mul_f16 v0, v147, v0
	ds_store_b32 v191, v0 offset:4928
.LBB9_48:                               ;   in Loop: Header=BB9_13 Depth=1
	s_or_b32 exec_lo, exec_lo, s3
	v_or_b32_e32 v1, s96, v115
	v_add_nc_u32_e32 v0, s61, v192
	s_delay_alu instid0(VALU_DEP_2) | instskip(NEXT) | instid1(VALU_DEP_2)
	v_cmp_gt_i32_e64 s3, s33, v1
	v_cmp_le_i32_e32 vcc_lo, s44, v0
	s_delay_alu instid0(VALU_DEP_2) | instskip(NEXT) | instid1(SALU_CYCLE_1)
	s_xor_b32 s4, s3, -1
	s_or_b32 s5, vcc_lo, s4
	s_delay_alu instid0(SALU_CYCLE_1) | instskip(NEXT) | instid1(SALU_CYCLE_1)
	s_and_saveexec_b32 s6, s5
	s_xor_b32 s5, exec_lo, s6
	s_cbranch_execz .LBB9_50
; %bb.49:                               ;   in Loop: Header=BB9_13 Depth=1
	ds_store_b32 v206, v118 offset:128
                                        ; implicit-def: $vgpr0
.LBB9_50:                               ;   in Loop: Header=BB9_13 Depth=1
	s_and_not1_saveexec_b32 s5, s5
	s_cbranch_execz .LBB9_52
; %bb.51:                               ;   in Loop: Header=BB9_13 Depth=1
	v_mad_u64_u32 v[1:2], null, v0, s59, v[116:117]
	s_delay_alu instid0(VALU_DEP_1) | instskip(NEXT) | instid1(VALU_DEP_1)
	v_ashrrev_i32_e32 v2, 31, v1
	v_lshlrev_b64 v[0:1], 3, v[1:2]
	s_delay_alu instid0(VALU_DEP_1) | instskip(NEXT) | instid1(VALU_DEP_2)
	v_add_co_u32 v0, vcc_lo, s78, v0
	v_add_co_ci_u32_e32 v1, vcc_lo, s79, v1, vcc_lo
	global_load_b64 v[0:1], v[0:1], off
	s_waitcnt vmcnt(0)
	v_cvt_f16_f32_e32 v0, v0
	v_cvt_f16_f32_e32 v1, v1
	s_delay_alu instid0(VALU_DEP_1) | instskip(NEXT) | instid1(VALU_DEP_1)
	v_pack_b32_f16 v0, v0, v1
	v_pk_mul_f16 v0, v147, v0
	ds_store_b32 v206, v0 offset:128
.LBB9_52:                               ;   in Loop: Header=BB9_13 Depth=1
	s_or_b32 exec_lo, exec_lo, s5
	v_add_nc_u32_e32 v0, s61, v237
	s_delay_alu instid0(VALU_DEP_1) | instskip(SKIP_1) | instid1(SALU_CYCLE_1)
	v_cmp_le_i32_e32 vcc_lo, s44, v0
	s_or_b32 s4, vcc_lo, s4
	s_and_saveexec_b32 s5, s4
	s_delay_alu instid0(SALU_CYCLE_1)
	s_xor_b32 s4, exec_lo, s5
	s_cbranch_execz .LBB9_54
; %bb.53:                               ;   in Loop: Header=BB9_13 Depth=1
	ds_store_b32 v206, v118 offset:2944
                                        ; implicit-def: $vgpr0
.LBB9_54:                               ;   in Loop: Header=BB9_13 Depth=1
	s_and_not1_saveexec_b32 s4, s4
	s_cbranch_execz .LBB9_56
; %bb.55:                               ;   in Loop: Header=BB9_13 Depth=1
	v_mad_u64_u32 v[1:2], null, v0, s59, v[116:117]
	s_delay_alu instid0(VALU_DEP_1) | instskip(NEXT) | instid1(VALU_DEP_1)
	v_ashrrev_i32_e32 v2, 31, v1
	v_lshlrev_b64 v[0:1], 3, v[1:2]
	s_delay_alu instid0(VALU_DEP_1) | instskip(NEXT) | instid1(VALU_DEP_2)
	v_add_co_u32 v0, vcc_lo, s78, v0
	v_add_co_ci_u32_e32 v1, vcc_lo, s79, v1, vcc_lo
	global_load_b64 v[0:1], v[0:1], off
	s_waitcnt vmcnt(0)
	v_cvt_f16_f32_e32 v0, v0
	v_cvt_f16_f32_e32 v1, v1
	s_delay_alu instid0(VALU_DEP_1) | instskip(NEXT) | instid1(VALU_DEP_1)
	v_pack_b32_f16 v0, v0, v1
	v_pk_mul_f16 v0, v147, v0
	ds_store_b32 v206, v0 offset:2944
.LBB9_56:                               ;   in Loop: Header=BB9_13 Depth=1
	s_or_b32 exec_lo, exec_lo, s4
	v_add_nc_u32_e32 v0, v189, v190
	s_waitcnt lgkmcnt(0)
	s_waitcnt_vscnt null, 0x0
	s_barrier
	buffer_gl0_inv
	v_add_nc_u32_e32 v80, s61, v235
	ds_load_b128 v[48:51], v0
	ds_load_b128 v[52:55], v0 offset:16
	ds_load_b128 v[40:43], v0 offset:32
	;; [unrolled: 1-line block ×9, first 2 shown]
	v_add_nc_u32_e32 v81, s61, v129
	s_add_i32 s84, s103, -1
	s_waitcnt lgkmcnt(0)
	v_mul_hi_u32 v83, s34, v80
	s_cmp_gt_i32 s84, s104
	v_mul_hi_u32 v82, s34, v81
	s_barrier
	buffer_gl0_inv
	s_cbranch_scc1 .LBB9_59
; %bb.57:                               ;   in Loop: Header=BB9_13 Depth=1
	v_add_nc_u32_e32 v0, v80, v83
	v_dual_mov_b32 v138, 32 :: v_dual_add_nc_u32 v1, v81, v82
	v_xor_b32_e32 v137, 16, v185
	s_mov_b32 s4, 0
	s_delay_alu instid0(VALU_DEP_3) | instskip(NEXT) | instid1(VALU_DEP_3)
	v_lshrrev_b32_e32 v0, s35, v0
	v_lshrrev_b32_e32 v1, s35, v1
	s_mov_b32 s5, 0xfeffffff
	s_mov_b32 s6, 0
	s_delay_alu instid0(VALU_DEP_2) | instskip(NEXT) | instid1(VALU_DEP_2)
	v_mul_lo_u32 v0, v0, s44
	v_mul_lo_u32 v1, v1, s44
	s_delay_alu instid0(VALU_DEP_2) | instskip(NEXT) | instid1(VALU_DEP_2)
	v_sub_nc_u32_e32 v0, v80, v0
	v_sub_nc_u32_e32 v1, v81, v1
	s_delay_alu instid0(VALU_DEP_2) | instskip(NEXT) | instid1(VALU_DEP_2)
	v_mad_i64_i32 v[132:133], null, v0, s46, 0
	v_mad_i64_i32 v[130:131], null, v1, s46, 0
	s_branch .LBB9_60
.LBB9_58:                               ;   in Loop: Header=BB9_13 Depth=1
	s_cbranch_execz .LBB9_12
	s_branch .LBB9_170
.LBB9_59:                               ;   in Loop: Header=BB9_13 Depth=1
	s_mov_b32 s4, -1
                                        ; implicit-def: $sgpr6
                                        ; implicit-def: $sgpr5
                                        ; implicit-def: $vgpr132_vgpr133
                                        ; implicit-def: $vgpr130_vgpr131
                                        ; implicit-def: $vgpr137
                                        ; implicit-def: $vgpr138
.LBB9_60:                               ;   in Loop: Header=BB9_13 Depth=1
	v_dual_mov_b32 v7, s6 :: v_dual_mov_b32 v6, s6
	v_dual_mov_b32 v5, s6 :: v_dual_mov_b32 v4, s6
	;; [unrolled: 1-line block ×20, first 2 shown]
	v_mov_b32_e32 v139, s5
	v_mov_b32_e32 v135, s6
	s_and_not1_b32 vcc_lo, exec_lo, s4
	s_cbranch_vccnz .LBB9_64
; %bb.61:                               ;   in Loop: Header=BB9_13 Depth=1
	v_dual_mov_b32 v135, 0 :: v_dual_add_nc_u32 v0, v80, v83
	v_dual_mov_b32 v16, 0 :: v_dual_add_nc_u32 v1, v81, v82
	v_xor_b32_e32 v137, 16, v185
	s_delay_alu instid0(VALU_DEP_3) | instskip(NEXT) | instid1(VALU_DEP_4)
	v_lshrrev_b32_e32 v0, s35, v0
	v_dual_mov_b32 v39, v135 :: v_dual_lshlrev_b32 v82, 1, v117
	s_delay_alu instid0(VALU_DEP_4) | instskip(NEXT) | instid1(VALU_DEP_4)
	v_lshrrev_b32_e32 v1, s35, v1
	v_cmp_gt_i32_e32 vcc_lo, 32, v137
	s_delay_alu instid0(VALU_DEP_4) | instskip(SKIP_1) | instid1(VALU_DEP_4)
	v_mul_lo_u32 v0, v0, s44
	v_dual_mov_b32 v126, v185 :: v_dual_mov_b32 v17, v135
	v_mul_lo_u32 v1, v1, s44
	v_dual_cndmask_b32 v2, v185, v137 :: v_dual_mov_b32 v19, v135
	v_add_co_u32 v123, s4, s101, v82
	v_sub_nc_u32_e32 v80, v80, v0
	v_dual_mov_b32 v18, v135 :: v_dual_mov_b32 v139, 0xfeffffff
	v_sub_nc_u32_e32 v81, v81, v1
	v_mov_b32_e32 v20, v135
	s_delay_alu instid0(VALU_DEP_4) | instskip(SKIP_1) | instid1(VALU_DEP_4)
	v_mad_i64_i32 v[132:133], null, v80, s46, 0
	v_dual_mov_b32 v21, v135 :: v_dual_lshlrev_b32 v140, 2, v2
	v_mad_i64_i32 v[130:131], null, v81, s46, 0
	v_mov_b32_e32 v22, v135
	v_dual_mov_b32 v23, v135 :: v_dual_mov_b32 v32, 0
	v_dual_mov_b32 v33, v135 :: v_dual_mov_b32 v24, 0
	v_mov_b32_e32 v34, v135
	v_dual_mov_b32 v35, v135 :: v_dual_mov_b32 v8, 0
	v_mov_b32_e32 v36, v135
	v_dual_mov_b32 v37, v135 :: v_dual_mov_b32 v0, 0
	v_mov_b32_e32 v38, v135
	v_dual_mov_b32 v25, v135 :: v_dual_mov_b32 v138, 32
	v_mov_b32_e32 v26, v135
	v_mov_b32_e32 v27, v135
	v_mov_b32_e32 v28, v135
	;; [unrolled: 1-line block ×19, first 2 shown]
	v_add_co_ci_u32_e64 v141, null, s102, 0, s4
	s_mov_b32 s90, s75
	s_lshl_b32 s74, s104, 6
.LBB9_62:                               ;   Parent Loop BB9_13 Depth=1
                                        ; =>  This Inner Loop Header: Depth=2
	s_delay_alu instid0(SALU_CYCLE_1)
	s_ashr_i32 s75, s74, 31
	v_lshlrev_b64 v[80:81], 1, v[132:133]
	s_lshl_b64 s[4:5], s[74:75], 1
	v_lshlrev_b64 v[82:83], 1, v[130:131]
	v_add_co_u32 v84, vcc_lo, v123, s4
	v_add_co_ci_u32_e32 v85, vcc_lo, s5, v141, vcc_lo
	s_mul_hi_i32 s5, s74, s12
	s_delay_alu instid0(VALU_DEP_2) | instskip(NEXT) | instid1(VALU_DEP_2)
	v_add_co_u32 v80, vcc_lo, v84, v80
	v_add_co_ci_u32_e32 v81, vcc_lo, v85, v81, vcc_lo
	v_add_co_u32 v82, vcc_lo, v84, v82
	v_add_co_ci_u32_e32 v83, vcc_lo, v85, v83, vcc_lo
	s_mul_i32 s4, s74, s12
	s_clause 0x1
	global_load_b32 v80, v[80:81], off
	global_load_b32 v81, v[82:83], off
	v_dual_mov_b32 v103, s43 :: v_dual_add_nc_u32 v82, v136, v238
	s_lshl_b64 s[4:5], s[4:5], 2
	v_mov_b32_e32 v101, s41
	s_add_u32 s4, s99, s4
	s_delay_alu instid0(VALU_DEP_2)
	v_add_nc_u32_e32 v82, 0x2c00, v82
	s_addc_u32 s5, s100, s5
	v_dual_mov_b32 v102, s42 :: v_dual_add_nc_u32 v121, v120, v159
	v_dual_mov_b32 v100, s40 :: v_dual_mov_b32 v99, s39
	v_dual_mov_b32 v98, s38 :: v_dual_mov_b32 v97, s37
	v_mov_b32_e32 v96, s36
	v_cmp_eq_u32_e64 s6, 0, v160
	s_waitcnt vmcnt(0)
	ds_store_2addr_b32 v82, v80, v81 offset1:144
	v_add_co_u32 v80, vcc_lo, s4, v157
	v_add_co_ci_u32_e32 v81, vcc_lo, s5, v158, vcc_lo
	s_delay_alu instid0(VALU_DEP_2) | instskip(NEXT) | instid1(VALU_DEP_2)
	v_add_co_u32 v80, vcc_lo, v80, v180
	v_add_co_ci_u32_e32 v81, vcc_lo, 0, v81, vcc_lo
	v_add_co_u32 v82, vcc_lo, s4, v253
	v_add_co_ci_u32_e32 v83, vcc_lo, s5, v254, vcc_lo
	s_delay_alu instid0(VALU_DEP_2) | instskip(NEXT) | instid1(VALU_DEP_2)
	v_add_co_u32 v84, vcc_lo, v82, v207
	v_add_co_ci_u32_e32 v85, vcc_lo, 0, v83, vcc_lo
	s_clause 0x1
	global_load_b128 v[80:83], v[80:81], off offset:128
	global_load_b128 v[84:87], v[84:85], off
	s_waitcnt vmcnt(1)
	ds_store_b128 v161, v[80:83]
	v_add_co_u32 v80, vcc_lo, s4, v143
	v_add_co_ci_u32_e32 v81, vcc_lo, s5, v144, vcc_lo
	s_delay_alu instid0(VALU_DEP_2) | instskip(NEXT) | instid1(VALU_DEP_2)
	v_add_co_u32 v80, vcc_lo, v80, v207
	v_add_co_ci_u32_e32 v81, vcc_lo, 0, v81, vcc_lo
	v_add_co_u32 v82, vcc_lo, s4, v177
	v_add_co_ci_u32_e32 v83, vcc_lo, s5, v178, vcc_lo
	s_delay_alu instid0(VALU_DEP_2) | instskip(NEXT) | instid1(VALU_DEP_2)
	v_add_co_u32 v88, vcc_lo, v82, v207
	v_add_co_ci_u32_e32 v89, vcc_lo, 0, v83, vcc_lo
	s_clause 0x1
	global_load_b128 v[80:83], v[80:81], off
	global_load_b128 v[88:91], v[88:89], off
	s_waitcnt vmcnt(2)
	ds_store_b128 v146, v[84:87]
	s_waitcnt vmcnt(1)
	ds_store_b128 v240, v[80:83]
	v_add_co_u32 v80, vcc_lo, s4, v196
	v_add_co_ci_u32_e32 v81, vcc_lo, s5, v197, vcc_lo
	s_mul_hi_i32 s5, s74, s10
	s_delay_alu instid0(VALU_DEP_2) | instskip(NEXT) | instid1(VALU_DEP_2)
	v_add_co_u32 v80, vcc_lo, v80, v207
	v_add_co_ci_u32_e32 v81, vcc_lo, 0, v81, vcc_lo
	s_mul_i32 s4, s74, s10
	s_delay_alu instid0(SALU_CYCLE_1)
	s_lshl_b64 s[4:5], s[4:5], 2
	global_load_b128 v[80:83], v[80:81], off
	s_add_u32 s4, s97, s4
	s_addc_u32 s5, s98, s5
	s_add_i32 s104, s104, 1
	s_add_i32 s74, s74, 64
	s_cmp_lt_i32 s104, s84
	s_waitcnt vmcnt(1)
	ds_store_b128 v241, v[88:91]
	s_waitcnt vmcnt(0)
	ds_store_b128 v242, v[80:83]
	s_waitcnt lgkmcnt(0)
	s_barrier
	buffer_gl0_inv
	ds_load_b128 v[80:83], v121
	ds_load_b128 v[84:87], v121 offset:16
	ds_load_b128 v[88:91], v121 offset:5632
	;; [unrolled: 1-line block ×3, first 2 shown]
	s_waitcnt lgkmcnt(2)
	v_wmma_f32_16x16x16_f16 v[104:111], v[80:87], v[48:55], v[96:103]
	ds_load_b128 v[80:83], v121 offset:32
	ds_load_b128 v[84:87], v121 offset:48
	s_waitcnt lgkmcnt(2)
	v_wmma_f32_16x16x16_f16 v[112:119], v[88:95], v[48:55], v[96:103]
	s_waitcnt lgkmcnt(0)
	v_wmma_f32_16x16x16_f16 v[104:111], v[80:87], v[40:47], v[104:111]
	ds_load_b128 v[80:83], v121 offset:5664
	ds_load_b128 v[84:87], v121 offset:5680
	s_waitcnt lgkmcnt(0)
	v_wmma_f32_16x16x16_f16 v[112:119], v[80:87], v[40:47], v[112:119]
	ds_load_b128 v[80:83], v121 offset:64
	ds_load_b128 v[84:87], v121 offset:80
	;; [unrolled: 4-line block ×7, first 2 shown]
	s_waitcnt lgkmcnt(0)
	s_barrier
	buffer_gl0_inv
	v_wmma_f32_16x16x16_f16 v[112:119], v[80:87], v[72:79], v[112:119]
	ds_load_u16 v80, v162 offset:11264
	ds_load_u16 v81, v162 offset:11268
	;; [unrolled: 1-line block ×16, first 2 shown]
	s_waitcnt lgkmcnt(15)
	v_cvt_f32_f16_e32 v80, v80
	s_waitcnt lgkmcnt(7)
	v_cvt_f32_f16_e32 v88, v88
	;; [unrolled: 2-line block ×6, first 2 shown]
	v_cvt_f32_f16_e32 v86, v86
	v_add_f32_e32 v181, v112, v88
	v_add_co_u32 v88, vcc_lo, s4, v124
	v_dual_add_f32 v182, v113, v89 :: v_dual_add_f32 v121, v114, v90
	s_delay_alu instid0(VALU_DEP_4) | instskip(SKIP_1) | instid1(VALU_DEP_4)
	v_add_f32_e32 v86, v110, v86
	v_add_co_ci_u32_e32 v89, vcc_lo, s5, v125, vcc_lo
	v_add_co_u32 v88, vcc_lo, v88, v180
	s_waitcnt lgkmcnt(2)
	v_cvt_f32_f16_e32 v93, v93
	s_delay_alu instid0(VALU_DEP_3) | instskip(SKIP_1) | instid1(VALU_DEP_3)
	v_add_co_ci_u32_e32 v89, vcc_lo, 0, v89, vcc_lo
	v_add_co_u32 v90, vcc_lo, s4, v209
	v_dual_add_f32 v145, v115, v91 :: v_dual_add_f32 v184, v117, v93
	v_add_co_ci_u32_e32 v91, vcc_lo, s5, v210, vcc_lo
	s_waitcnt lgkmcnt(1)
	v_cvt_f32_f16_e32 v94, v94
	v_add_f32_e32 v185, v116, v92
	v_add_co_u32 v92, vcc_lo, v90, v207
	v_cvt_f32_f16_e32 v83, v83
	s_delay_alu instid0(VALU_DEP_4) | instskip(SKIP_4) | instid1(VALU_DEP_3)
	v_add_f32_e32 v142, v118, v94
	s_waitcnt lgkmcnt(0)
	v_cvt_f32_f16_e32 v95, v95
	v_add_co_ci_u32_e32 v93, vcc_lo, 0, v91, vcc_lo
	v_dual_add_f32 v80, v104, v80 :: v_dual_add_f32 v83, v107, v83
	v_add_f32_e32 v122, v119, v95
	s_clause 0x1
	global_load_b128 v[88:91], v[88:89], off offset:128
	global_load_b128 v[92:95], v[92:93], off
	v_cvt_f32_f16_e32 v81, v81
	v_cvt_f32_f16_e32 v82, v82
	;; [unrolled: 1-line block ×5, first 2 shown]
	s_delay_alu instid0(VALU_DEP_4) | instskip(NEXT) | instid1(VALU_DEP_3)
	v_dual_add_f32 v81, v105, v81 :: v_dual_add_f32 v82, v106, v82
	v_dual_add_f32 v84, v108, v84 :: v_dual_add_f32 v87, v111, v87
	s_delay_alu instid0(VALU_DEP_3) | instskip(SKIP_4) | instid1(VALU_DEP_2)
	v_add_f32_e32 v85, v109, v85
	s_waitcnt vmcnt(1)
	ds_store_b128 v161, v[88:91]
	v_add_co_u32 v88, vcc_lo, s4, v194
	v_add_co_ci_u32_e32 v89, vcc_lo, s5, v195, vcc_lo
	v_add_co_u32 v88, vcc_lo, v88, v207
	s_delay_alu instid0(VALU_DEP_2) | instskip(SKIP_2) | instid1(VALU_DEP_2)
	v_add_co_ci_u32_e32 v89, vcc_lo, 0, v89, vcc_lo
	v_add_co_u32 v90, vcc_lo, s4, v249
	v_add_co_ci_u32_e32 v91, vcc_lo, s5, v250, vcc_lo
	v_add_co_u32 v96, vcc_lo, v90, v207
	s_delay_alu instid0(VALU_DEP_2)
	v_add_co_ci_u32_e32 v97, vcc_lo, 0, v91, vcc_lo
	s_clause 0x1
	global_load_b128 v[88:91], v[88:89], off
	global_load_b128 v[96:99], v[96:97], off
	s_waitcnt vmcnt(2)
	ds_store_b128 v146, v[92:95]
	s_waitcnt vmcnt(1)
	ds_store_b128 v240, v[88:91]
	v_add_co_u32 v88, vcc_lo, s4, v251
	v_add_co_ci_u32_e32 v89, vcc_lo, s5, v252, vcc_lo
	v_cmp_eq_u32_e64 s5, 1, v160
	s_delay_alu instid0(VALU_DEP_3) | instskip(NEXT) | instid1(VALU_DEP_3)
	v_add_co_u32 v88, vcc_lo, v88, v207
	v_add_co_ci_u32_e32 v89, vcc_lo, 0, v89, vcc_lo
	global_load_b128 v[88:91], v[88:89], off
	s_waitcnt vmcnt(1)
	ds_store_b128 v241, v[96:99]
	s_waitcnt vmcnt(0)
	ds_store_b128 v242, v[88:91]
	v_dual_mov_b32 v88, v139 :: v_dual_add_f32 v91, 0x40051340, v83
	v_dual_add_f32 v89, 0x40051340, v80 :: v_dual_add_f32 v90, 0x40051340, v81
	s_waitcnt lgkmcnt(0)
	s_barrier
	buffer_gl0_inv
	v_max3_f32 v89, v88, v89, v90
	v_add_f32_e32 v90, 0x40051340, v82
	s_delay_alu instid0(VALU_DEP_1) | instskip(SKIP_1) | instid1(VALU_DEP_1)
	v_max3_f32 v89, v89, v90, v91
	v_dual_add_f32 v91, 0x40051340, v85 :: v_dual_add_f32 v90, 0x40051340, v84
	v_max3_f32 v89, v89, v90, v91
	v_dual_add_f32 v90, 0x40051340, v86 :: v_dual_add_f32 v91, 0x40051340, v87
	s_delay_alu instid0(VALU_DEP_1) | instskip(SKIP_1) | instid1(VALU_DEP_1)
	v_max3_f32 v89, v89, v90, v91
	v_dual_add_f32 v90, 0x40051340, v181 :: v_dual_add_f32 v91, 0x40051340, v182
	v_max3_f32 v89, v89, v90, v91
	v_add_f32_e32 v90, 0x40051340, v121
	v_add_f32_e32 v91, 0x40051340, v145
	s_delay_alu instid0(VALU_DEP_1) | instskip(SKIP_1) | instid1(VALU_DEP_1)
	v_max3_f32 v89, v89, v90, v91
	v_dual_add_f32 v90, 0x40051340, v185 :: v_dual_add_f32 v91, 0x40051340, v184
	v_max3_f32 v89, v89, v90, v91
	v_add_f32_e32 v90, 0x40051340, v142
	v_add_f32_e32 v91, 0x40051340, v122
	s_delay_alu instid0(VALU_DEP_1) | instskip(SKIP_3) | instid1(VALU_DEP_1)
	v_max3_f32 v89, v89, v90, v91
	ds_bpermute_b32 v90, v140, v89
	s_waitcnt lgkmcnt(0)
	v_max_f32_e32 v90, v90, v90
	v_max_f32_e32 v139, v89, v90
	s_delay_alu instid0(VALU_DEP_1) | instskip(NEXT) | instid1(VALU_DEP_1)
	v_sub_f32_e32 v81, v81, v139
	v_mul_f32_e32 v89, 0x3fb8aa3b, v81
	v_cmp_ngt_f32_e32 vcc_lo, 0xc2ce8ed0, v81
	s_delay_alu instid0(VALU_DEP_2) | instskip(SKIP_1) | instid1(VALU_DEP_1)
	v_fma_f32 v90, 0x3fb8aa3b, v81, -v89
	v_rndne_f32_e32 v91, v89
	v_dual_fmac_f32 v90, 0x32a5705f, v81 :: v_dual_sub_f32 v89, v89, v91
	v_sub_f32_e32 v80, v80, v139
	v_cvt_i32_f32_e32 v91, v91
	v_sub_f32_e32 v82, v82, v139
	s_delay_alu instid0(VALU_DEP_4) | instskip(NEXT) | instid1(VALU_DEP_4)
	v_dual_sub_f32 v88, v88, v139 :: v_dual_add_f32 v89, v89, v90
	v_cmp_ngt_f32_e64 s4, 0xc2ce8ed0, v80
	v_sub_f32_e32 v83, v83, v139
	v_sub_f32_e32 v85, v85, v139
	;; [unrolled: 1-line block ×3, first 2 shown]
	v_exp_f32_e32 v89, v89
	s_waitcnt_depctr 0xfff
	v_ldexp_f32 v89, v89, v91
	s_delay_alu instid0(VALU_DEP_1) | instskip(SKIP_1) | instid1(VALU_DEP_2)
	v_dual_mul_f32 v90, 0x3fb8aa3b, v80 :: v_dual_cndmask_b32 v89, 0, v89
	v_cmp_nlt_f32_e32 vcc_lo, 0x42b17218, v81
	v_fma_f32 v92, 0x3fb8aa3b, v80, -v90
	v_rndne_f32_e32 v93, v90
	s_delay_alu instid0(VALU_DEP_4) | instskip(SKIP_1) | instid1(VALU_DEP_3)
	v_cndmask_b32_e32 v186, 0x7f800000, v89, vcc_lo
	v_cmp_eq_u32_e32 vcc_lo, 1, v239
	v_sub_f32_e32 v90, v90, v93
	v_cvt_i32_f32_e32 v91, v93
	v_sub_f32_e32 v84, v84, v139
	ds_bpermute_b32 v89, v140, v186
	v_fmac_f32_e32 v92, 0x32a5705f, v80
	v_sub_f32_e32 v86, v86, v139
	s_delay_alu instid0(VALU_DEP_2) | instskip(NEXT) | instid1(VALU_DEP_1)
	v_add_f32_e32 v90, v90, v92
	v_exp_f32_e32 v90, v90
	s_waitcnt_depctr 0xfff
	v_ldexp_f32 v90, v90, v91
	s_delay_alu instid0(VALU_DEP_1) | instskip(SKIP_1) | instid1(VALU_DEP_1)
	v_cndmask_b32_e64 v81, 0, v90, s4
	v_cmp_nlt_f32_e64 s4, 0x42b17218, v80
	v_cndmask_b32_e64 v183, 0x7f800000, v81, s4
	v_cmp_eq_u32_e64 s4, 0, v239
	ds_bpermute_b32 v80, v140, v183
	s_waitcnt lgkmcnt(0)
	v_cndmask_b32_e32 v81, v183, v80, vcc_lo
	v_cndmask_b32_e64 v80, v183, v80, s4
	s_delay_alu instid0(VALU_DEP_2) | instskip(NEXT) | instid1(VALU_DEP_2)
	v_cndmask_b32_e64 v91, v81, v186, s5
	v_cndmask_b32_e64 v90, v80, v186, s6
	v_cvt_f16_f32_e32 v80, v80
	v_cvt_f16_f32_e32 v81, v81
	s_delay_alu instid0(VALU_DEP_3) | instskip(SKIP_1) | instid1(VALU_DEP_3)
	v_cndmask_b32_e64 v90, v90, v89, s4
	v_cndmask_b32_e32 v89, v91, v89, vcc_lo
	v_pack_b32_f16 v80, v80, v81
	s_delay_alu instid0(VALU_DEP_3) | instskip(NEXT) | instid1(VALU_DEP_3)
	v_cvt_f16_f32_e32 v91, v90
	v_cvt_f16_f32_e32 v92, v89
	s_delay_alu instid0(VALU_DEP_1) | instskip(SKIP_1) | instid1(VALU_DEP_1)
	v_pack_b32_f16 v81, v91, v92
	v_mul_f32_e32 v91, 0x3fb8aa3b, v82
	v_fma_f32 v92, 0x3fb8aa3b, v82, -v91
	v_rndne_f32_e32 v93, v91
	s_delay_alu instid0(VALU_DEP_1) | instskip(SKIP_1) | instid1(VALU_DEP_2)
	v_dual_sub_f32 v91, v91, v93 :: v_dual_fmac_f32 v92, 0x32a5705f, v82
	v_cmp_ngt_f32_e64 s7, 0xc2ce8ed0, v82
	v_add_f32_e32 v91, v91, v92
	v_cvt_i32_f32_e32 v92, v93
	s_delay_alu instid0(VALU_DEP_2) | instskip(SKIP_2) | instid1(VALU_DEP_1)
	v_exp_f32_e32 v91, v91
	s_waitcnt_depctr 0xfff
	v_ldexp_f32 v91, v91, v92
	v_cndmask_b32_e64 v91, 0, v91, s7
	v_cmp_nlt_f32_e64 s7, 0x42b17218, v82
	s_delay_alu instid0(VALU_DEP_1) | instskip(SKIP_1) | instid1(VALU_DEP_2)
	v_cndmask_b32_e64 v187, 0x7f800000, v91, s7
	v_cmp_ngt_f32_e64 s7, 0xc2ce8ed0, v83
	v_cndmask_b32_e64 v82, v90, v187, s6
	ds_bpermute_b32 v90, v140, v187
	v_cndmask_b32_e64 v89, v89, v187, s5
	s_waitcnt lgkmcnt(0)
	v_cndmask_b32_e64 v91, v82, v90, s4
	s_delay_alu instid0(VALU_DEP_2) | instskip(NEXT) | instid1(VALU_DEP_2)
	v_cndmask_b32_e32 v89, v89, v90, vcc_lo
	v_cvt_f16_f32_e32 v82, v91
	s_delay_alu instid0(VALU_DEP_2) | instskip(NEXT) | instid1(VALU_DEP_1)
	v_cvt_f16_f32_e32 v90, v89
	v_pack_b32_f16 v82, v82, v90
	v_mul_f32_e32 v90, 0x3fb8aa3b, v83
	s_delay_alu instid0(VALU_DEP_1) | instskip(SKIP_1) | instid1(VALU_DEP_2)
	v_fma_f32 v92, 0x3fb8aa3b, v83, -v90
	v_rndne_f32_e32 v93, v90
	v_fmac_f32_e32 v92, 0x32a5705f, v83
	s_delay_alu instid0(VALU_DEP_2) | instskip(NEXT) | instid1(VALU_DEP_1)
	v_sub_f32_e32 v90, v90, v93
	v_add_f32_e32 v90, v90, v92
	v_cvt_i32_f32_e32 v92, v93
	s_delay_alu instid0(VALU_DEP_2) | instskip(SKIP_2) | instid1(VALU_DEP_1)
	v_exp_f32_e32 v90, v90
	s_waitcnt_depctr 0xfff
	v_ldexp_f32 v90, v90, v92
	v_cndmask_b32_e64 v90, 0, v90, s7
	v_cmp_nlt_f32_e64 s7, 0x42b17218, v83
	s_delay_alu instid0(VALU_DEP_1)
	v_cndmask_b32_e64 v149, 0x7f800000, v90, s7
	v_cmp_ngt_f32_e64 s7, 0xc2ce8ed0, v84
	ds_bpermute_b32 v90, v140, v149
	v_cndmask_b32_e64 v83, v91, v149, s6
	v_cndmask_b32_e64 v89, v89, v149, s5
	s_waitcnt lgkmcnt(0)
	s_delay_alu instid0(VALU_DEP_2) | instskip(NEXT) | instid1(VALU_DEP_2)
	v_cndmask_b32_e64 v91, v83, v90, s4
	v_cndmask_b32_e32 v89, v89, v90, vcc_lo
	s_delay_alu instid0(VALU_DEP_2) | instskip(NEXT) | instid1(VALU_DEP_2)
	v_cvt_f16_f32_e32 v83, v91
	v_cvt_f16_f32_e32 v90, v89
	s_delay_alu instid0(VALU_DEP_1) | instskip(SKIP_1) | instid1(VALU_DEP_1)
	v_pack_b32_f16 v83, v83, v90
	v_mul_f32_e32 v90, 0x3fb8aa3b, v84
	v_fma_f32 v92, 0x3fb8aa3b, v84, -v90
	v_rndne_f32_e32 v93, v90
	s_delay_alu instid0(VALU_DEP_2) | instskip(NEXT) | instid1(VALU_DEP_2)
	v_fmac_f32_e32 v92, 0x32a5705f, v84
	v_sub_f32_e32 v90, v90, v93
	s_delay_alu instid0(VALU_DEP_1) | instskip(SKIP_1) | instid1(VALU_DEP_2)
	v_add_f32_e32 v90, v90, v92
	v_cvt_i32_f32_e32 v92, v93
	v_exp_f32_e32 v90, v90
	s_waitcnt_depctr 0xfff
	v_ldexp_f32 v90, v90, v92
	s_delay_alu instid0(VALU_DEP_1) | instskip(SKIP_1) | instid1(VALU_DEP_1)
	v_cndmask_b32_e64 v90, 0, v90, s7
	v_cmp_nlt_f32_e64 s7, 0x42b17218, v84
	v_cndmask_b32_e64 v150, 0x7f800000, v90, s7
	v_cmp_ngt_f32_e64 s7, 0xc2ce8ed0, v85
	ds_bpermute_b32 v90, v140, v150
	v_cndmask_b32_e64 v84, v91, v150, s6
	v_cndmask_b32_e64 v89, v89, v150, s5
	s_waitcnt lgkmcnt(0)
	s_delay_alu instid0(VALU_DEP_2) | instskip(NEXT) | instid1(VALU_DEP_2)
	v_cndmask_b32_e64 v91, v84, v90, s4
	v_cndmask_b32_e32 v89, v89, v90, vcc_lo
	s_delay_alu instid0(VALU_DEP_2) | instskip(NEXT) | instid1(VALU_DEP_2)
	v_cvt_f16_f32_e32 v84, v91
	v_cvt_f16_f32_e32 v90, v89
	s_delay_alu instid0(VALU_DEP_1) | instskip(SKIP_1) | instid1(VALU_DEP_1)
	v_pack_b32_f16 v84, v84, v90
	v_mul_f32_e32 v90, 0x3fb8aa3b, v85
	v_fma_f32 v92, 0x3fb8aa3b, v85, -v90
	v_rndne_f32_e32 v93, v90
	s_delay_alu instid0(VALU_DEP_2) | instskip(NEXT) | instid1(VALU_DEP_2)
	v_fmac_f32_e32 v92, 0x32a5705f, v85
	v_sub_f32_e32 v90, v90, v93
	s_delay_alu instid0(VALU_DEP_1) | instskip(SKIP_1) | instid1(VALU_DEP_2)
	v_add_f32_e32 v90, v90, v92
	v_cvt_i32_f32_e32 v92, v93
	v_exp_f32_e32 v90, v90
	s_waitcnt_depctr 0xfff
	v_ldexp_f32 v90, v90, v92
	s_delay_alu instid0(VALU_DEP_1) | instskip(SKIP_1) | instid1(VALU_DEP_1)
	v_cndmask_b32_e64 v90, 0, v90, s7
	v_cmp_nlt_f32_e64 s7, 0x42b17218, v85
	v_cndmask_b32_e64 v151, 0x7f800000, v90, s7
	v_cmp_ngt_f32_e64 s7, 0xc2ce8ed0, v86
	ds_bpermute_b32 v90, v140, v151
	v_cndmask_b32_e64 v85, v91, v151, s6
	v_cndmask_b32_e64 v89, v89, v151, s5
	s_waitcnt lgkmcnt(0)
	s_delay_alu instid0(VALU_DEP_2) | instskip(NEXT) | instid1(VALU_DEP_2)
	v_cndmask_b32_e64 v91, v85, v90, s4
	v_cndmask_b32_e32 v89, v89, v90, vcc_lo
	s_delay_alu instid0(VALU_DEP_2) | instskip(NEXT) | instid1(VALU_DEP_2)
	v_cvt_f16_f32_e32 v85, v91
	v_cvt_f16_f32_e32 v90, v89
	s_delay_alu instid0(VALU_DEP_1) | instskip(SKIP_1) | instid1(VALU_DEP_1)
	v_pack_b32_f16 v85, v85, v90
	v_mul_f32_e32 v90, 0x3fb8aa3b, v86
	v_fma_f32 v92, 0x3fb8aa3b, v86, -v90
	v_rndne_f32_e32 v93, v90
	s_delay_alu instid0(VALU_DEP_2) | instskip(NEXT) | instid1(VALU_DEP_2)
	v_fmac_f32_e32 v92, 0x32a5705f, v86
	v_sub_f32_e32 v90, v90, v93
	s_delay_alu instid0(VALU_DEP_1) | instskip(SKIP_1) | instid1(VALU_DEP_2)
	v_add_f32_e32 v90, v90, v92
	v_cvt_i32_f32_e32 v92, v93
	v_exp_f32_e32 v90, v90
	s_waitcnt_depctr 0xfff
	v_ldexp_f32 v90, v90, v92
	s_delay_alu instid0(VALU_DEP_1) | instskip(SKIP_1) | instid1(VALU_DEP_1)
	v_cndmask_b32_e64 v90, 0, v90, s7
	v_cmp_nlt_f32_e64 s7, 0x42b17218, v86
	v_cndmask_b32_e64 v152, 0x7f800000, v90, s7
	v_cmp_ngt_f32_e64 s7, 0xc2ce8ed0, v87
	ds_bpermute_b32 v90, v140, v152
	v_cndmask_b32_e64 v86, v91, v152, s6
	v_cndmask_b32_e64 v89, v89, v152, s5
	s_waitcnt lgkmcnt(0)
	s_delay_alu instid0(VALU_DEP_2) | instskip(NEXT) | instid1(VALU_DEP_2)
	v_cndmask_b32_e64 v91, v86, v90, s4
	v_cndmask_b32_e32 v89, v89, v90, vcc_lo
	s_delay_alu instid0(VALU_DEP_2) | instskip(NEXT) | instid1(VALU_DEP_2)
	v_cvt_f16_f32_e32 v86, v91
	v_cvt_f16_f32_e32 v90, v89
	s_delay_alu instid0(VALU_DEP_1) | instskip(SKIP_1) | instid1(VALU_DEP_1)
	v_pack_b32_f16 v86, v86, v90
	v_mul_f32_e32 v90, 0x3fb8aa3b, v87
	v_fma_f32 v92, 0x3fb8aa3b, v87, -v90
	v_rndne_f32_e32 v93, v90
	s_delay_alu instid0(VALU_DEP_2) | instskip(NEXT) | instid1(VALU_DEP_2)
	v_fmac_f32_e32 v92, 0x32a5705f, v87
	v_sub_f32_e32 v90, v90, v93
	s_delay_alu instid0(VALU_DEP_1) | instskip(SKIP_1) | instid1(VALU_DEP_2)
	v_add_f32_e32 v90, v90, v92
	v_cvt_i32_f32_e32 v92, v93
	v_exp_f32_e32 v90, v90
	s_waitcnt_depctr 0xfff
	v_ldexp_f32 v90, v90, v92
	s_delay_alu instid0(VALU_DEP_1) | instskip(SKIP_1) | instid1(VALU_DEP_1)
	v_cndmask_b32_e64 v90, 0, v90, s7
	v_cmp_nlt_f32_e64 s7, 0x42b17218, v87
	v_cndmask_b32_e64 v153, 0x7f800000, v90, s7
	v_cmp_ngt_f32_e64 s7, 0xc2ce8ed0, v88
	ds_bpermute_b32 v90, v140, v153
	v_cndmask_b32_e64 v87, v91, v153, s6
	v_cndmask_b32_e64 v89, v89, v153, s5
	s_waitcnt lgkmcnt(0)
	s_delay_alu instid0(VALU_DEP_2) | instskip(NEXT) | instid1(VALU_DEP_2)
	v_cndmask_b32_e64 v87, v87, v90, s4
	v_cndmask_b32_e32 v89, v89, v90, vcc_lo
	s_delay_alu instid0(VALU_DEP_2) | instskip(NEXT) | instid1(VALU_DEP_2)
	v_cvt_f16_f32_e32 v87, v87
	v_cvt_f16_f32_e32 v89, v89
	s_delay_alu instid0(VALU_DEP_1) | instskip(SKIP_1) | instid1(VALU_DEP_1)
	v_pack_b32_f16 v87, v87, v89
	v_mul_f32_e32 v89, 0x3fb8aa3b, v88
	v_fma_f32 v90, 0x3fb8aa3b, v88, -v89
	v_rndne_f32_e32 v91, v89
	s_delay_alu instid0(VALU_DEP_1) | instskip(NEXT) | instid1(VALU_DEP_1)
	v_dual_fmac_f32 v90, 0x32a5705f, v88 :: v_dual_sub_f32 v89, v89, v91
	v_add_f32_e32 v89, v89, v90
	v_cvt_i32_f32_e32 v90, v91
	s_delay_alu instid0(VALU_DEP_2) | instskip(SKIP_2) | instid1(VALU_DEP_1)
	v_exp_f32_e32 v89, v89
	s_waitcnt_depctr 0xfff
	v_ldexp_f32 v89, v89, v90
	v_cndmask_b32_e64 v89, 0, v89, s7
	v_cmp_nlt_f32_e64 s7, 0x42b17218, v88
	s_delay_alu instid0(VALU_DEP_1) | instskip(SKIP_1) | instid1(VALU_DEP_1)
	v_cndmask_b32_e64 v89, 0x7f800000, v89, s7
	v_cmp_le_f32_e64 s7, 0xc1a00000, v88
	v_cndmask_b32_e64 v154, 0, v89, s7
	ds_load_u16 v89, v163 offset:352
	ds_load_u16 v90, v163 offset:704
	;; [unrolled: 1-line block ×14, first 2 shown]
	ds_load_u16 v88, v163
	ds_load_u16 v96, v163 offset:32
	ds_load_u16 v104, v163 offset:64
	;; [unrolled: 1-line block ×53, first 2 shown]
	s_waitcnt lgkmcnt(32)
	ds_load_u16_d16_hi v98, v163 offset:912
	ds_load_u16_d16_hi v99, v163 offset:1264
	;; [unrolled: 1-line block ×3, first 2 shown]
	s_waitcnt lgkmcnt(29)
	ds_load_u16_d16_hi v212, v245 offset:6160
	s_waitcnt lgkmcnt(28)
	ds_load_u16_d16_hi v214, v245 offset:6864
	;; [unrolled: 2-line block ×4, first 2 shown]
	ds_load_u16_d16_hi v101, v163 offset:1968
	ds_load_u16_d16_hi v103, v163 offset:2672
	ds_load_u16_d16_hi v115, v163 offset:1328
	s_waitcnt lgkmcnt(20)
	ds_load_u16_d16_hi v114, v163 offset:976
	ds_load_u16_d16_hi v90, v163 offset:880
	;; [unrolled: 1-line block ×14, first 2 shown]
	s_waitcnt lgkmcnt(33)
	ds_load_u16_d16_hi v226, v246 offset:8272
	ds_load_u16_d16_hi v110, v163 offset:2352
	;; [unrolled: 1-line block ×5, first 2 shown]
	s_waitcnt lgkmcnt(30)
	ds_load_u16_d16_hi v171, v163 offset:1008
	ds_load_u16_d16_hi v175, v163 offset:2416
	;; [unrolled: 1-line block ×7, first 2 shown]
	s_waitcnt lgkmcnt(36)
	ds_load_u16_d16_hi v234, v247 offset:8272
	ds_load_u16_d16_hi v95, v163 offset:2640
	;; [unrolled: 1-line block ×5, first 2 shown]
	ds_load_u16 v198, v163 offset:5632
	ds_load_u16_d16_hi v199, v163 offset:6160
	ds_load_u16_d16_hi v201, v163 offset:6864
	;; [unrolled: 1-line block ×9, first 2 shown]
	ds_load_u16 v169, v163 offset:128
	ds_load_u16_d16_hi v89, v163 offset:528
	ds_load_u16_d16_hi v88, v163 offset:176
	;; [unrolled: 1-line block ×7, first 2 shown]
	v_mul_f32_e32 v29, v29, v154
	ds_load_u16_d16_hi v116, v163 offset:1680
	v_mul_f32_e32 v32, v32, v154
	v_mul_f32_e32 v33, v33, v154
	;; [unrolled: 1-line block ×10, first 2 shown]
	s_waitcnt lgkmcnt(8)
	ds_load_u16_d16_hi v169, v163 offset:304
	v_mul_f32_e32 v18, v18, v154
	v_mul_f32_e32 v19, v19, v154
	;; [unrolled: 1-line block ×29, first 2 shown]
	s_waitcnt lgkmcnt(7)
	v_wmma_f32_16x16x16_f16 v[32:39], v[88:95], v[80:87], v[32:39]
	s_waitcnt lgkmcnt(6)
	v_wmma_f32_16x16x16_f16 v[16:23], v[96:103], v[80:87], v[16:23]
	;; [unrolled: 2-line block ×5, first 2 shown]
	v_sub_f32_e32 v80, v182, v139
	ds_load_u16_d16_hi v198, v163 offset:5808
	ds_load_u16_d16_hi v200, v163 offset:6512
	;; [unrolled: 1-line block ×7, first 2 shown]
	ds_load_u16 v221, v165 offset:704
	ds_load_u16_d16_hi v219, v246 offset:5808
	s_waitcnt lgkmcnt(1)
	ds_load_u16_d16_hi v221, v246 offset:6512
	ds_load_u16_d16_hi v223, v246 offset:7216
	v_mul_f32_e32 v81, 0x3fb8aa3b, v80
	v_cmp_ngt_f32_e64 s7, 0xc2ce8ed0, v80
	ds_load_u16 v229, v166 offset:704
	ds_load_u16_d16_hi v227, v247 offset:5808
	s_waitcnt lgkmcnt(1)
	ds_load_u16_d16_hi v229, v247 offset:6512
	ds_load_u16_d16_hi v231, v247 offset:7216
	v_fma_f32 v82, 0x3fb8aa3b, v80, -v81
	v_rndne_f32_e32 v83, v81
	s_delay_alu instid0(VALU_DEP_1) | instskip(SKIP_1) | instid1(VALU_DEP_2)
	v_dual_fmac_f32 v82, 0x32a5705f, v80 :: v_dual_sub_f32 v81, v81, v83
	v_cvt_i32_f32_e32 v83, v83
	v_add_f32_e32 v81, v81, v82
	v_sub_f32_e32 v82, v181, v139
	s_delay_alu instid0(VALU_DEP_2) | instskip(NEXT) | instid1(VALU_DEP_1)
	v_exp_f32_e32 v81, v81
	v_mul_f32_e32 v84, 0x3fb8aa3b, v82
	v_cmp_ngt_f32_e64 s8, 0xc2ce8ed0, v82
	s_delay_alu instid0(VALU_DEP_2)
	v_fma_f32 v85, 0x3fb8aa3b, v82, -v84
	v_rndne_f32_e32 v86, v84
	s_waitcnt_depctr 0xfff
	v_ldexp_f32 v81, v81, v83
	v_fmac_f32_e32 v85, 0x32a5705f, v82
	v_sub_f32_e32 v84, v84, v86
	v_cvt_i32_f32_e32 v83, v86
	s_delay_alu instid0(VALU_DEP_4) | instskip(SKIP_1) | instid1(VALU_DEP_4)
	v_cndmask_b32_e64 v81, 0, v81, s7
	v_cmp_nlt_f32_e64 s7, 0x42b17218, v80
	v_add_f32_e32 v84, v84, v85
	s_delay_alu instid0(VALU_DEP_2) | instskip(NEXT) | instid1(VALU_DEP_2)
	v_cndmask_b32_e64 v97, 0x7f800000, v81, s7
	v_exp_f32_e32 v84, v84
	s_waitcnt_depctr 0xfff
	v_ldexp_f32 v83, v84, v83
	s_delay_alu instid0(VALU_DEP_1)
	v_cndmask_b32_e64 v80, 0, v83, s8
	v_cmp_nlt_f32_e64 s8, 0x42b17218, v82
	ds_bpermute_b32 v82, v140, v97
	v_cndmask_b32_e64 v96, 0x7f800000, v80, s8
	ds_bpermute_b32 v80, v140, v96
	s_waitcnt lgkmcnt(0)
	v_cndmask_b32_e32 v81, v96, v80, vcc_lo
	v_cndmask_b32_e64 v80, v96, v80, s4
	s_delay_alu instid0(VALU_DEP_2) | instskip(NEXT) | instid1(VALU_DEP_2)
	v_cndmask_b32_e64 v84, v81, v97, s5
	v_cndmask_b32_e64 v83, v80, v97, s6
	v_cvt_f16_f32_e32 v80, v80
	v_cvt_f16_f32_e32 v81, v81
	s_delay_alu instid0(VALU_DEP_3) | instskip(SKIP_1) | instid1(VALU_DEP_3)
	v_cndmask_b32_e64 v83, v83, v82, s4
	v_cndmask_b32_e32 v82, v84, v82, vcc_lo
	v_pack_b32_f16 v80, v80, v81
	s_delay_alu instid0(VALU_DEP_3) | instskip(NEXT) | instid1(VALU_DEP_3)
	v_cvt_f16_f32_e32 v84, v83
	v_cvt_f16_f32_e32 v85, v82
	s_delay_alu instid0(VALU_DEP_1) | instskip(SKIP_1) | instid1(VALU_DEP_1)
	v_pack_b32_f16 v81, v84, v85
	v_sub_f32_e32 v84, v121, v139
	v_mul_f32_e32 v85, 0x3fb8aa3b, v84
	v_cmp_ngt_f32_e64 s7, 0xc2ce8ed0, v84
	s_delay_alu instid0(VALU_DEP_2) | instskip(SKIP_1) | instid1(VALU_DEP_1)
	v_fma_f32 v86, 0x3fb8aa3b, v84, -v85
	v_rndne_f32_e32 v87, v85
	v_dual_fmac_f32 v86, 0x32a5705f, v84 :: v_dual_sub_f32 v85, v85, v87
	s_delay_alu instid0(VALU_DEP_1) | instskip(SKIP_1) | instid1(VALU_DEP_2)
	v_add_f32_e32 v85, v85, v86
	v_cvt_i32_f32_e32 v86, v87
	v_exp_f32_e32 v85, v85
	s_waitcnt_depctr 0xfff
	v_ldexp_f32 v85, v85, v86
	s_delay_alu instid0(VALU_DEP_1) | instskip(SKIP_1) | instid1(VALU_DEP_1)
	v_cndmask_b32_e64 v85, 0, v85, s7
	v_cmp_nlt_f32_e64 s7, 0x42b17218, v84
	v_cndmask_b32_e64 v98, 0x7f800000, v85, s7
	ds_bpermute_b32 v84, v140, v98
	v_cndmask_b32_e64 v83, v83, v98, s6
	v_cndmask_b32_e64 v82, v82, v98, s5
	s_waitcnt lgkmcnt(0)
	s_delay_alu instid0(VALU_DEP_2) | instskip(NEXT) | instid1(VALU_DEP_2)
	v_cndmask_b32_e64 v83, v83, v84, s4
	v_cndmask_b32_e32 v84, v82, v84, vcc_lo
	s_delay_alu instid0(VALU_DEP_2) | instskip(NEXT) | instid1(VALU_DEP_2)
	v_cvt_f16_f32_e32 v82, v83
	v_cvt_f16_f32_e32 v85, v84
	s_delay_alu instid0(VALU_DEP_1) | instskip(SKIP_1) | instid1(VALU_DEP_1)
	v_pack_b32_f16 v82, v82, v85
	v_sub_f32_e32 v85, v145, v139
	v_mul_f32_e32 v86, 0x3fb8aa3b, v85
	v_cmp_ngt_f32_e64 s7, 0xc2ce8ed0, v85
	s_delay_alu instid0(VALU_DEP_2) | instskip(SKIP_1) | instid1(VALU_DEP_1)
	v_fma_f32 v87, 0x3fb8aa3b, v85, -v86
	v_rndne_f32_e32 v88, v86
	v_dual_fmac_f32 v87, 0x32a5705f, v85 :: v_dual_sub_f32 v86, v86, v88
	s_delay_alu instid0(VALU_DEP_1) | instskip(SKIP_1) | instid1(VALU_DEP_2)
	v_add_f32_e32 v86, v86, v87
	v_cvt_i32_f32_e32 v87, v88
	v_exp_f32_e32 v86, v86
	s_waitcnt_depctr 0xfff
	v_ldexp_f32 v86, v86, v87
	s_delay_alu instid0(VALU_DEP_1) | instskip(SKIP_1) | instid1(VALU_DEP_1)
	v_cndmask_b32_e64 v86, 0, v86, s7
	v_cmp_nlt_f32_e64 s7, 0x42b17218, v85
	v_cndmask_b32_e64 v99, 0x7f800000, v86, s7
	ds_bpermute_b32 v85, v140, v99
	v_cndmask_b32_e64 v83, v83, v99, s6
	v_cndmask_b32_e64 v84, v84, v99, s5
	s_waitcnt lgkmcnt(0)
	s_delay_alu instid0(VALU_DEP_2) | instskip(NEXT) | instid1(VALU_DEP_2)
	v_cndmask_b32_e64 v86, v83, v85, s4
	v_cndmask_b32_e32 v84, v84, v85, vcc_lo
	s_delay_alu instid0(VALU_DEP_2) | instskip(NEXT) | instid1(VALU_DEP_2)
	v_cvt_f16_f32_e32 v83, v86
	v_cvt_f16_f32_e32 v85, v84
	s_delay_alu instid0(VALU_DEP_1) | instskip(SKIP_1) | instid1(VALU_DEP_1)
	v_pack_b32_f16 v83, v83, v85
	v_sub_f32_e32 v85, v185, v139
	v_mul_f32_e32 v87, 0x3fb8aa3b, v85
	v_cmp_ngt_f32_e64 s7, 0xc2ce8ed0, v85
	s_delay_alu instid0(VALU_DEP_2) | instskip(SKIP_1) | instid1(VALU_DEP_2)
	v_fma_f32 v88, 0x3fb8aa3b, v85, -v87
	v_rndne_f32_e32 v89, v87
	v_fmac_f32_e32 v88, 0x32a5705f, v85
	s_delay_alu instid0(VALU_DEP_2) | instskip(NEXT) | instid1(VALU_DEP_1)
	v_sub_f32_e32 v87, v87, v89
	v_add_f32_e32 v87, v87, v88
	v_cvt_i32_f32_e32 v88, v89
	s_delay_alu instid0(VALU_DEP_2) | instskip(SKIP_2) | instid1(VALU_DEP_1)
	v_exp_f32_e32 v87, v87
	s_waitcnt_depctr 0xfff
	v_ldexp_f32 v87, v87, v88
	v_cndmask_b32_e64 v87, 0, v87, s7
	v_cmp_nlt_f32_e64 s7, 0x42b17218, v85
	s_delay_alu instid0(VALU_DEP_1) | instskip(NEXT) | instid1(VALU_DEP_1)
	v_cndmask_b32_e64 v100, 0x7f800000, v87, s7
	v_cndmask_b32_e64 v85, v86, v100, s6
	ds_bpermute_b32 v86, v140, v100
	v_cndmask_b32_e64 v84, v84, v100, s5
	s_waitcnt lgkmcnt(0)
	v_cndmask_b32_e64 v85, v85, v86, s4
	s_delay_alu instid0(VALU_DEP_2) | instskip(NEXT) | instid1(VALU_DEP_2)
	v_cndmask_b32_e32 v86, v84, v86, vcc_lo
	v_cvt_f16_f32_e32 v84, v85
	s_delay_alu instid0(VALU_DEP_2) | instskip(NEXT) | instid1(VALU_DEP_1)
	v_cvt_f16_f32_e32 v87, v86
	v_pack_b32_f16 v84, v84, v87
	v_sub_f32_e32 v87, v184, v139
	s_delay_alu instid0(VALU_DEP_1) | instskip(SKIP_1) | instid1(VALU_DEP_2)
	v_mul_f32_e32 v88, 0x3fb8aa3b, v87
	v_cmp_ngt_f32_e64 s7, 0xc2ce8ed0, v87
	v_fma_f32 v89, 0x3fb8aa3b, v87, -v88
	v_rndne_f32_e32 v90, v88
	s_delay_alu instid0(VALU_DEP_1) | instskip(NEXT) | instid1(VALU_DEP_1)
	v_dual_fmac_f32 v89, 0x32a5705f, v87 :: v_dual_sub_f32 v88, v88, v90
	v_add_f32_e32 v88, v88, v89
	v_cvt_i32_f32_e32 v89, v90
	s_delay_alu instid0(VALU_DEP_2) | instskip(SKIP_2) | instid1(VALU_DEP_1)
	v_exp_f32_e32 v88, v88
	s_waitcnt_depctr 0xfff
	v_ldexp_f32 v88, v88, v89
	v_cndmask_b32_e64 v88, 0, v88, s7
	v_cmp_nlt_f32_e64 s7, 0x42b17218, v87
	s_delay_alu instid0(VALU_DEP_1) | instskip(SKIP_4) | instid1(VALU_DEP_2)
	v_cndmask_b32_e64 v101, 0x7f800000, v88, s7
	ds_bpermute_b32 v87, v140, v101
	v_cndmask_b32_e64 v85, v85, v101, s6
	v_cndmask_b32_e64 v86, v86, v101, s5
	s_waitcnt lgkmcnt(0)
	v_cndmask_b32_e64 v88, v85, v87, s4
	s_delay_alu instid0(VALU_DEP_2) | instskip(NEXT) | instid1(VALU_DEP_2)
	v_cndmask_b32_e32 v86, v86, v87, vcc_lo
	v_cvt_f16_f32_e32 v85, v88
	s_delay_alu instid0(VALU_DEP_2) | instskip(NEXT) | instid1(VALU_DEP_1)
	v_cvt_f16_f32_e32 v87, v86
	v_pack_b32_f16 v85, v85, v87
	v_sub_f32_e32 v87, v142, v139
	s_delay_alu instid0(VALU_DEP_1) | instskip(SKIP_1) | instid1(VALU_DEP_2)
	v_mul_f32_e32 v89, 0x3fb8aa3b, v87
	v_cmp_ngt_f32_e64 s7, 0xc2ce8ed0, v87
	v_fma_f32 v90, 0x3fb8aa3b, v87, -v89
	v_rndne_f32_e32 v91, v89
	s_delay_alu instid0(VALU_DEP_2) | instskip(NEXT) | instid1(VALU_DEP_2)
	v_fmac_f32_e32 v90, 0x32a5705f, v87
	v_sub_f32_e32 v89, v89, v91
	s_delay_alu instid0(VALU_DEP_1) | instskip(SKIP_1) | instid1(VALU_DEP_2)
	v_add_f32_e32 v89, v89, v90
	v_cvt_i32_f32_e32 v90, v91
	v_exp_f32_e32 v89, v89
	s_waitcnt_depctr 0xfff
	v_ldexp_f32 v89, v89, v90
	s_delay_alu instid0(VALU_DEP_1) | instskip(SKIP_1) | instid1(VALU_DEP_1)
	v_cndmask_b32_e64 v89, 0, v89, s7
	v_cmp_nlt_f32_e64 s7, 0x42b17218, v87
	v_cndmask_b32_e64 v102, 0x7f800000, v89, s7
	s_delay_alu instid0(VALU_DEP_1) | instskip(SKIP_4) | instid1(VALU_DEP_2)
	v_cndmask_b32_e64 v87, v88, v102, s6
	ds_bpermute_b32 v88, v140, v102
	v_cndmask_b32_e64 v86, v86, v102, s5
	s_waitcnt lgkmcnt(0)
	v_cndmask_b32_e64 v87, v87, v88, s4
	v_cndmask_b32_e32 v88, v86, v88, vcc_lo
	s_delay_alu instid0(VALU_DEP_2) | instskip(NEXT) | instid1(VALU_DEP_2)
	v_cvt_f16_f32_e32 v86, v87
	v_cvt_f16_f32_e32 v89, v88
	s_delay_alu instid0(VALU_DEP_1) | instskip(SKIP_1) | instid1(VALU_DEP_1)
	v_pack_b32_f16 v86, v86, v89
	v_sub_f32_e32 v89, v122, v139
	v_mul_f32_e32 v90, 0x3fb8aa3b, v89
	v_cmp_ngt_f32_e64 s7, 0xc2ce8ed0, v89
	s_delay_alu instid0(VALU_DEP_2) | instskip(SKIP_1) | instid1(VALU_DEP_1)
	v_fma_f32 v91, 0x3fb8aa3b, v89, -v90
	v_rndne_f32_e32 v92, v90
	v_dual_fmac_f32 v91, 0x32a5705f, v89 :: v_dual_sub_f32 v90, v90, v92
	s_delay_alu instid0(VALU_DEP_1) | instskip(SKIP_1) | instid1(VALU_DEP_2)
	v_add_f32_e32 v90, v90, v91
	v_cvt_i32_f32_e32 v91, v92
	v_exp_f32_e32 v90, v90
	s_waitcnt_depctr 0xfff
	v_ldexp_f32 v90, v90, v91
	s_delay_alu instid0(VALU_DEP_1) | instskip(SKIP_1) | instid1(VALU_DEP_1)
	v_cndmask_b32_e64 v90, 0, v90, s7
	v_cmp_nlt_f32_e64 s7, 0x42b17218, v89
	v_cndmask_b32_e64 v103, 0x7f800000, v90, s7
	ds_bpermute_b32 v89, v140, v103
	v_cndmask_b32_e64 v87, v87, v103, s6
	v_cndmask_b32_e64 v88, v88, v103, s5
	s_waitcnt lgkmcnt(0)
	s_delay_alu instid0(VALU_DEP_2) | instskip(NEXT) | instid1(VALU_DEP_2)
	v_cndmask_b32_e64 v87, v87, v89, s4
	v_cndmask_b32_e32 v88, v88, v89, vcc_lo
	s_delay_alu instid0(VALU_DEP_2) | instskip(NEXT) | instid1(VALU_DEP_2)
	v_cvt_f16_f32_e32 v87, v87
	v_cvt_f16_f32_e32 v88, v88
	s_delay_alu instid0(VALU_DEP_1)
	v_pack_b32_f16 v87, v87, v88
	ds_load_u16 v89, v167 offset:352
	ds_load_u16 v91, v167 offset:1056
	;; [unrolled: 1-line block ×8, first 2 shown]
	s_waitcnt lgkmcnt(7)
	ds_load_u16_d16_hi v89, v248 offset:6160
	s_waitcnt lgkmcnt(7)
	ds_load_u16_d16_hi v91, v248 offset:6864
	;; [unrolled: 2-line block ×8, first 2 shown]
	v_wmma_f32_16x16x16_f16 v[32:39], v[198:205], v[80:87], v[32:39]
	v_wmma_f32_16x16x16_f16 v[16:23], v[211:218], v[80:87], v[16:23]
	;; [unrolled: 1-line block ×4, first 2 shown]
	s_waitcnt lgkmcnt(0)
	s_barrier
	buffer_gl0_inv
	v_wmma_f32_16x16x16_f16 v[0:7], v[88:95], v[80:87], v[0:7]
	v_add_f32_e32 v80, v183, v186
	v_mov_b32_e32 v81, v135
	s_delay_alu instid0(VALU_DEP_2) | instskip(NEXT) | instid1(VALU_DEP_1)
	v_add_f32_e32 v80, v187, v80
	v_add_f32_e32 v80, v149, v80
	s_delay_alu instid0(VALU_DEP_1) | instskip(NEXT) | instid1(VALU_DEP_1)
	v_add_f32_e32 v80, v150, v80
	v_add_f32_e32 v80, v151, v80
	s_delay_alu instid0(VALU_DEP_1) | instskip(NEXT) | instid1(VALU_DEP_1)
	;; [unrolled: 3-line block ×6, first 2 shown]
	v_add_f32_e32 v80, v102, v80
	v_add_f32_e32 v135, v103, v80
	s_delay_alu instid0(VALU_DEP_1)
	v_fmac_f32_e32 v135, v81, v154
	s_cbranch_scc1 .LBB9_62
; %bb.63:                               ;   in Loop: Header=BB9_13 Depth=1
	s_clause 0xa
	scratch_load_b64 v[115:116], off, off offset:28
	scratch_load_b64 v[116:117], off, off offset:36
	scratch_load_b32 v117, off, off offset:44
	scratch_load_b32 v119, off, off offset:52
	;; [unrolled: 1-line block ×8, first 2 shown]
	scratch_load_b64 v[183:184], off, off offset:84
	s_mov_b32 s75, s90
	v_readlane_b32 s90, v255, 2
	v_dual_mov_b32 v118, 0 :: v_dual_mov_b32 v185, v126
.LBB9_64:                               ;   in Loop: Header=BB9_13 Depth=1
	s_lshl_b32 s4, s104, 6
	s_waitcnt vmcnt(8)
	v_dual_mov_b32 v103, s43 :: v_dual_lshlrev_b32 v82, 1, v117
	s_ashr_i32 s5, s4, 31
	v_lshlrev_b64 v[80:81], 1, v[132:133]
	s_lshl_b64 s[6:7], s[4:5], 1
	v_dual_mov_b32 v97, s37 :: v_dual_add_nc_u32 v112, v120, v159
	s_add_u32 s5, s101, s6
	s_addc_u32 s6, s102, s7
	v_add_co_u32 v84, s5, s5, v82
	s_delay_alu instid0(VALU_DEP_1) | instskip(SKIP_1) | instid1(VALU_DEP_3)
	v_add_co_ci_u32_e64 v85, null, s6, 0, s5
	v_lshlrev_b64 v[82:83], 1, v[130:131]
	v_add_co_u32 v80, vcc_lo, v84, v80
	s_delay_alu instid0(VALU_DEP_3) | instskip(SKIP_1) | instid1(VALU_DEP_3)
	v_add_co_ci_u32_e32 v81, vcc_lo, v85, v81, vcc_lo
	s_mul_hi_i32 s7, s12, s4
	v_add_co_u32 v82, vcc_lo, v84, v82
	s_delay_alu instid0(VALU_DEP_4)
	v_add_co_ci_u32_e32 v83, vcc_lo, v85, v83, vcc_lo
	s_clause 0x1
	global_load_b32 v80, v[80:81], off
	global_load_b32 v81, v[82:83], off
	v_dual_mov_b32 v101, s41 :: v_dual_add_nc_u32 v82, v136, v238
	s_mul_i32 s6, s12, s4
	v_mov_b32_e32 v99, s39
	s_lshl_b64 s[6:7], s[6:7], 2
	s_delay_alu instid0(VALU_DEP_2)
	v_add_nc_u32_e32 v82, 0x2c00, v82
	s_add_u32 s5, s99, s6
	s_addc_u32 s6, s100, s7
	v_mov_b32_e32 v102, s42
	v_mov_b32_e32 v100, s40
	;; [unrolled: 1-line block ×4, first 2 shown]
	s_waitcnt vmcnt(0)
	ds_store_2addr_b32 v82, v80, v81 offset1:144
	v_add_co_u32 v80, vcc_lo, s5, v157
	v_add_co_ci_u32_e32 v81, vcc_lo, s6, v158, vcc_lo
	s_delay_alu instid0(VALU_DEP_2) | instskip(NEXT) | instid1(VALU_DEP_2)
	v_add_co_u32 v80, vcc_lo, v80, v180
	v_add_co_ci_u32_e32 v81, vcc_lo, 0, v81, vcc_lo
	v_add_co_u32 v82, vcc_lo, s5, v253
	v_add_co_ci_u32_e32 v83, vcc_lo, s6, v254, vcc_lo
	s_delay_alu instid0(VALU_DEP_2) | instskip(NEXT) | instid1(VALU_DEP_2)
	v_add_co_u32 v84, vcc_lo, v82, v207
	v_add_co_ci_u32_e32 v85, vcc_lo, 0, v83, vcc_lo
	s_clause 0x1
	global_load_b128 v[80:83], v[80:81], off offset:128
	global_load_b128 v[84:87], v[84:85], off
	s_waitcnt vmcnt(1)
	ds_store_b128 v161, v[80:83]
	v_add_co_u32 v80, vcc_lo, s5, v143
	v_add_co_ci_u32_e32 v81, vcc_lo, s6, v144, vcc_lo
	s_delay_alu instid0(VALU_DEP_2) | instskip(NEXT) | instid1(VALU_DEP_2)
	v_add_co_u32 v80, vcc_lo, v80, v207
	v_add_co_ci_u32_e32 v81, vcc_lo, 0, v81, vcc_lo
	v_add_co_u32 v82, vcc_lo, s5, v177
	v_add_co_ci_u32_e32 v83, vcc_lo, s6, v178, vcc_lo
	s_delay_alu instid0(VALU_DEP_2) | instskip(NEXT) | instid1(VALU_DEP_2)
	v_add_co_u32 v88, vcc_lo, v82, v207
	v_add_co_ci_u32_e32 v89, vcc_lo, 0, v83, vcc_lo
	s_clause 0x1
	global_load_b128 v[80:83], v[80:81], off
	global_load_b128 v[88:91], v[88:89], off
	s_waitcnt vmcnt(2)
	ds_store_b128 v146, v[84:87]
	s_waitcnt vmcnt(1)
	ds_store_b128 v240, v[80:83]
	v_add_co_u32 v80, vcc_lo, s5, v196
	v_add_co_ci_u32_e32 v81, vcc_lo, s6, v197, vcc_lo
	s_mul_hi_i32 s5, s10, s4
	s_delay_alu instid0(VALU_DEP_2) | instskip(NEXT) | instid1(VALU_DEP_2)
	v_add_co_u32 v80, vcc_lo, v80, v207
	v_add_co_ci_u32_e32 v81, vcc_lo, 0, v81, vcc_lo
	v_cmp_lt_i32_e32 vcc_lo, v137, v138
	s_mul_i32 s4, s10, s4
	v_cmp_eq_u32_e64 s6, 1, v160
	global_load_b128 v[80:83], v[80:81], off
	s_lshl_b64 s[4:5], s[4:5], 2
	s_waitcnt vmcnt(1)
	ds_store_b128 v241, v[88:91]
	s_waitcnt vmcnt(0)
	ds_store_b128 v242, v[80:83]
	s_waitcnt lgkmcnt(0)
	s_barrier
	buffer_gl0_inv
	ds_load_b128 v[80:83], v112
	ds_load_b128 v[84:87], v112 offset:16
	ds_load_b128 v[88:91], v112 offset:5632
	;; [unrolled: 1-line block ×3, first 2 shown]
	s_add_u32 s4, s97, s4
	s_addc_u32 s5, s98, s5
	s_cmp_lg_u64 s[72:73], 0
	s_waitcnt lgkmcnt(2)
	v_wmma_f32_16x16x16_f16 v[104:111], v[80:87], v[48:55], v[96:103]
	s_waitcnt lgkmcnt(0)
	v_wmma_f32_16x16x16_f16 v[80:87], v[88:95], v[48:55], v[96:103]
	ds_load_b128 v[48:51], v112 offset:32
	ds_load_b128 v[52:55], v112 offset:48
	s_waitcnt lgkmcnt(0)
	v_wmma_f32_16x16x16_f16 v[104:111], v[48:55], v[40:47], v[104:111]
	ds_load_b128 v[48:51], v112 offset:5664
	ds_load_b128 v[52:55], v112 offset:5680
	;; [unrolled: 4-line block ×8, first 2 shown]
	s_waitcnt lgkmcnt(0)
	s_barrier
	buffer_gl0_inv
	v_wmma_f32_16x16x16_f16 v[80:87], v[40:47], v[72:79], v[80:87]
	ds_load_u16 v40, v162 offset:11264
	ds_load_u16 v41, v162 offset:11268
	;; [unrolled: 1-line block ×8, first 2 shown]
	s_waitcnt lgkmcnt(7)
	v_cvt_f32_f16_e32 v40, v40
	s_waitcnt lgkmcnt(6)
	v_cvt_f32_f16_e32 v41, v41
	;; [unrolled: 2-line block ×8, first 2 shown]
	v_dual_add_f32 v54, v104, v40 :: v_dual_add_f32 v55, v105, v41
	v_dual_add_f32 v53, v106, v42 :: v_dual_add_f32 v52, v107, v43
	;; [unrolled: 1-line block ×3, first 2 shown]
	s_delay_alu instid0(VALU_DEP_4)
	v_dual_add_f32 v49, v110, v46 :: v_dual_add_f32 v48, v111, v47
	ds_load_u16 v40, v243 offset:64
	ds_load_u16 v41, v243 offset:68
	;; [unrolled: 1-line block ×8, first 2 shown]
	s_waitcnt lgkmcnt(7)
	v_cvt_f32_f16_e32 v40, v40
	s_waitcnt lgkmcnt(6)
	v_cvt_f32_f16_e32 v41, v41
	;; [unrolled: 2-line block ×5, first 2 shown]
	v_dual_add_f32 v64, v80, v40 :: v_dual_add_f32 v65, v81, v41
	v_dual_add_f32 v41, 0x40051340, v55 :: v_dual_add_f32 v40, 0x40051340, v54
	s_waitcnt lgkmcnt(2)
	v_cvt_f32_f16_e32 v45, v45
	v_dual_add_f32 v63, v82, v42 :: v_dual_add_f32 v62, v83, v43
	v_add_f32_e32 v42, 0x40051340, v52
	v_max3_f32 v40, v139, v40, v41
	v_add_f32_e32 v41, 0x40051340, v53
	s_waitcnt lgkmcnt(1)
	v_cvt_f32_f16_e32 v46, v46
	s_waitcnt lgkmcnt(0)
	v_cvt_f32_f16_e32 v47, v47
	v_dual_add_f32 v61, v84, v44 :: v_dual_add_f32 v60, v85, v45
	v_max3_f32 v40, v40, v41, v42
	v_dual_add_f32 v41, 0x40051340, v51 :: v_dual_add_f32 v42, 0x40051340, v50
	s_delay_alu instid0(VALU_DEP_4) | instskip(NEXT) | instid1(VALU_DEP_2)
	v_dual_add_f32 v59, v86, v46 :: v_dual_add_f32 v58, v87, v47
	v_max3_f32 v40, v40, v41, v42
	v_dual_add_f32 v41, 0x40051340, v49 :: v_dual_add_f32 v42, 0x40051340, v48
	s_delay_alu instid0(VALU_DEP_1) | instskip(SKIP_1) | instid1(VALU_DEP_1)
	v_max3_f32 v40, v40, v41, v42
	v_dual_add_f32 v41, 0x40051340, v64 :: v_dual_add_f32 v42, 0x40051340, v65
	v_max3_f32 v40, v40, v41, v42
	v_dual_add_f32 v41, 0x40051340, v63 :: v_dual_add_f32 v42, 0x40051340, v62
	s_delay_alu instid0(VALU_DEP_1) | instskip(SKIP_1) | instid1(VALU_DEP_1)
	v_max3_f32 v40, v40, v41, v42
	;; [unrolled: 5-line block ×3, first 2 shown]
	v_cndmask_b32_e32 v41, v185, v137, vcc_lo
	v_lshlrev_b32_e32 v56, 2, v41
	ds_bpermute_b32 v41, v56, v40
	s_waitcnt lgkmcnt(0)
	v_max_f32_e32 v41, v41, v41
	s_delay_alu instid0(VALU_DEP_1) | instskip(NEXT) | instid1(VALU_DEP_1)
	v_max_f32_e32 v57, v40, v41
	v_sub_f32_e32 v40, v139, v57
	s_delay_alu instid0(VALU_DEP_1) | instskip(NEXT) | instid1(VALU_DEP_1)
	v_dual_sub_f32 v48, v48, v57 :: v_dual_mul_f32 v41, 0x3fb8aa3b, v40
	v_fma_f32 v42, 0x3fb8aa3b, v40, -v41
	v_rndne_f32_e32 v43, v41
	s_delay_alu instid0(VALU_DEP_1) | instskip(NEXT) | instid1(VALU_DEP_1)
	v_dual_fmac_f32 v42, 0x32a5705f, v40 :: v_dual_sub_f32 v41, v41, v43
	v_add_f32_e32 v41, v41, v42
	v_cvt_i32_f32_e32 v42, v43
	v_cmp_ngt_f32_e32 vcc_lo, 0xc2ce8ed0, v40
	s_delay_alu instid0(VALU_DEP_3) | instskip(SKIP_2) | instid1(VALU_DEP_1)
	v_exp_f32_e32 v41, v41
	s_waitcnt_depctr 0xfff
	v_ldexp_f32 v41, v41, v42
	v_cndmask_b32_e32 v41, 0, v41, vcc_lo
	v_cmp_nlt_f32_e32 vcc_lo, 0x42b17218, v40
	s_delay_alu instid0(VALU_DEP_2) | instskip(SKIP_1) | instid1(VALU_DEP_2)
	v_cndmask_b32_e32 v41, 0x7f800000, v41, vcc_lo
	v_cmp_le_f32_e32 vcc_lo, 0xc1a00000, v40
	v_cndmask_b32_e32 v66, 0, v41, vcc_lo
	s_delay_alu instid0(VALU_DEP_1)
	v_mul_f32_e32 v40, v32, v66
	v_mul_f32_e32 v32, v16, v66
	;; [unrolled: 1-line block ×3, first 2 shown]
	v_add_co_u32 v24, vcc_lo, s4, v124
	v_mul_f32_e32 v41, v33, v66
	v_mul_f32_e32 v33, v17, v66
	;; [unrolled: 1-line block ×3, first 2 shown]
	v_add_co_ci_u32_e32 v25, vcc_lo, s5, v125, vcc_lo
	v_add_co_u32 v24, vcc_lo, v24, v180
	v_mul_f32_e32 v42, v34, v66
	s_delay_alu instid0(VALU_DEP_3)
	v_add_co_ci_u32_e32 v25, vcc_lo, 0, v25, vcc_lo
	v_mul_f32_e32 v34, v18, v66
	v_mul_f32_e32 v18, v26, v66
	v_add_co_u32 v26, vcc_lo, s4, v209
	v_mul_f32_e32 v43, v35, v66
	v_mul_f32_e32 v35, v19, v66
	;; [unrolled: 1-line block ×3, first 2 shown]
	v_add_co_ci_u32_e32 v27, vcc_lo, s5, v210, vcc_lo
	v_mul_f32_e32 v44, v36, v66
	v_mul_f32_e32 v36, v20, v66
	;; [unrolled: 1-line block ×3, first 2 shown]
	v_add_co_u32 v28, vcc_lo, v26, v207
	v_mul_f32_e32 v45, v37, v66
	v_mul_f32_e32 v37, v21, v66
	;; [unrolled: 1-line block ×3, first 2 shown]
	v_add_co_ci_u32_e32 v29, vcc_lo, 0, v27, vcc_lo
	v_mul_f32_e32 v46, v38, v66
	v_mul_f32_e32 v47, v39, v66
	;; [unrolled: 1-line block ×6, first 2 shown]
	s_clause 0x1
	global_load_b128 v[24:27], v[24:25], off offset:128
	global_load_b128 v[28:31], v[28:29], off
	s_waitcnt vmcnt(1)
	ds_store_b128 v161, v[24:27]
	v_add_co_u32 v24, vcc_lo, s4, v194
	v_add_co_ci_u32_e32 v25, vcc_lo, s5, v195, vcc_lo
	s_delay_alu instid0(VALU_DEP_2) | instskip(NEXT) | instid1(VALU_DEP_2)
	v_add_co_u32 v24, vcc_lo, v24, v207
	v_add_co_ci_u32_e32 v25, vcc_lo, 0, v25, vcc_lo
	v_add_co_u32 v26, vcc_lo, s4, v249
	v_add_co_ci_u32_e32 v27, vcc_lo, s5, v250, vcc_lo
	s_delay_alu instid0(VALU_DEP_2) | instskip(NEXT) | instid1(VALU_DEP_2)
	v_add_co_u32 v67, vcc_lo, v26, v207
	v_add_co_ci_u32_e32 v68, vcc_lo, 0, v27, vcc_lo
	s_clause 0x1
	global_load_b128 v[24:27], v[24:25], off
	global_load_b128 v[67:70], v[67:68], off
	s_waitcnt vmcnt(2)
	ds_store_b128 v146, v[28:31]
	s_waitcnt vmcnt(1)
	ds_store_b128 v240, v[24:27]
	v_add_co_u32 v24, vcc_lo, s4, v251
	v_add_co_ci_u32_e32 v25, vcc_lo, s5, v252, vcc_lo
	v_cmp_eq_u32_e64 s5, 0, v160
	s_delay_alu instid0(VALU_DEP_3) | instskip(NEXT) | instid1(VALU_DEP_3)
	v_add_co_u32 v24, vcc_lo, v24, v207
	v_add_co_ci_u32_e32 v25, vcc_lo, 0, v25, vcc_lo
	global_load_b128 v[24:27], v[24:25], off
	s_waitcnt vmcnt(1)
	ds_store_b128 v241, v[67:70]
	s_waitcnt vmcnt(0)
	ds_store_b128 v242, v[24:27]
	v_sub_f32_e32 v24, v55, v57
	s_waitcnt lgkmcnt(0)
	s_barrier
	buffer_gl0_inv
	v_mul_f32_e32 v25, 0x3fb8aa3b, v24
	v_cmp_ngt_f32_e32 vcc_lo, 0xc2ce8ed0, v24
	v_mul_f32_e32 v8, v8, v66
	v_mul_f32_e32 v12, v12, v66
	;; [unrolled: 1-line block ×3, first 2 shown]
	v_fma_f32 v26, 0x3fb8aa3b, v24, -v25
	v_rndne_f32_e32 v27, v25
	s_delay_alu instid0(VALU_DEP_2) | instskip(NEXT) | instid1(VALU_DEP_2)
	v_dual_mul_f32 v5, v5, v66 :: v_dual_fmac_f32 v26, 0x32a5705f, v24
	v_sub_f32_e32 v25, v25, v27
	v_cvt_i32_f32_e32 v27, v27
	s_delay_alu instid0(VALU_DEP_2) | instskip(NEXT) | instid1(VALU_DEP_1)
	v_dual_add_f32 v25, v25, v26 :: v_dual_sub_f32 v26, v54, v57
	v_exp_f32_e32 v25, v25
	s_delay_alu instid0(VALU_DEP_1) | instskip(SKIP_2) | instid1(VALU_DEP_1)
	v_cmp_ngt_f32_e64 s4, 0xc2ce8ed0, v26
	s_waitcnt_depctr 0xfff
	v_ldexp_f32 v25, v25, v27
	v_cndmask_b32_e32 v25, 0, v25, vcc_lo
	v_cmp_nlt_f32_e32 vcc_lo, 0x42b17218, v24
	s_delay_alu instid0(VALU_DEP_2) | instskip(SKIP_2) | instid1(VALU_DEP_1)
	v_cndmask_b32_e32 v68, 0x7f800000, v25, vcc_lo
	v_cmp_eq_u32_e32 vcc_lo, 1, v239
	v_mul_f32_e32 v28, 0x3fb8aa3b, v26
	v_fma_f32 v29, 0x3fb8aa3b, v26, -v28
	v_rndne_f32_e32 v30, v28
	s_delay_alu instid0(VALU_DEP_2) | instskip(NEXT) | instid1(VALU_DEP_2)
	v_fmac_f32_e32 v29, 0x32a5705f, v26
	v_sub_f32_e32 v28, v28, v30
	s_delay_alu instid0(VALU_DEP_1) | instskip(NEXT) | instid1(VALU_DEP_1)
	v_add_f32_e32 v28, v28, v29
	v_exp_f32_e32 v27, v28
	v_cvt_i32_f32_e32 v28, v30
	s_waitcnt_depctr 0xfff
	v_ldexp_f32 v27, v27, v28
	s_delay_alu instid0(VALU_DEP_1)
	v_cndmask_b32_e64 v24, 0, v27, s4
	v_cmp_nlt_f32_e64 s4, 0x42b17218, v26
	ds_bpermute_b32 v26, v56, v68
	v_cndmask_b32_e64 v67, 0x7f800000, v24, s4
	v_cmp_eq_u32_e64 s4, 0, v239
	ds_bpermute_b32 v24, v56, v67
	s_waitcnt lgkmcnt(0)
	v_cndmask_b32_e64 v25, v67, v24, s4
	v_cndmask_b32_e32 v24, v67, v24, vcc_lo
	s_delay_alu instid0(VALU_DEP_2) | instskip(NEXT) | instid1(VALU_DEP_2)
	v_cndmask_b32_e64 v27, v25, v68, s5
	v_cndmask_b32_e64 v28, v24, v68, s6
	v_cvt_f16_f32_e32 v25, v25
	v_cvt_f16_f32_e32 v24, v24
	s_delay_alu instid0(VALU_DEP_4) | instskip(NEXT) | instid1(VALU_DEP_4)
	v_cndmask_b32_e64 v27, v27, v26, s4
	v_cndmask_b32_e32 v26, v28, v26, vcc_lo
	s_delay_alu instid0(VALU_DEP_3) | instskip(NEXT) | instid1(VALU_DEP_3)
	v_pack_b32_f16 v24, v25, v24
	v_cvt_f16_f32_e32 v28, v27
	s_delay_alu instid0(VALU_DEP_3) | instskip(NEXT) | instid1(VALU_DEP_1)
	v_cvt_f16_f32_e32 v29, v26
	v_pack_b32_f16 v25, v28, v29
	v_sub_f32_e32 v28, v53, v57
	s_delay_alu instid0(VALU_DEP_1) | instskip(SKIP_1) | instid1(VALU_DEP_2)
	v_mul_f32_e32 v29, 0x3fb8aa3b, v28
	v_cmp_ngt_f32_e64 s7, 0xc2ce8ed0, v28
	v_fma_f32 v30, 0x3fb8aa3b, v28, -v29
	v_rndne_f32_e32 v31, v29
	s_delay_alu instid0(VALU_DEP_1) | instskip(NEXT) | instid1(VALU_DEP_1)
	v_dual_fmac_f32 v30, 0x32a5705f, v28 :: v_dual_sub_f32 v29, v29, v31
	v_add_f32_e32 v29, v29, v30
	v_cvt_i32_f32_e32 v30, v31
	s_delay_alu instid0(VALU_DEP_2) | instskip(SKIP_2) | instid1(VALU_DEP_1)
	v_exp_f32_e32 v29, v29
	s_waitcnt_depctr 0xfff
	v_ldexp_f32 v29, v29, v30
	v_cndmask_b32_e64 v29, 0, v29, s7
	v_cmp_nlt_f32_e64 s7, 0x42b17218, v28
	s_delay_alu instid0(VALU_DEP_1) | instskip(SKIP_4) | instid1(VALU_DEP_2)
	v_cndmask_b32_e64 v69, 0x7f800000, v29, s7
	ds_bpermute_b32 v28, v56, v69
	v_cndmask_b32_e64 v27, v27, v69, s5
	v_cndmask_b32_e64 v26, v26, v69, s6
	s_waitcnt lgkmcnt(0)
	v_cndmask_b32_e64 v27, v27, v28, s4
	s_delay_alu instid0(VALU_DEP_2) | instskip(NEXT) | instid1(VALU_DEP_2)
	v_cndmask_b32_e32 v28, v26, v28, vcc_lo
	v_cvt_f16_f32_e32 v26, v27
	s_delay_alu instid0(VALU_DEP_2) | instskip(NEXT) | instid1(VALU_DEP_1)
	v_cvt_f16_f32_e32 v29, v28
	v_pack_b32_f16 v26, v26, v29
	v_sub_f32_e32 v29, v52, v57
	s_delay_alu instid0(VALU_DEP_1) | instskip(SKIP_1) | instid1(VALU_DEP_2)
	v_mul_f32_e32 v30, 0x3fb8aa3b, v29
	v_cmp_ngt_f32_e64 s7, 0xc2ce8ed0, v29
	v_fma_f32 v31, 0x3fb8aa3b, v29, -v30
	v_rndne_f32_e32 v52, v30
	s_delay_alu instid0(VALU_DEP_1) | instskip(NEXT) | instid1(VALU_DEP_1)
	v_dual_fmac_f32 v31, 0x32a5705f, v29 :: v_dual_sub_f32 v30, v30, v52
	v_add_f32_e32 v30, v30, v31
	v_cvt_i32_f32_e32 v31, v52
	s_delay_alu instid0(VALU_DEP_2) | instskip(SKIP_2) | instid1(VALU_DEP_1)
	v_exp_f32_e32 v30, v30
	s_waitcnt_depctr 0xfff
	v_ldexp_f32 v30, v30, v31
	v_cndmask_b32_e64 v30, 0, v30, s7
	v_cmp_nlt_f32_e64 s7, 0x42b17218, v29
	s_delay_alu instid0(VALU_DEP_1) | instskip(SKIP_4) | instid1(VALU_DEP_1)
	v_cndmask_b32_e64 v70, 0x7f800000, v30, s7
	ds_bpermute_b32 v29, v56, v70
	v_cndmask_b32_e64 v27, v27, v70, s5
	v_cndmask_b32_e64 v28, v28, v70, s6
	s_waitcnt lgkmcnt(0)
	v_dual_mul_f32 v9, v9, v66 :: v_dual_cndmask_b32 v28, v28, v29
	s_delay_alu instid0(VALU_DEP_3) | instskip(NEXT) | instid1(VALU_DEP_2)
	v_cndmask_b32_e64 v30, v27, v29, s4
	v_cvt_f16_f32_e32 v29, v28
	s_delay_alu instid0(VALU_DEP_2) | instskip(NEXT) | instid1(VALU_DEP_1)
	v_cvt_f16_f32_e32 v27, v30
	v_pack_b32_f16 v27, v27, v29
	v_sub_f32_e32 v29, v51, v57
	s_delay_alu instid0(VALU_DEP_1) | instskip(SKIP_1) | instid1(VALU_DEP_2)
	v_mul_f32_e32 v31, 0x3fb8aa3b, v29
	v_cmp_ngt_f32_e64 s7, 0xc2ce8ed0, v29
	v_fma_f32 v51, 0x3fb8aa3b, v29, -v31
	v_rndne_f32_e32 v52, v31
	s_delay_alu instid0(VALU_DEP_2) | instskip(NEXT) | instid1(VALU_DEP_2)
	v_fmac_f32_e32 v51, 0x32a5705f, v29
	v_sub_f32_e32 v31, v31, v52
	s_delay_alu instid0(VALU_DEP_1) | instskip(SKIP_1) | instid1(VALU_DEP_2)
	v_add_f32_e32 v31, v31, v51
	v_cvt_i32_f32_e32 v51, v52
	v_exp_f32_e32 v31, v31
	s_waitcnt_depctr 0xfff
	v_ldexp_f32 v31, v31, v51
	s_delay_alu instid0(VALU_DEP_1) | instskip(SKIP_1) | instid1(VALU_DEP_1)
	v_cndmask_b32_e64 v31, 0, v31, s7
	v_cmp_nlt_f32_e64 s7, 0x42b17218, v29
	v_cndmask_b32_e64 v71, 0x7f800000, v31, s7
	s_delay_alu instid0(VALU_DEP_1) | instskip(SKIP_4) | instid1(VALU_DEP_2)
	v_cndmask_b32_e64 v29, v30, v71, s5
	ds_bpermute_b32 v30, v56, v71
	v_cndmask_b32_e64 v28, v28, v71, s6
	s_waitcnt lgkmcnt(0)
	v_cndmask_b32_e64 v29, v29, v30, s4
	v_cndmask_b32_e32 v30, v28, v30, vcc_lo
	s_delay_alu instid0(VALU_DEP_2) | instskip(NEXT) | instid1(VALU_DEP_2)
	v_cvt_f16_f32_e32 v28, v29
	v_cvt_f16_f32_e32 v31, v30
	s_delay_alu instid0(VALU_DEP_1) | instskip(SKIP_1) | instid1(VALU_DEP_1)
	v_pack_b32_f16 v28, v28, v31
	v_sub_f32_e32 v31, v50, v57
	v_dual_mul_f32 v11, v11, v66 :: v_dual_mul_f32 v50, 0x3fb8aa3b, v31
	v_cmp_ngt_f32_e64 s7, 0xc2ce8ed0, v31
	s_delay_alu instid0(VALU_DEP_2) | instskip(SKIP_3) | instid1(VALU_DEP_3)
	v_fma_f32 v51, 0x3fb8aa3b, v31, -v50
	v_rndne_f32_e32 v52, v50
	v_mul_f32_e32 v10, v10, v66
	v_mul_f32_e32 v13, v13, v66
	v_dual_fmac_f32 v51, 0x32a5705f, v31 :: v_dual_sub_f32 v50, v50, v52
	s_delay_alu instid0(VALU_DEP_1) | instskip(SKIP_1) | instid1(VALU_DEP_2)
	v_dual_mul_f32 v15, v15, v66 :: v_dual_add_f32 v50, v50, v51
	v_cvt_i32_f32_e32 v51, v52
	v_exp_f32_e32 v50, v50
	s_waitcnt_depctr 0xfff
	v_ldexp_f32 v50, v50, v51
	s_delay_alu instid0(VALU_DEP_1) | instskip(SKIP_1) | instid1(VALU_DEP_1)
	v_cndmask_b32_e64 v50, 0, v50, s7
	v_cmp_nlt_f32_e64 s7, 0x42b17218, v31
	v_cndmask_b32_e64 v72, 0x7f800000, v50, s7
	ds_bpermute_b32 v31, v56, v72
	v_cndmask_b32_e64 v29, v29, v72, s5
	v_cndmask_b32_e64 v30, v30, v72, s6
	s_waitcnt lgkmcnt(0)
	s_delay_alu instid0(VALU_DEP_1) | instskip(NEXT) | instid1(VALU_DEP_3)
	v_dual_mul_f32 v1, v1, v66 :: v_dual_cndmask_b32 v30, v30, v31
	v_cndmask_b32_e64 v50, v29, v31, s4
	s_delay_alu instid0(VALU_DEP_2) | instskip(NEXT) | instid1(VALU_DEP_2)
	v_cvt_f16_f32_e32 v31, v30
	v_cvt_f16_f32_e32 v29, v50
	s_delay_alu instid0(VALU_DEP_1) | instskip(SKIP_1) | instid1(VALU_DEP_1)
	v_pack_b32_f16 v29, v29, v31
	v_dual_sub_f32 v31, v49, v57 :: v_dual_mul_f32 v14, v14, v66
	v_mul_f32_e32 v49, 0x3fb8aa3b, v31
	v_cmp_ngt_f32_e64 s7, 0xc2ce8ed0, v31
	s_delay_alu instid0(VALU_DEP_2) | instskip(SKIP_2) | instid1(VALU_DEP_3)
	v_fma_f32 v51, 0x3fb8aa3b, v31, -v49
	v_rndne_f32_e32 v52, v49
	v_mul_f32_e32 v0, v0, v66
	v_dual_mul_f32 v2, v2, v66 :: v_dual_fmac_f32 v51, 0x32a5705f, v31
	s_delay_alu instid0(VALU_DEP_3) | instskip(NEXT) | instid1(VALU_DEP_1)
	v_dual_sub_f32 v49, v49, v52 :: v_dual_mul_f32 v4, v4, v66
	v_add_f32_e32 v49, v49, v51
	v_cvt_i32_f32_e32 v51, v52
	s_delay_alu instid0(VALU_DEP_2) | instskip(SKIP_2) | instid1(VALU_DEP_1)
	v_exp_f32_e32 v49, v49
	s_waitcnt_depctr 0xfff
	v_ldexp_f32 v49, v49, v51
	v_cndmask_b32_e64 v49, 0, v49, s7
	v_cmp_nlt_f32_e64 s7, 0x42b17218, v31
	s_delay_alu instid0(VALU_DEP_1)
	v_cndmask_b32_e64 v73, 0x7f800000, v49, s7
	v_cmp_ngt_f32_e64 s7, 0xc2ce8ed0, v48
	ds_bpermute_b32 v49, v56, v73
	v_cndmask_b32_e64 v31, v50, v73, s5
	v_cndmask_b32_e64 v30, v30, v73, s6
	s_waitcnt lgkmcnt(0)
	s_delay_alu instid0(VALU_DEP_2) | instskip(NEXT) | instid1(VALU_DEP_2)
	v_cndmask_b32_e64 v31, v31, v49, s4
	v_cndmask_b32_e32 v49, v30, v49, vcc_lo
	s_delay_alu instid0(VALU_DEP_2) | instskip(NEXT) | instid1(VALU_DEP_2)
	v_cvt_f16_f32_e32 v30, v31
	v_cvt_f16_f32_e32 v50, v49
	s_delay_alu instid0(VALU_DEP_1) | instskip(SKIP_1) | instid1(VALU_DEP_1)
	v_pack_b32_f16 v30, v30, v50
	v_mul_f32_e32 v50, 0x3fb8aa3b, v48
	v_fma_f32 v51, 0x3fb8aa3b, v48, -v50
	v_rndne_f32_e32 v52, v50
	v_mul_f32_e32 v6, v6, v66
	v_mul_f32_e32 v7, v7, v66
	s_delay_alu instid0(VALU_DEP_4) | instskip(NEXT) | instid1(VALU_DEP_4)
	v_fmac_f32_e32 v51, 0x32a5705f, v48
	v_sub_f32_e32 v50, v50, v52
	s_delay_alu instid0(VALU_DEP_1) | instskip(SKIP_1) | instid1(VALU_DEP_2)
	v_add_f32_e32 v50, v50, v51
	v_cvt_i32_f32_e32 v51, v52
	v_exp_f32_e32 v50, v50
	s_waitcnt_depctr 0xfff
	v_ldexp_f32 v50, v50, v51
	s_delay_alu instid0(VALU_DEP_1) | instskip(SKIP_1) | instid1(VALU_DEP_1)
	v_cndmask_b32_e64 v50, 0, v50, s7
	v_cmp_nlt_f32_e64 s7, 0x42b17218, v48
	v_cndmask_b32_e64 v74, 0x7f800000, v50, s7
	s_delay_alu instid0(VALU_DEP_1) | instskip(SKIP_3) | instid1(VALU_DEP_1)
	v_cndmask_b32_e64 v48, v49, v74, s6
	ds_bpermute_b32 v49, v56, v74
	v_cndmask_b32_e64 v31, v31, v74, s5
	s_waitcnt lgkmcnt(0)
	v_cndmask_b32_e64 v31, v31, v49, s4
	v_cndmask_b32_e32 v48, v48, v49, vcc_lo
	s_delay_alu instid0(VALU_DEP_2) | instskip(NEXT) | instid1(VALU_DEP_2)
	v_cvt_f16_f32_e32 v31, v31
	v_cvt_f16_f32_e32 v48, v48
	s_delay_alu instid0(VALU_DEP_1)
	v_pack_b32_f16 v31, v31, v48
	ds_load_u16 v50, v163 offset:704
	ds_load_u16 v49, v163 offset:352
	;; [unrolled: 1-line block ×22, first 2 shown]
	ds_load_u16 v48, v163
	ds_load_u16 v75, v163 offset:32
	ds_load_u16 v83, v163 offset:64
	ds_load_u16 v91, v163 offset:96
	ds_load_u16 v100, v248 offset:352
	ds_load_u16 v102, v248 offset:1056
	ds_load_u16 v106, v248 offset:2464
	ds_load_u16 v104, v248 offset:1760
	ds_load_u16 v108, v244 offset:352
	ds_load_u16 v113, v244 offset:2112
	ds_load_u16 v77, v245 offset:704
	ds_load_u16 v114, v244 offset:2464
	ds_load_u16 v112, v244 offset:1760
	ds_load_u16 v111, v244 offset:1408
	ds_load_u16 v110, v244 offset:1056
	ds_load_u16 v109, v244 offset:704
	ds_load_u16 v85, v246 offset:704
	ds_load_u16 v122, v164 offset:352
	ds_load_u16 v128, v164 offset:2464
	ds_load_u16 v127, v164 offset:2112
	ds_load_u16 v126, v164 offset:1760
	ds_load_u16 v125, v164 offset:1408
	ds_load_u16 v124, v164 offset:1056
	ds_load_u16 v123, v164 offset:704
	ds_load_u16 v149, v165 offset:352
	ds_load_u16 v151, v165 offset:1056
	ds_load_u16 v93, v247 offset:704
	ds_load_u16 v155, v165 offset:2464
	ds_load_u16 v154, v165 offset:2112
	ds_load_u16 v153, v165 offset:1760
	ds_load_u16 v152, v165 offset:1408
	ds_load_u16 v170, v166 offset:352
	ds_load_u16 v172, v166 offset:1056
	ds_load_u16 v174, v166 offset:1760
	ds_load_u16 v173, v166 offset:1408
	ds_load_u16 v105, v248 offset:2112
	ds_load_u16 v103, v248 offset:1408
	ds_load_u16 v101, v248 offset:704
	ds_load_u16 v176, v166 offset:2464
	ds_load_u16 v175, v166 offset:2112
	ds_load_u16 v121, v245 offset:5632
	s_waitcnt lgkmcnt(23)
	ds_load_u16_d16_hi v122, v245 offset:6160
	s_waitcnt lgkmcnt(19)
	ds_load_u16_d16_hi v124, v245 offset:6864
	ds_load_u16_d16_hi v126, v245 offset:7568
	ds_load_u16_d16_hi v128, v245 offset:8272
	ds_load_u16 v81, v245 offset:2112
	ds_load_u16 v55, v163 offset:2464
	ds_load_u16_d16_hi v82, v163 offset:2672
	ds_load_u16_d16_hi v77, v163 offset:912
	;; [unrolled: 1-line block ×4, first 2 shown]
	ds_load_u16 v53, v163 offset:1760
	ds_load_u16_d16_hi v80, v163 offset:1968
	ds_load_u16_d16_hi v94, v163 offset:1328
	s_waitcnt lgkmcnt(27)
	ds_load_u16_d16_hi v93, v163 offset:976
	ds_load_u16_d16_hi v50, v163 offset:880
	;; [unrolled: 1-line block ×9, first 2 shown]
	ds_load_u16 v148, v246 offset:5632
	ds_load_u16_d16_hi v149, v246 offset:6160
	ds_load_u16_d16_hi v151, v246 offset:6864
	s_waitcnt lgkmcnt(36)
	ds_load_u16_d16_hi v153, v246 offset:7568
	ds_load_u16_d16_hi v155, v246 offset:8272
	;; [unrolled: 1-line block ×3, first 2 shown]
	s_waitcnt lgkmcnt(23)
	ds_load_u16_d16_hi v81, v163 offset:2320
	ds_load_u16_d16_hi v97, v163 offset:2384
	;; [unrolled: 1-line block ×6, first 2 shown]
	s_waitcnt lgkmcnt(28)
	ds_load_u16_d16_hi v55, v163 offset:2640
	ds_load_u16_d16_hi v90, v163 offset:2704
	ds_load_u16_d16_hi v103, v163 offset:1712
	s_waitcnt lgkmcnt(26)
	ds_load_u16_d16_hi v53, v163 offset:1936
	ds_load_u16_d16_hi v88, v163 offset:2000
	;; [unrolled: 1-line block ×5, first 2 shown]
	ds_load_u16 v99, v163 offset:128
	ds_load_u16_d16_hi v49, v163 offset:528
	ds_load_u16_d16_hi v48, v163 offset:176
	ds_load_u16_d16_hi v75, v163 offset:208
	ds_load_u16_d16_hi v83, v163 offset:240
	ds_load_u16_d16_hi v84, v163 offset:592
	ds_load_u16_d16_hi v101, v163 offset:1008
	ds_load_u16 v169, v247 offset:5632
	ds_load_u16_d16_hi v170, v247 offset:6160
	ds_load_u16_d16_hi v172, v247 offset:6864
	;; [unrolled: 1-line block ×8, first 2 shown]
	ds_load_u16 v107, v163 offset:5632
	ds_load_u16_d16_hi v108, v163 offset:6160
	ds_load_u16_d16_hi v110, v163 offset:6864
	;; [unrolled: 1-line block ×5, first 2 shown]
	s_waitcnt lgkmcnt(21)
	ds_load_u16_d16_hi v99, v163 offset:304
	ds_load_u16_d16_hi v95, v163 offset:1680
	s_waitcnt lgkmcnt(21)
	v_wmma_f32_16x16x16_f16 v[40:47], v[48:55], v[24:31], v[40:47]
	s_waitcnt lgkmcnt(20)
	v_wmma_f32_16x16x16_f16 v[32:39], v[75:82], v[24:31], v[32:39]
	;; [unrolled: 2-line block ×3, first 2 shown]
	s_waitcnt lgkmcnt(7)
	ds_load_u16_d16_hi v107, v163 offset:5808
	ds_load_u16_d16_hi v109, v163 offset:6512
	;; [unrolled: 1-line block ×7, first 2 shown]
	ds_load_u16 v150, v165 offset:704
	ds_load_u16_d16_hi v148, v246 offset:5808
	s_waitcnt lgkmcnt(1)
	ds_load_u16_d16_hi v150, v246 offset:6512
	ds_load_u16_d16_hi v152, v246 offset:7216
	v_wmma_f32_16x16x16_f16 v[8:15], v[91:98], v[24:31], v[8:15]
	v_wmma_f32_16x16x16_f16 v[0:7], v[99:106], v[24:31], v[0:7]
	v_sub_f32_e32 v24, v65, v57
	ds_load_u16 v171, v166 offset:704
	ds_load_u16_d16_hi v169, v247 offset:5808
	s_waitcnt lgkmcnt(1)
	ds_load_u16_d16_hi v171, v247 offset:6512
	ds_load_u16_d16_hi v173, v247 offset:7216
	v_mul_f32_e32 v25, 0x3fb8aa3b, v24
	s_delay_alu instid0(VALU_DEP_1) | instskip(SKIP_1) | instid1(VALU_DEP_1)
	v_fma_f32 v26, 0x3fb8aa3b, v24, -v25
	v_rndne_f32_e32 v27, v25
	v_dual_fmac_f32 v26, 0x32a5705f, v24 :: v_dual_sub_f32 v25, v25, v27
	v_cvt_i32_f32_e32 v27, v27
	s_delay_alu instid0(VALU_DEP_2) | instskip(NEXT) | instid1(VALU_DEP_1)
	v_dual_add_f32 v25, v25, v26 :: v_dual_sub_f32 v26, v64, v57
	v_exp_f32_e32 v25, v25
	s_delay_alu instid0(VALU_DEP_1) | instskip(SKIP_1) | instid1(VALU_DEP_2)
	v_mul_f32_e32 v28, 0x3fb8aa3b, v26
	v_cmp_ngt_f32_e64 s8, 0xc2ce8ed0, v26
	v_fma_f32 v29, 0x3fb8aa3b, v26, -v28
	v_rndne_f32_e32 v30, v28
	s_waitcnt_depctr 0xfff
	v_ldexp_f32 v25, v25, v27
	v_fmac_f32_e32 v29, 0x32a5705f, v26
	v_sub_f32_e32 v28, v28, v30
	v_cmp_ngt_f32_e64 s7, 0xc2ce8ed0, v24
	s_delay_alu instid0(VALU_DEP_2) | instskip(NEXT) | instid1(VALU_DEP_2)
	v_add_f32_e32 v28, v28, v29
	v_cndmask_b32_e64 v25, 0, v25, s7
	v_cmp_nlt_f32_e64 s7, 0x42b17218, v24
	s_delay_alu instid0(VALU_DEP_3) | instskip(SKIP_1) | instid1(VALU_DEP_2)
	v_exp_f32_e32 v27, v28
	v_cvt_i32_f32_e32 v28, v30
	v_cndmask_b32_e64 v65, 0x7f800000, v25, s7
	s_waitcnt_depctr 0xfff
	v_ldexp_f32 v27, v27, v28
	s_delay_alu instid0(VALU_DEP_1)
	v_cndmask_b32_e64 v24, 0, v27, s8
	v_cmp_nlt_f32_e64 s8, 0x42b17218, v26
	ds_bpermute_b32 v26, v56, v65
	v_cndmask_b32_e64 v64, 0x7f800000, v24, s8
	ds_bpermute_b32 v24, v56, v64
	s_waitcnt lgkmcnt(0)
	v_cndmask_b32_e32 v25, v64, v24, vcc_lo
	v_cndmask_b32_e64 v24, v64, v24, s4
	s_delay_alu instid0(VALU_DEP_2) | instskip(NEXT) | instid1(VALU_DEP_2)
	v_cndmask_b32_e64 v28, v25, v65, s6
	v_cndmask_b32_e64 v27, v24, v65, s5
	v_cvt_f16_f32_e32 v24, v24
	v_cvt_f16_f32_e32 v25, v25
	s_delay_alu instid0(VALU_DEP_3) | instskip(SKIP_1) | instid1(VALU_DEP_3)
	v_cndmask_b32_e64 v27, v27, v26, s4
	v_cndmask_b32_e32 v26, v28, v26, vcc_lo
	v_pack_b32_f16 v24, v24, v25
	s_delay_alu instid0(VALU_DEP_3) | instskip(NEXT) | instid1(VALU_DEP_3)
	v_cvt_f16_f32_e32 v28, v27
	v_cvt_f16_f32_e32 v29, v26
	s_delay_alu instid0(VALU_DEP_1) | instskip(SKIP_1) | instid1(VALU_DEP_1)
	v_pack_b32_f16 v25, v28, v29
	v_sub_f32_e32 v28, v63, v57
	v_mul_f32_e32 v29, 0x3fb8aa3b, v28
	v_cmp_ngt_f32_e64 s7, 0xc2ce8ed0, v28
	s_delay_alu instid0(VALU_DEP_2) | instskip(SKIP_1) | instid1(VALU_DEP_1)
	v_fma_f32 v30, 0x3fb8aa3b, v28, -v29
	v_rndne_f32_e32 v31, v29
	v_dual_fmac_f32 v30, 0x32a5705f, v28 :: v_dual_sub_f32 v29, v29, v31
	s_delay_alu instid0(VALU_DEP_1) | instskip(SKIP_1) | instid1(VALU_DEP_2)
	v_add_f32_e32 v29, v29, v30
	v_cvt_i32_f32_e32 v30, v31
	v_exp_f32_e32 v29, v29
	s_waitcnt_depctr 0xfff
	v_ldexp_f32 v29, v29, v30
	s_delay_alu instid0(VALU_DEP_1) | instskip(SKIP_1) | instid1(VALU_DEP_1)
	v_cndmask_b32_e64 v29, 0, v29, s7
	v_cmp_nlt_f32_e64 s7, 0x42b17218, v28
	v_cndmask_b32_e64 v63, 0x7f800000, v29, s7
	ds_bpermute_b32 v28, v56, v63
	v_cndmask_b32_e64 v27, v27, v63, s5
	v_cndmask_b32_e64 v26, v26, v63, s6
	s_waitcnt lgkmcnt(0)
	s_delay_alu instid0(VALU_DEP_2) | instskip(NEXT) | instid1(VALU_DEP_2)
	v_cndmask_b32_e64 v27, v27, v28, s4
	v_cndmask_b32_e32 v28, v26, v28, vcc_lo
	s_delay_alu instid0(VALU_DEP_2) | instskip(NEXT) | instid1(VALU_DEP_2)
	v_cvt_f16_f32_e32 v26, v27
	v_cvt_f16_f32_e32 v29, v28
	s_delay_alu instid0(VALU_DEP_1) | instskip(SKIP_1) | instid1(VALU_DEP_1)
	v_pack_b32_f16 v26, v26, v29
	v_sub_f32_e32 v29, v62, v57
	v_mul_f32_e32 v30, 0x3fb8aa3b, v29
	v_cmp_ngt_f32_e64 s7, 0xc2ce8ed0, v29
	s_delay_alu instid0(VALU_DEP_2) | instskip(SKIP_1) | instid1(VALU_DEP_1)
	v_fma_f32 v31, 0x3fb8aa3b, v29, -v30
	v_rndne_f32_e32 v48, v30
	v_dual_fmac_f32 v31, 0x32a5705f, v29 :: v_dual_sub_f32 v30, v30, v48
	s_delay_alu instid0(VALU_DEP_1) | instskip(SKIP_1) | instid1(VALU_DEP_2)
	v_add_f32_e32 v30, v30, v31
	v_cvt_i32_f32_e32 v31, v48
	v_exp_f32_e32 v30, v30
	s_waitcnt_depctr 0xfff
	v_ldexp_f32 v30, v30, v31
	s_delay_alu instid0(VALU_DEP_1) | instskip(SKIP_1) | instid1(VALU_DEP_1)
	v_cndmask_b32_e64 v30, 0, v30, s7
	v_cmp_nlt_f32_e64 s7, 0x42b17218, v29
	v_cndmask_b32_e64 v62, 0x7f800000, v30, s7
	ds_bpermute_b32 v29, v56, v62
	v_cndmask_b32_e64 v27, v27, v62, s5
	v_cndmask_b32_e64 v28, v28, v62, s6
	s_waitcnt lgkmcnt(0)
	s_delay_alu instid0(VALU_DEP_2) | instskip(NEXT) | instid1(VALU_DEP_2)
	v_cndmask_b32_e64 v30, v27, v29, s4
	v_cndmask_b32_e32 v28, v28, v29, vcc_lo
	s_delay_alu instid0(VALU_DEP_2) | instskip(NEXT) | instid1(VALU_DEP_2)
	v_cvt_f16_f32_e32 v27, v30
	v_cvt_f16_f32_e32 v29, v28
	s_delay_alu instid0(VALU_DEP_1) | instskip(SKIP_1) | instid1(VALU_DEP_1)
	v_pack_b32_f16 v27, v27, v29
	v_sub_f32_e32 v29, v61, v57
	v_mul_f32_e32 v31, 0x3fb8aa3b, v29
	v_cmp_ngt_f32_e64 s7, 0xc2ce8ed0, v29
	s_delay_alu instid0(VALU_DEP_2) | instskip(SKIP_1) | instid1(VALU_DEP_2)
	v_fma_f32 v48, 0x3fb8aa3b, v29, -v31
	v_rndne_f32_e32 v49, v31
	v_fmac_f32_e32 v48, 0x32a5705f, v29
	s_delay_alu instid0(VALU_DEP_2) | instskip(NEXT) | instid1(VALU_DEP_1)
	v_sub_f32_e32 v31, v31, v49
	v_add_f32_e32 v31, v31, v48
	v_cvt_i32_f32_e32 v48, v49
	s_delay_alu instid0(VALU_DEP_2) | instskip(SKIP_2) | instid1(VALU_DEP_1)
	v_exp_f32_e32 v31, v31
	s_waitcnt_depctr 0xfff
	v_ldexp_f32 v31, v31, v48
	v_cndmask_b32_e64 v31, 0, v31, s7
	v_cmp_nlt_f32_e64 s7, 0x42b17218, v29
	s_delay_alu instid0(VALU_DEP_1) | instskip(NEXT) | instid1(VALU_DEP_1)
	v_cndmask_b32_e64 v61, 0x7f800000, v31, s7
	v_cndmask_b32_e64 v29, v30, v61, s5
	ds_bpermute_b32 v30, v56, v61
	v_cndmask_b32_e64 v28, v28, v61, s6
	s_waitcnt lgkmcnt(0)
	v_cndmask_b32_e64 v29, v29, v30, s4
	s_delay_alu instid0(VALU_DEP_2) | instskip(NEXT) | instid1(VALU_DEP_2)
	v_cndmask_b32_e32 v30, v28, v30, vcc_lo
	v_cvt_f16_f32_e32 v28, v29
	s_delay_alu instid0(VALU_DEP_2) | instskip(NEXT) | instid1(VALU_DEP_1)
	v_cvt_f16_f32_e32 v31, v30
	v_pack_b32_f16 v28, v28, v31
	v_sub_f32_e32 v31, v60, v57
	s_delay_alu instid0(VALU_DEP_1) | instskip(SKIP_1) | instid1(VALU_DEP_2)
	v_mul_f32_e32 v48, 0x3fb8aa3b, v31
	v_cmp_ngt_f32_e64 s7, 0xc2ce8ed0, v31
	v_fma_f32 v49, 0x3fb8aa3b, v31, -v48
	v_rndne_f32_e32 v50, v48
	s_delay_alu instid0(VALU_DEP_1) | instskip(NEXT) | instid1(VALU_DEP_1)
	v_dual_fmac_f32 v49, 0x32a5705f, v31 :: v_dual_sub_f32 v48, v48, v50
	v_add_f32_e32 v48, v48, v49
	v_cvt_i32_f32_e32 v49, v50
	s_delay_alu instid0(VALU_DEP_2) | instskip(SKIP_2) | instid1(VALU_DEP_1)
	v_exp_f32_e32 v48, v48
	s_waitcnt_depctr 0xfff
	v_ldexp_f32 v48, v48, v49
	v_cndmask_b32_e64 v48, 0, v48, s7
	v_cmp_nlt_f32_e64 s7, 0x42b17218, v31
	s_delay_alu instid0(VALU_DEP_1) | instskip(SKIP_4) | instid1(VALU_DEP_2)
	v_cndmask_b32_e64 v60, 0x7f800000, v48, s7
	ds_bpermute_b32 v31, v56, v60
	v_cndmask_b32_e64 v29, v29, v60, s5
	v_cndmask_b32_e64 v30, v30, v60, s6
	s_waitcnt lgkmcnt(0)
	v_cndmask_b32_e64 v48, v29, v31, s4
	s_delay_alu instid0(VALU_DEP_2) | instskip(NEXT) | instid1(VALU_DEP_2)
	v_cndmask_b32_e32 v30, v30, v31, vcc_lo
	v_cvt_f16_f32_e32 v29, v48
	s_delay_alu instid0(VALU_DEP_2) | instskip(NEXT) | instid1(VALU_DEP_1)
	v_cvt_f16_f32_e32 v31, v30
	v_pack_b32_f16 v29, v29, v31
	v_sub_f32_e32 v31, v59, v57
	s_delay_alu instid0(VALU_DEP_1) | instskip(SKIP_1) | instid1(VALU_DEP_2)
	v_mul_f32_e32 v49, 0x3fb8aa3b, v31
	v_cmp_ngt_f32_e64 s7, 0xc2ce8ed0, v31
	v_fma_f32 v50, 0x3fb8aa3b, v31, -v49
	v_rndne_f32_e32 v51, v49
	s_delay_alu instid0(VALU_DEP_2) | instskip(NEXT) | instid1(VALU_DEP_2)
	v_fmac_f32_e32 v50, 0x32a5705f, v31
	v_sub_f32_e32 v49, v49, v51
	s_delay_alu instid0(VALU_DEP_1) | instskip(SKIP_1) | instid1(VALU_DEP_2)
	v_add_f32_e32 v49, v49, v50
	v_cvt_i32_f32_e32 v50, v51
	v_exp_f32_e32 v49, v49
	s_waitcnt_depctr 0xfff
	v_ldexp_f32 v49, v49, v50
	s_delay_alu instid0(VALU_DEP_1) | instskip(SKIP_1) | instid1(VALU_DEP_1)
	v_cndmask_b32_e64 v49, 0, v49, s7
	v_cmp_nlt_f32_e64 s7, 0x42b17218, v31
	v_cndmask_b32_e64 v59, 0x7f800000, v49, s7
	s_delay_alu instid0(VALU_DEP_1) | instskip(SKIP_4) | instid1(VALU_DEP_2)
	v_cndmask_b32_e64 v31, v48, v59, s5
	ds_bpermute_b32 v48, v56, v59
	v_cndmask_b32_e64 v30, v30, v59, s6
	s_waitcnt lgkmcnt(0)
	v_cndmask_b32_e64 v31, v31, v48, s4
	v_cndmask_b32_e32 v48, v30, v48, vcc_lo
	s_delay_alu instid0(VALU_DEP_2) | instskip(NEXT) | instid1(VALU_DEP_2)
	v_cvt_f16_f32_e32 v30, v31
	v_cvt_f16_f32_e32 v49, v48
	s_delay_alu instid0(VALU_DEP_1) | instskip(SKIP_1) | instid1(VALU_DEP_1)
	v_pack_b32_f16 v30, v30, v49
	v_sub_f32_e32 v49, v58, v57
	v_mul_f32_e32 v50, 0x3fb8aa3b, v49
	v_cmp_ngt_f32_e64 s7, 0xc2ce8ed0, v49
	s_delay_alu instid0(VALU_DEP_2) | instskip(SKIP_1) | instid1(VALU_DEP_1)
	v_fma_f32 v51, 0x3fb8aa3b, v49, -v50
	v_rndne_f32_e32 v52, v50
	v_dual_fmac_f32 v51, 0x32a5705f, v49 :: v_dual_sub_f32 v50, v50, v52
	s_delay_alu instid0(VALU_DEP_1) | instskip(SKIP_1) | instid1(VALU_DEP_2)
	v_add_f32_e32 v50, v50, v51
	v_cvt_i32_f32_e32 v51, v52
	v_exp_f32_e32 v50, v50
	s_waitcnt_depctr 0xfff
	v_ldexp_f32 v50, v50, v51
	s_delay_alu instid0(VALU_DEP_1) | instskip(SKIP_1) | instid1(VALU_DEP_1)
	v_cndmask_b32_e64 v50, 0, v50, s7
	v_cmp_nlt_f32_e64 s7, 0x42b17218, v49
	v_cndmask_b32_e64 v58, 0x7f800000, v50, s7
	ds_bpermute_b32 v49, v56, v58
	v_cndmask_b32_e64 v31, v31, v58, s5
	v_cndmask_b32_e64 v48, v48, v58, s6
	s_waitcnt lgkmcnt(0)
	s_delay_alu instid0(VALU_DEP_2) | instskip(NEXT) | instid1(VALU_DEP_2)
	v_cndmask_b32_e64 v31, v31, v49, s4
	v_cndmask_b32_e32 v48, v48, v49, vcc_lo
	s_cselect_b32 s4, -1, 0
	s_delay_alu instid0(SALU_CYCLE_1) | instskip(NEXT) | instid1(VALU_DEP_2)
	s_and_b32 s4, s0, s4
	v_cvt_f16_f32_e32 v31, v31
	s_delay_alu instid0(VALU_DEP_2) | instskip(NEXT) | instid1(VALU_DEP_1)
	v_cvt_f16_f32_e32 v48, v48
	v_pack_b32_f16 v31, v31, v48
	ds_load_u16 v49, v167 offset:352
	ds_load_u16 v51, v167 offset:1056
	;; [unrolled: 1-line block ×8, first 2 shown]
	s_waitcnt lgkmcnt(7)
	ds_load_u16_d16_hi v49, v248 offset:6160
	s_waitcnt lgkmcnt(7)
	ds_load_u16_d16_hi v51, v248 offset:6864
	;; [unrolled: 2-line block ×8, first 2 shown]
	v_wmma_f32_16x16x16_f16 v[40:47], v[107:114], v[24:31], v[40:47]
	v_wmma_f32_16x16x16_f16 v[32:39], v[121:128], v[24:31], v[32:39]
	;; [unrolled: 1-line block ×4, first 2 shown]
	s_waitcnt lgkmcnt(0)
	s_barrier
	buffer_gl0_inv
	v_wmma_f32_16x16x16_f16 v[0:7], v[48:55], v[24:31], v[0:7]
	v_add_f32_e32 v24, v67, v68
	s_delay_alu instid0(VALU_DEP_1) | instskip(NEXT) | instid1(VALU_DEP_1)
	v_add_f32_e32 v24, v69, v24
	v_add_f32_e32 v24, v70, v24
	s_delay_alu instid0(VALU_DEP_1) | instskip(NEXT) | instid1(VALU_DEP_1)
	v_add_f32_e32 v24, v71, v24
	;; [unrolled: 3-line block ×7, first 2 shown]
	v_add_f32_e32 v24, v58, v24
	s_delay_alu instid0(VALU_DEP_1)
	v_fmac_f32_e32 v24, v135, v66
	ds_bpermute_b32 v25, v56, v24
	s_waitcnt lgkmcnt(0)
	v_add_f32_e32 v24, v24, v25
	s_and_saveexec_b32 s5, s4
	s_cbranch_execz .LBB9_66
; %bb.65:                               ;   in Loop: Header=BB9_13 Depth=1
	scratch_load_b32 v25, off, off offset:48 ; 4-byte Folded Reload
	v_max_f32_e32 v26, v57, v57
	s_waitcnt vmcnt(0)
	v_lshlrev_b32_e32 v25, 2, v25
	global_load_b32 v25, v25, s[72:73]
	s_waitcnt vmcnt(0)
	v_max_f32_e32 v27, v25, v25
	s_delay_alu instid0(VALU_DEP_1) | instskip(NEXT) | instid1(VALU_DEP_1)
	v_max_f32_e32 v26, v26, v27
	v_sub_f32_e32 v27, v57, v26
	v_sub_f32_e32 v25, v25, v26
	s_delay_alu instid0(VALU_DEP_2) | instskip(NEXT) | instid1(VALU_DEP_2)
	v_dual_mov_b32 v57, v26 :: v_dual_mul_f32 v28, 0x3fb8aa3b, v27
	v_cmp_ngt_f32_e64 s4, 0xc2ce8ed0, v25
	s_delay_alu instid0(VALU_DEP_2) | instskip(SKIP_1) | instid1(VALU_DEP_1)
	v_fma_f32 v29, 0x3fb8aa3b, v27, -v28
	v_rndne_f32_e32 v30, v28
	v_dual_fmac_f32 v29, 0x32a5705f, v27 :: v_dual_sub_f32 v28, v28, v30
	v_cvt_i32_f32_e32 v30, v30
	s_delay_alu instid0(VALU_DEP_2) | instskip(SKIP_1) | instid1(VALU_DEP_2)
	v_add_f32_e32 v28, v28, v29
	v_cmp_ngt_f32_e32 vcc_lo, 0xc2ce8ed0, v27
	v_exp_f32_e32 v28, v28
	s_waitcnt_depctr 0xfff
	v_ldexp_f32 v28, v28, v30
	s_delay_alu instid0(VALU_DEP_1) | instskip(NEXT) | instid1(VALU_DEP_1)
	v_dual_mul_f32 v29, 0x3fb8aa3b, v25 :: v_dual_cndmask_b32 v28, 0, v28
	v_fma_f32 v31, 0x3fb8aa3b, v25, -v29
	v_rndne_f32_e32 v48, v29
	v_cmp_nlt_f32_e32 vcc_lo, 0x42b17218, v27
	s_delay_alu instid0(VALU_DEP_3) | instskip(NEXT) | instid1(VALU_DEP_3)
	v_fmac_f32_e32 v31, 0x32a5705f, v25
	v_sub_f32_e32 v29, v29, v48
	v_cndmask_b32_e32 v28, 0x7f800000, v28, vcc_lo
	v_cvt_i32_f32_e32 v30, v48
	v_cmp_le_f32_e32 vcc_lo, 0xc1a00000, v27
	s_delay_alu instid0(VALU_DEP_4) | instskip(NEXT) | instid1(VALU_DEP_1)
	v_add_f32_e32 v29, v29, v31
	v_exp_f32_e32 v29, v29
	s_waitcnt_depctr 0xfff
	v_ldexp_f32 v29, v29, v30
	s_delay_alu instid0(VALU_DEP_1) | instskip(SKIP_1) | instid1(VALU_DEP_1)
	v_cndmask_b32_e64 v27, 0, v29, s4
	v_cmp_nlt_f32_e64 s4, 0x42b17218, v25
	v_cndmask_b32_e64 v25, 0x7f800000, v27, s4
	v_cndmask_b32_e32 v27, 0, v28, vcc_lo
	s_delay_alu instid0(VALU_DEP_1) | instskip(NEXT) | instid1(VALU_DEP_1)
	v_fmac_f32_e32 v25, v24, v27
	v_mov_b32_e32 v24, v25
	v_mul_f32_e32 v40, v40, v27
	v_mul_f32_e32 v41, v41, v27
	;; [unrolled: 1-line block ×40, first 2 shown]
.LBB9_66:                               ;   in Loop: Header=BB9_13 Depth=1
	s_or_b32 exec_lo, exec_lo, s5
	s_and_saveexec_b32 s4, s2
	s_cbranch_execz .LBB9_68
; %bb.67:                               ;   in Loop: Header=BB9_13 Depth=1
	scratch_load_b32 v25, off, off offset:16 ; 4-byte Folded Reload
	s_waitcnt vmcnt(0)
	v_add_nc_u32_e32 v25, 0, v25
	ds_store_2addr_b32 v25, v57, v24 offset0:40 offset1:41
.LBB9_68:                               ;   in Loop: Header=BB9_13 Depth=1
	s_or_b32 exec_lo, exec_lo, s4
	s_waitcnt lgkmcnt(0)
	s_barrier
	buffer_gl0_inv
	s_mov_b32 s4, exec_lo
	scratch_load_b64 v[124:125], off, off   ; 8-byte Folded Reload
	s_and_b32 s5, s4, s1
	s_delay_alu instid0(SALU_CYCLE_1)
	s_xor_b32 s4, s5, s4
	s_mov_b32 exec_lo, s5
	s_cbranch_execz .LBB9_70
; %bb.69:                               ;   in Loop: Header=BB9_13 Depth=1
	s_waitcnt vmcnt(0)
	s_barrier
	buffer_gl0_inv
                                        ; implicit-def: $vgpr56
.LBB9_70:                               ;   in Loop: Header=BB9_13 Depth=1
	s_and_not1_saveexec_b32 s4, s4
	s_cbranch_execz .LBB9_74
; %bb.71:                               ;   in Loop: Header=BB9_13 Depth=1
	scratch_load_b32 v24, off, off offset:20 ; 4-byte Folded Reload
	s_waitcnt vmcnt(0)
	v_add_nc_u32_e32 v28, 0, v24
	ds_load_b64 v[26:27], v28 offset:160
	s_waitcnt lgkmcnt(0)
	s_barrier
	buffer_gl0_inv
	v_max_f32_e32 v25, v26, v26
	ds_bpermute_b32 v24, v56, v26
	s_waitcnt lgkmcnt(0)
	v_max_f32_e32 v24, v24, v24
	s_delay_alu instid0(VALU_DEP_1) | instskip(NEXT) | instid1(VALU_DEP_1)
	v_max_f32_e32 v24, v25, v24
	v_sub_f32_e32 v25, v26, v24
	s_delay_alu instid0(VALU_DEP_1) | instskip(SKIP_1) | instid1(VALU_DEP_2)
	v_mul_f32_e32 v26, 0x3fb8aa3b, v25
	v_cmp_ngt_f32_e32 vcc_lo, 0xc2ce8ed0, v25
	v_fma_f32 v29, 0x3fb8aa3b, v25, -v26
	v_rndne_f32_e32 v30, v26
	s_delay_alu instid0(VALU_DEP_1) | instskip(NEXT) | instid1(VALU_DEP_1)
	v_dual_fmac_f32 v29, 0x32a5705f, v25 :: v_dual_sub_f32 v26, v26, v30
	v_add_f32_e32 v26, v26, v29
	v_cvt_i32_f32_e32 v29, v30
	s_delay_alu instid0(VALU_DEP_2) | instskip(SKIP_2) | instid1(VALU_DEP_1)
	v_exp_f32_e32 v26, v26
	s_waitcnt_depctr 0xfff
	v_ldexp_f32 v26, v26, v29
	v_cndmask_b32_e32 v26, 0, v26, vcc_lo
	v_cmp_nlt_f32_e32 vcc_lo, 0x42b17218, v25
	s_delay_alu instid0(VALU_DEP_2) | instskip(NEXT) | instid1(VALU_DEP_1)
	v_cndmask_b32_e32 v25, 0x7f800000, v26, vcc_lo
	v_mul_f32_e32 v26, v27, v25
	ds_bpermute_b32 v26, v56, v26
	s_waitcnt lgkmcnt(0)
	v_fmac_f32_e32 v26, v27, v25
	ds_store_b64 v28, v[25:26] offset:160
	s_and_saveexec_b32 s5, s2
	s_cbranch_execz .LBB9_73
; %bb.72:                               ;   in Loop: Header=BB9_13 Depth=1
	v_mov_b32_e32 v25, v26
	scratch_load_b64 v[26:27], off, off offset:276 ; 8-byte Folded Reload
	s_waitcnt vmcnt(0)
	global_store_b64 v[26:27], v[24:25], off
.LBB9_73:                               ;   in Loop: Header=BB9_13 Depth=1
	s_or_b32 exec_lo, exec_lo, s5
.LBB9_74:                               ;   in Loop: Header=BB9_13 Depth=1
	s_delay_alu instid0(SALU_CYCLE_1)
	s_or_b32 exec_lo, exec_lo, s4
	v_cvt_f16_f32_e32 v24, v40
	v_cvt_f16_f32_e32 v16, v16
	;; [unrolled: 1-line block ×31, first 2 shown]
	ds_store_b16 v168, v24
	ds_store_b16 v168, v25 offset:4
	ds_store_b16 v168, v26 offset:8
	ds_store_b16 v168, v27 offset:12
	ds_store_b16 v168, v28 offset:16
	ds_store_b16 v168, v29 offset:20
	ds_store_b16 v168, v30 offset:24
	ds_store_b16 v168, v31 offset:28
	ds_store_b16 v168, v32 offset:32
	ds_store_b16 v168, v33 offset:36
	ds_store_b16 v168, v34 offset:40
	ds_store_b16 v168, v35 offset:44
	ds_store_b16 v168, v36 offset:48
	ds_store_b16 v168, v37 offset:52
	ds_store_b16 v168, v38 offset:56
	ds_store_b16 v168, v39 offset:60
	v_cvt_f16_f32_e32 v21, v21
	v_cvt_f16_f32_e32 v22, v22
	v_cvt_f16_f32_e32 v23, v23
	ds_store_b16 v168, v16 offset:64
	ds_store_b16 v168, v17 offset:68
	ds_store_b16 v168, v18 offset:72
	ds_store_b16 v168, v19 offset:76
	ds_store_b16 v168, v20 offset:80
	ds_store_b16 v168, v21 offset:84
	ds_store_b16 v168, v22 offset:88
	ds_store_b16 v168, v23 offset:92
	v_cvt_f16_f32_e32 v13, v13
	v_cvt_f16_f32_e32 v14, v14
	v_cvt_f16_f32_e32 v15, v15
	ds_store_b16 v168, v8 offset:96
	ds_store_b16 v168, v9 offset:100
	ds_store_b16 v168, v10 offset:104
	ds_store_b16 v168, v11 offset:108
	ds_store_b16 v168, v12 offset:112
	ds_store_b16 v168, v13 offset:116
	ds_store_b16 v168, v14 offset:120
	ds_store_b16 v168, v15 offset:124
	;; [unrolled: 11-line block ×3, first 2 shown]
	s_waitcnt vmcnt(0) lgkmcnt(0)
	s_waitcnt_vscnt null, 0x0
	s_barrier
	buffer_gl0_inv
	s_and_saveexec_b32 s6, s0
	s_cbranch_execz .LBB9_169
; %bb.75:                               ;   in Loop: Header=BB9_13 Depth=1
	s_clause 0x1
	scratch_load_b32 v0, off, off offset:80
	scratch_load_b64 v[1:2], off, off offset:8
	s_waitcnt vmcnt(1)
	v_add_nc_u32_e32 v0, s61, v0
	s_waitcnt vmcnt(0)
	v_or_b32_e32 v1, s96, v1
	s_delay_alu instid0(VALU_DEP_1) | instskip(SKIP_2) | instid1(VALU_DEP_1)
	v_cmp_gt_i32_e32 vcc_lo, s33, v1
	v_mov_b32_e32 v1, 0x47
	v_cmp_gt_i32_e64 s4, s44, v0
	s_and_b32 s4, s4, vcc_lo
	s_delay_alu instid0(SALU_CYCLE_1)
	s_and_saveexec_b32 s5, s4
	s_cbranch_execz .LBB9_77
; %bb.76:                               ;   in Loop: Header=BB9_13 Depth=1
	scratch_load_b32 v1, off, off offset:132 ; 4-byte Folded Reload
	s_waitcnt vmcnt(0)
	v_add_nc_u32_e32 v1, 0, v1
	s_delay_alu instid0(VALU_DEP_1)
	v_add_nc_u32_e32 v3, 0xa0, v1
	scratch_load_b32 v1, off, off offset:136 ; 4-byte Folded Reload
	s_waitcnt vmcnt(0)
	ds_load_2addr_stride64_b32 v[1:2], v1 offset1:11
	ds_load_2addr_stride64_b32 v[3:4], v3 offset1:11
	scratch_load_b64 v[7:8], off, off offset:8 ; 8-byte Folded Reload
	s_waitcnt vmcnt(0)
	v_mad_u64_u32 v[5:6], null, v0, s45, v[7:8]
	s_waitcnt lgkmcnt(0)
	v_fma_mix_f32 v8, v3, v1, 0 op_sel:[0,1,0] op_sel_hi:[0,1,0]
	s_delay_alu instid0(VALU_DEP_2) | instskip(SKIP_1) | instid1(VALU_DEP_1)
	v_mad_u64_u32 v[6:7], null, v5, 40, v[236:237]
	v_fma_mix_f32 v5, v3, v1, 0 op_sel_hi:[0,1,0]
	v_fma_mix_f32 v3, v4, v2, v5 op_sel_hi:[0,1,0]
	s_delay_alu instid0(VALU_DEP_3) | instskip(SKIP_1) | instid1(VALU_DEP_2)
	v_ashrrev_i32_e32 v7, 31, v6
	v_fma_mix_f32 v4, v4, v2, v8 op_sel:[0,1,0] op_sel_hi:[0,1,0]
	v_lshlrev_b64 v[0:1], 3, v[6:7]
	s_delay_alu instid0(VALU_DEP_1) | instskip(NEXT) | instid1(VALU_DEP_1)
	v_add_co_u32 v5, s4, s47, v0
	v_add_co_ci_u32_e64 v6, s4, s67, v1, s4
	v_mov_b32_e32 v1, 0
	global_store_b64 v[5:6], v[3:4], off
.LBB9_77:                               ;   in Loop: Header=BB9_13 Depth=1
	s_or_b32 exec_lo, exec_lo, s5
	s_mov_b32 s5, -1
	s_mov_b32 s7, exec_lo
	v_cmpx_gt_i32_e32 0x47, v1
; %bb.78:                               ;   in Loop: Header=BB9_13 Depth=1
	v_cmp_eq_u32_e64 s4, 0, v1
	s_delay_alu instid0(VALU_DEP_1)
	s_or_not1_b32 s5, s4, exec_lo
; %bb.79:                               ;   in Loop: Header=BB9_13 Depth=1
	s_or_b32 exec_lo, exec_lo, s7
	s_and_saveexec_b32 s7, s5
	s_cbranch_execz .LBB9_152
; %bb.80:                               ;   in Loop: Header=BB9_13 Depth=1
	s_clause 0x1
	scratch_load_b32 v0, off, off offset:152
	scratch_load_b64 v[1:2], off, off offset:112
	s_waitcnt vmcnt(1)
	v_add_nc_u32_e32 v0, s61, v0
	s_waitcnt vmcnt(0)
	v_or_b32_e32 v1, s96, v1
	s_delay_alu instid0(VALU_DEP_1) | instskip(SKIP_2) | instid1(VALU_DEP_1)
	v_cmp_gt_i32_e64 s5, s33, v1
	v_mov_b32_e32 v1, 0x47
	v_cmp_gt_i32_e64 s4, s44, v0
	s_and_b32 s4, s4, s5
	s_delay_alu instid0(SALU_CYCLE_1)
	s_and_saveexec_b32 s5, s4
	s_cbranch_execz .LBB9_82
; %bb.81:                               ;   in Loop: Header=BB9_13 Depth=1
	scratch_load_b32 v1, off, off offset:284 ; 4-byte Folded Reload
	s_waitcnt vmcnt(0)
	v_add_nc_u32_e32 v1, 0, v1
	s_delay_alu instid0(VALU_DEP_1)
	v_add_nc_u32_e32 v3, 0xa0, v1
	scratch_load_b32 v1, off, off offset:288 ; 4-byte Folded Reload
	s_waitcnt vmcnt(0)
	ds_load_2addr_stride64_b32 v[1:2], v1 offset1:11
	ds_load_2addr_stride64_b32 v[3:4], v3 offset1:11
	scratch_load_b64 v[7:8], off, off offset:112 ; 8-byte Folded Reload
	s_waitcnt vmcnt(0)
	v_mad_u64_u32 v[5:6], null, v0, s45, v[7:8]
	s_waitcnt lgkmcnt(0)
	v_fma_mix_f32 v8, v3, v1, 0 op_sel:[0,1,0] op_sel_hi:[0,1,0]
	s_delay_alu instid0(VALU_DEP_2) | instskip(SKIP_1) | instid1(VALU_DEP_1)
	v_mad_u64_u32 v[6:7], null, v5, 40, v[236:237]
	v_fma_mix_f32 v5, v3, v1, 0 op_sel_hi:[0,1,0]
	v_fma_mix_f32 v3, v4, v2, v5 op_sel_hi:[0,1,0]
	s_delay_alu instid0(VALU_DEP_3) | instskip(SKIP_1) | instid1(VALU_DEP_2)
	v_ashrrev_i32_e32 v7, 31, v6
	v_fma_mix_f32 v4, v4, v2, v8 op_sel:[0,1,0] op_sel_hi:[0,1,0]
	v_lshlrev_b64 v[0:1], 3, v[6:7]
	s_delay_alu instid0(VALU_DEP_1) | instskip(NEXT) | instid1(VALU_DEP_1)
	v_add_co_u32 v5, s4, s47, v0
	v_add_co_ci_u32_e64 v6, s4, s67, v1, s4
	v_mov_b32_e32 v1, 0
	global_store_b64 v[5:6], v[3:4], off
.LBB9_82:                               ;   in Loop: Header=BB9_13 Depth=1
	s_or_b32 exec_lo, exec_lo, s5
	s_mov_b32 s5, -1
	s_mov_b32 s8, exec_lo
	v_cmpx_gt_i32_e32 0x47, v1
; %bb.83:                               ;   in Loop: Header=BB9_13 Depth=1
	v_cmp_eq_u32_e64 s4, 0, v1
	s_delay_alu instid0(VALU_DEP_1)
	s_or_not1_b32 s5, s4, exec_lo
; %bb.84:                               ;   in Loop: Header=BB9_13 Depth=1
	s_or_b32 exec_lo, exec_lo, s8
	s_delay_alu instid0(SALU_CYCLE_1)
	s_and_b32 exec_lo, exec_lo, s5
	s_cbranch_execz .LBB9_152
; %bb.85:                               ;   in Loop: Header=BB9_13 Depth=1
	scratch_load_b32 v0, off, off offset:292 ; 4-byte Folded Reload
	s_waitcnt vmcnt(0)
	v_dual_mov_b32 v0, 0x47 :: v_dual_add_nc_u32 v1, s61, v0
	s_delay_alu instid0(VALU_DEP_1) | instskip(NEXT) | instid1(VALU_DEP_1)
	v_cmp_gt_i32_e64 s4, s44, v1
	s_and_b32 s4, s4, vcc_lo
	s_delay_alu instid0(SALU_CYCLE_1)
	s_and_saveexec_b32 s5, s4
	s_cbranch_execz .LBB9_87
; %bb.86:                               ;   in Loop: Header=BB9_13 Depth=1
	s_clause 0x1
	scratch_load_b32 v0, off, off offset:316
	scratch_load_b32 v2, off, off offset:320
	s_waitcnt vmcnt(1)
	v_add_nc_u32_e32 v0, 0, v0
	s_delay_alu instid0(VALU_DEP_1)
	v_add_nc_u32_e32 v0, 0xa0, v0
	s_waitcnt vmcnt(0)
	ds_load_2addr_stride64_b32 v[2:3], v2 offset1:11
	ds_load_2addr_stride64_b32 v[4:5], v0 offset1:11
	scratch_load_b64 v[8:9], off, off offset:8 ; 8-byte Folded Reload
	s_waitcnt vmcnt(0)
	v_mad_u64_u32 v[6:7], null, v1, s45, v[8:9]
	s_delay_alu instid0(VALU_DEP_1) | instskip(SKIP_3) | instid1(VALU_DEP_2)
	v_mad_u64_u32 v[0:1], null, v6, 40, v[236:237]
	s_waitcnt lgkmcnt(0)
	v_fma_mix_f32 v6, v4, v2, 0 op_sel_hi:[0,1,0]
	v_fma_mix_f32 v4, v4, v2, 0 op_sel:[0,1,0] op_sel_hi:[0,1,0]
	v_fma_mix_f32 v2, v5, v3, v6 op_sel_hi:[0,1,0]
	s_delay_alu instid0(VALU_DEP_4) | instskip(NEXT) | instid1(VALU_DEP_3)
	v_ashrrev_i32_e32 v1, 31, v0
	v_fma_mix_f32 v3, v5, v3, v4 op_sel:[0,1,0] op_sel_hi:[0,1,0]
	s_delay_alu instid0(VALU_DEP_2) | instskip(NEXT) | instid1(VALU_DEP_1)
	v_lshlrev_b64 v[0:1], 3, v[0:1]
	v_add_co_u32 v4, s4, s47, v0
	s_delay_alu instid0(VALU_DEP_1)
	v_add_co_ci_u32_e64 v5, s4, s67, v1, s4
	v_mov_b32_e32 v0, 0
	global_store_b64 v[4:5], v[2:3], off
.LBB9_87:                               ;   in Loop: Header=BB9_13 Depth=1
	s_or_b32 exec_lo, exec_lo, s5
	s_mov_b32 s5, -1
	s_mov_b32 s8, exec_lo
	v_cmpx_gt_i32_e32 0x47, v0
; %bb.88:                               ;   in Loop: Header=BB9_13 Depth=1
	v_cmp_eq_u32_e64 s4, 0, v0
	s_delay_alu instid0(VALU_DEP_1)
	s_or_not1_b32 s5, s4, exec_lo
; %bb.89:                               ;   in Loop: Header=BB9_13 Depth=1
	s_or_b32 exec_lo, exec_lo, s8
	s_delay_alu instid0(SALU_CYCLE_1)
	s_and_b32 exec_lo, exec_lo, s5
	s_cbranch_execz .LBB9_152
; %bb.90:                               ;   in Loop: Header=BB9_13 Depth=1
	s_clause 0x1
	scratch_load_b32 v0, off, off offset:336
	scratch_load_b64 v[1:2], off, off offset:308
	s_waitcnt vmcnt(1)
	v_add_nc_u32_e32 v0, s61, v0
	s_waitcnt vmcnt(0)
	v_or_b32_e32 v1, s96, v1
	s_delay_alu instid0(VALU_DEP_1) | instskip(SKIP_2) | instid1(VALU_DEP_1)
	v_cmp_gt_i32_e64 s5, s33, v1
	v_mov_b32_e32 v1, 0x47
	v_cmp_gt_i32_e64 s4, s44, v0
	s_and_b32 s4, s4, s5
	s_delay_alu instid0(SALU_CYCLE_1)
	s_and_saveexec_b32 s5, s4
	s_cbranch_execz .LBB9_92
; %bb.91:                               ;   in Loop: Header=BB9_13 Depth=1
	scratch_load_b32 v1, off, off offset:348 ; 4-byte Folded Reload
	s_waitcnt vmcnt(0)
	v_add_nc_u32_e32 v1, 0, v1
	s_delay_alu instid0(VALU_DEP_1)
	v_add_nc_u32_e32 v3, 0xa0, v1
	scratch_load_b32 v1, off, off offset:352 ; 4-byte Folded Reload
	s_waitcnt vmcnt(0)
	ds_load_2addr_stride64_b32 v[1:2], v1 offset1:11
	ds_load_2addr_stride64_b32 v[3:4], v3 offset1:11
	scratch_load_b64 v[7:8], off, off offset:308 ; 8-byte Folded Reload
	s_waitcnt vmcnt(0)
	v_mad_u64_u32 v[5:6], null, v0, s45, v[7:8]
	s_waitcnt lgkmcnt(0)
	v_fma_mix_f32 v8, v3, v1, 0 op_sel:[0,1,0] op_sel_hi:[0,1,0]
	s_delay_alu instid0(VALU_DEP_2) | instskip(SKIP_1) | instid1(VALU_DEP_1)
	v_mad_u64_u32 v[6:7], null, v5, 40, v[236:237]
	v_fma_mix_f32 v5, v3, v1, 0 op_sel_hi:[0,1,0]
	v_fma_mix_f32 v3, v4, v2, v5 op_sel_hi:[0,1,0]
	s_delay_alu instid0(VALU_DEP_3) | instskip(SKIP_1) | instid1(VALU_DEP_2)
	v_ashrrev_i32_e32 v7, 31, v6
	v_fma_mix_f32 v4, v4, v2, v8 op_sel:[0,1,0] op_sel_hi:[0,1,0]
	v_lshlrev_b64 v[0:1], 3, v[6:7]
	s_delay_alu instid0(VALU_DEP_1) | instskip(NEXT) | instid1(VALU_DEP_1)
	v_add_co_u32 v5, s4, s47, v0
	v_add_co_ci_u32_e64 v6, s4, s67, v1, s4
	v_mov_b32_e32 v1, 0
	global_store_b64 v[5:6], v[3:4], off
.LBB9_92:                               ;   in Loop: Header=BB9_13 Depth=1
	s_or_b32 exec_lo, exec_lo, s5
	s_mov_b32 s5, -1
	s_mov_b32 s8, exec_lo
	v_cmpx_gt_i32_e32 0x47, v1
; %bb.93:                               ;   in Loop: Header=BB9_13 Depth=1
	v_cmp_eq_u32_e64 s4, 0, v1
	s_delay_alu instid0(VALU_DEP_1)
	s_or_not1_b32 s5, s4, exec_lo
; %bb.94:                               ;   in Loop: Header=BB9_13 Depth=1
	s_or_b32 exec_lo, exec_lo, s8
	s_delay_alu instid0(SALU_CYCLE_1)
	s_and_b32 exec_lo, exec_lo, s5
	s_cbranch_execz .LBB9_152
; %bb.95:                               ;   in Loop: Header=BB9_13 Depth=1
	scratch_load_b32 v0, off, off offset:356 ; 4-byte Folded Reload
	s_waitcnt vmcnt(0)
	v_dual_mov_b32 v0, 0x47 :: v_dual_add_nc_u32 v1, s61, v0
	s_delay_alu instid0(VALU_DEP_1) | instskip(NEXT) | instid1(VALU_DEP_1)
	v_cmp_gt_i32_e64 s4, s44, v1
	s_and_b32 s4, s4, vcc_lo
	s_delay_alu instid0(SALU_CYCLE_1)
	s_and_saveexec_b32 s5, s4
	s_cbranch_execz .LBB9_97
; %bb.96:                               ;   in Loop: Header=BB9_13 Depth=1
	s_clause 0x1
	scratch_load_b32 v0, off, off offset:400
	scratch_load_b32 v2, off, off offset:404
	s_waitcnt vmcnt(1)
	v_add_nc_u32_e32 v0, 0, v0
	s_delay_alu instid0(VALU_DEP_1)
	v_add_nc_u32_e32 v0, 0xa0, v0
	s_waitcnt vmcnt(0)
	ds_load_2addr_stride64_b32 v[2:3], v2 offset1:11
	ds_load_2addr_stride64_b32 v[4:5], v0 offset1:11
	scratch_load_b64 v[8:9], off, off offset:8 ; 8-byte Folded Reload
	s_waitcnt vmcnt(0)
	v_mad_u64_u32 v[6:7], null, v1, s45, v[8:9]
	s_delay_alu instid0(VALU_DEP_1) | instskip(SKIP_3) | instid1(VALU_DEP_2)
	v_mad_u64_u32 v[0:1], null, v6, 40, v[236:237]
	s_waitcnt lgkmcnt(0)
	v_fma_mix_f32 v6, v4, v2, 0 op_sel_hi:[0,1,0]
	v_fma_mix_f32 v4, v4, v2, 0 op_sel:[0,1,0] op_sel_hi:[0,1,0]
	v_fma_mix_f32 v2, v5, v3, v6 op_sel_hi:[0,1,0]
	s_delay_alu instid0(VALU_DEP_4) | instskip(NEXT) | instid1(VALU_DEP_3)
	v_ashrrev_i32_e32 v1, 31, v0
	v_fma_mix_f32 v3, v5, v3, v4 op_sel:[0,1,0] op_sel_hi:[0,1,0]
	s_delay_alu instid0(VALU_DEP_2) | instskip(NEXT) | instid1(VALU_DEP_1)
	v_lshlrev_b64 v[0:1], 3, v[0:1]
	v_add_co_u32 v4, s4, s47, v0
	s_delay_alu instid0(VALU_DEP_1)
	v_add_co_ci_u32_e64 v5, s4, s67, v1, s4
	v_mov_b32_e32 v0, 0
	global_store_b64 v[4:5], v[2:3], off
.LBB9_97:                               ;   in Loop: Header=BB9_13 Depth=1
	s_or_b32 exec_lo, exec_lo, s5
	s_mov_b32 s5, -1
	s_mov_b32 s8, exec_lo
	v_cmpx_gt_i32_e32 0x47, v0
; %bb.98:                               ;   in Loop: Header=BB9_13 Depth=1
	v_cmp_eq_u32_e64 s4, 0, v0
	s_delay_alu instid0(VALU_DEP_1)
	s_or_not1_b32 s5, s4, exec_lo
; %bb.99:                               ;   in Loop: Header=BB9_13 Depth=1
	s_or_b32 exec_lo, exec_lo, s8
	s_delay_alu instid0(SALU_CYCLE_1)
	s_and_b32 exec_lo, exec_lo, s5
	s_cbranch_execz .LBB9_152
; %bb.100:                              ;   in Loop: Header=BB9_13 Depth=1
	s_clause 0x1
	scratch_load_b32 v0, off, off offset:408
	scratch_load_b64 v[1:2], off, off offset:392
	s_waitcnt vmcnt(1)
	v_add_nc_u32_e32 v0, s61, v0
	s_waitcnt vmcnt(0)
	v_or_b32_e32 v1, s96, v1
	s_delay_alu instid0(VALU_DEP_1) | instskip(SKIP_2) | instid1(VALU_DEP_1)
	v_cmp_gt_i32_e64 s5, s33, v1
	v_mov_b32_e32 v1, 0x47
	v_cmp_gt_i32_e64 s4, s44, v0
	s_and_b32 s4, s4, s5
	s_delay_alu instid0(SALU_CYCLE_1)
	s_and_saveexec_b32 s5, s4
	s_cbranch_execz .LBB9_102
; %bb.101:                              ;   in Loop: Header=BB9_13 Depth=1
	scratch_load_b32 v1, off, off offset:412 ; 4-byte Folded Reload
	s_waitcnt vmcnt(0)
	v_add_nc_u32_e32 v1, 0, v1
	s_delay_alu instid0(VALU_DEP_1)
	v_add_nc_u32_e32 v3, 0xa0, v1
	scratch_load_b32 v1, off, off offset:416 ; 4-byte Folded Reload
	s_waitcnt vmcnt(0)
	ds_load_2addr_stride64_b32 v[1:2], v1 offset1:11
	ds_load_2addr_stride64_b32 v[3:4], v3 offset1:11
	scratch_load_b64 v[7:8], off, off offset:392 ; 8-byte Folded Reload
	s_waitcnt vmcnt(0)
	v_mad_u64_u32 v[5:6], null, v0, s45, v[7:8]
	s_waitcnt lgkmcnt(0)
	v_fma_mix_f32 v8, v3, v1, 0 op_sel:[0,1,0] op_sel_hi:[0,1,0]
	s_delay_alu instid0(VALU_DEP_2) | instskip(SKIP_1) | instid1(VALU_DEP_1)
	v_mad_u64_u32 v[6:7], null, v5, 40, v[236:237]
	v_fma_mix_f32 v5, v3, v1, 0 op_sel_hi:[0,1,0]
	v_fma_mix_f32 v3, v4, v2, v5 op_sel_hi:[0,1,0]
	s_delay_alu instid0(VALU_DEP_3) | instskip(SKIP_1) | instid1(VALU_DEP_2)
	v_ashrrev_i32_e32 v7, 31, v6
	v_fma_mix_f32 v4, v4, v2, v8 op_sel:[0,1,0] op_sel_hi:[0,1,0]
	v_lshlrev_b64 v[0:1], 3, v[6:7]
	s_delay_alu instid0(VALU_DEP_1) | instskip(NEXT) | instid1(VALU_DEP_1)
	v_add_co_u32 v5, s4, s47, v0
	v_add_co_ci_u32_e64 v6, s4, s67, v1, s4
	v_mov_b32_e32 v1, 0
	global_store_b64 v[5:6], v[3:4], off
.LBB9_102:                              ;   in Loop: Header=BB9_13 Depth=1
	s_or_b32 exec_lo, exec_lo, s5
	s_mov_b32 s5, -1
	s_mov_b32 s8, exec_lo
	v_cmpx_gt_i32_e32 0x47, v1
; %bb.103:                              ;   in Loop: Header=BB9_13 Depth=1
	v_cmp_eq_u32_e64 s4, 0, v1
	s_delay_alu instid0(VALU_DEP_1)
	s_or_not1_b32 s5, s4, exec_lo
; %bb.104:                              ;   in Loop: Header=BB9_13 Depth=1
	s_or_b32 exec_lo, exec_lo, s8
	s_delay_alu instid0(SALU_CYCLE_1)
	s_and_b32 exec_lo, exec_lo, s5
	s_cbranch_execz .LBB9_152
; %bb.105:                              ;   in Loop: Header=BB9_13 Depth=1
	scratch_load_b32 v0, off, off offset:420 ; 4-byte Folded Reload
	s_waitcnt vmcnt(0)
	v_dual_mov_b32 v0, 0x47 :: v_dual_add_nc_u32 v1, s61, v0
	s_delay_alu instid0(VALU_DEP_1) | instskip(NEXT) | instid1(VALU_DEP_1)
	v_cmp_gt_i32_e64 s4, s44, v1
	s_and_b32 s4, s4, vcc_lo
	s_delay_alu instid0(SALU_CYCLE_1)
	s_and_saveexec_b32 s5, s4
	s_cbranch_execz .LBB9_107
; %bb.106:                              ;   in Loop: Header=BB9_13 Depth=1
	s_clause 0x1
	scratch_load_b32 v0, off, off offset:432
	scratch_load_b32 v2, off, off offset:436
	s_waitcnt vmcnt(1)
	v_add_nc_u32_e32 v0, 0, v0
	s_delay_alu instid0(VALU_DEP_1)
	v_add_nc_u32_e32 v0, 0xa0, v0
	s_waitcnt vmcnt(0)
	ds_load_2addr_stride64_b32 v[2:3], v2 offset1:11
	ds_load_2addr_stride64_b32 v[4:5], v0 offset1:11
	scratch_load_b64 v[8:9], off, off offset:8 ; 8-byte Folded Reload
	s_waitcnt vmcnt(0)
	v_mad_u64_u32 v[6:7], null, v1, s45, v[8:9]
	s_delay_alu instid0(VALU_DEP_1) | instskip(SKIP_3) | instid1(VALU_DEP_2)
	v_mad_u64_u32 v[0:1], null, v6, 40, v[236:237]
	s_waitcnt lgkmcnt(0)
	v_fma_mix_f32 v6, v4, v2, 0 op_sel_hi:[0,1,0]
	v_fma_mix_f32 v4, v4, v2, 0 op_sel:[0,1,0] op_sel_hi:[0,1,0]
	v_fma_mix_f32 v2, v5, v3, v6 op_sel_hi:[0,1,0]
	s_delay_alu instid0(VALU_DEP_4) | instskip(NEXT) | instid1(VALU_DEP_3)
	v_ashrrev_i32_e32 v1, 31, v0
	v_fma_mix_f32 v3, v5, v3, v4 op_sel:[0,1,0] op_sel_hi:[0,1,0]
	s_delay_alu instid0(VALU_DEP_2) | instskip(NEXT) | instid1(VALU_DEP_1)
	v_lshlrev_b64 v[0:1], 3, v[0:1]
	v_add_co_u32 v4, s4, s47, v0
	s_delay_alu instid0(VALU_DEP_1)
	v_add_co_ci_u32_e64 v5, s4, s67, v1, s4
	v_mov_b32_e32 v0, 0
	global_store_b64 v[4:5], v[2:3], off
.LBB9_107:                              ;   in Loop: Header=BB9_13 Depth=1
	s_or_b32 exec_lo, exec_lo, s5
	s_mov_b32 s5, -1
	s_mov_b32 s8, exec_lo
	v_cmpx_gt_i32_e32 0x47, v0
; %bb.108:                              ;   in Loop: Header=BB9_13 Depth=1
	v_cmp_eq_u32_e64 s4, 0, v0
	s_delay_alu instid0(VALU_DEP_1)
	s_or_not1_b32 s5, s4, exec_lo
; %bb.109:                              ;   in Loop: Header=BB9_13 Depth=1
	s_or_b32 exec_lo, exec_lo, s8
	s_delay_alu instid0(SALU_CYCLE_1)
	s_and_b32 exec_lo, exec_lo, s5
	s_cbranch_execz .LBB9_152
; %bb.110:                              ;   in Loop: Header=BB9_13 Depth=1
	s_clause 0x1
	scratch_load_b32 v0, off, off offset:440
	scratch_load_b64 v[1:2], off, off offset:424
	s_waitcnt vmcnt(1)
	v_add_nc_u32_e32 v0, s61, v0
	s_waitcnt vmcnt(0)
	v_or_b32_e32 v1, s96, v1
	s_delay_alu instid0(VALU_DEP_1) | instskip(SKIP_2) | instid1(VALU_DEP_1)
	v_cmp_gt_i32_e64 s5, s33, v1
	v_mov_b32_e32 v1, 0x47
	v_cmp_gt_i32_e64 s4, s44, v0
	s_and_b32 s4, s4, s5
	s_delay_alu instid0(SALU_CYCLE_1)
	s_and_saveexec_b32 s5, s4
	s_cbranch_execz .LBB9_112
; %bb.111:                              ;   in Loop: Header=BB9_13 Depth=1
	scratch_load_b32 v1, off, off offset:444 ; 4-byte Folded Reload
	s_waitcnt vmcnt(0)
	v_add_nc_u32_e32 v1, 0, v1
	s_delay_alu instid0(VALU_DEP_1)
	v_add_nc_u32_e32 v3, 0xa0, v1
	scratch_load_b32 v1, off, off offset:448 ; 4-byte Folded Reload
	s_waitcnt vmcnt(0)
	ds_load_2addr_stride64_b32 v[1:2], v1 offset1:11
	ds_load_2addr_stride64_b32 v[3:4], v3 offset1:11
	scratch_load_b64 v[7:8], off, off offset:424 ; 8-byte Folded Reload
	s_waitcnt vmcnt(0)
	v_mad_u64_u32 v[5:6], null, v0, s45, v[7:8]
	s_waitcnt lgkmcnt(0)
	v_fma_mix_f32 v8, v3, v1, 0 op_sel:[0,1,0] op_sel_hi:[0,1,0]
	s_delay_alu instid0(VALU_DEP_2) | instskip(SKIP_1) | instid1(VALU_DEP_1)
	v_mad_u64_u32 v[6:7], null, v5, 40, v[236:237]
	v_fma_mix_f32 v5, v3, v1, 0 op_sel_hi:[0,1,0]
	v_fma_mix_f32 v3, v4, v2, v5 op_sel_hi:[0,1,0]
	s_delay_alu instid0(VALU_DEP_3) | instskip(SKIP_1) | instid1(VALU_DEP_2)
	v_ashrrev_i32_e32 v7, 31, v6
	v_fma_mix_f32 v4, v4, v2, v8 op_sel:[0,1,0] op_sel_hi:[0,1,0]
	v_lshlrev_b64 v[0:1], 3, v[6:7]
	s_delay_alu instid0(VALU_DEP_1) | instskip(NEXT) | instid1(VALU_DEP_1)
	v_add_co_u32 v5, s4, s47, v0
	v_add_co_ci_u32_e64 v6, s4, s67, v1, s4
	v_mov_b32_e32 v1, 0
	global_store_b64 v[5:6], v[3:4], off
.LBB9_112:                              ;   in Loop: Header=BB9_13 Depth=1
	s_or_b32 exec_lo, exec_lo, s5
	s_mov_b32 s5, -1
	s_mov_b32 s8, exec_lo
	v_cmpx_gt_i32_e32 0x47, v1
; %bb.113:                              ;   in Loop: Header=BB9_13 Depth=1
	v_cmp_eq_u32_e64 s4, 0, v1
	s_delay_alu instid0(VALU_DEP_1)
	s_or_not1_b32 s5, s4, exec_lo
; %bb.114:                              ;   in Loop: Header=BB9_13 Depth=1
	s_or_b32 exec_lo, exec_lo, s8
	s_delay_alu instid0(SALU_CYCLE_1)
	s_and_b32 exec_lo, exec_lo, s5
	s_cbranch_execz .LBB9_152
; %bb.115:                              ;   in Loop: Header=BB9_13 Depth=1
	scratch_load_b32 v0, off, off offset:452 ; 4-byte Folded Reload
	s_waitcnt vmcnt(0)
	v_dual_mov_b32 v0, 0x47 :: v_dual_add_nc_u32 v1, s61, v0
	s_delay_alu instid0(VALU_DEP_1) | instskip(NEXT) | instid1(VALU_DEP_1)
	v_cmp_gt_i32_e64 s4, s44, v1
	s_and_b32 s4, s4, vcc_lo
	s_delay_alu instid0(SALU_CYCLE_1)
	s_and_saveexec_b32 s5, s4
	s_cbranch_execz .LBB9_117
; %bb.116:                              ;   in Loop: Header=BB9_13 Depth=1
	s_clause 0x1
	scratch_load_b32 v0, off, off offset:464
	scratch_load_b32 v2, off, off offset:468
	s_waitcnt vmcnt(1)
	v_add_nc_u32_e32 v0, 0, v0
	s_delay_alu instid0(VALU_DEP_1)
	v_add_nc_u32_e32 v0, 0xa0, v0
	s_waitcnt vmcnt(0)
	ds_load_2addr_stride64_b32 v[2:3], v2 offset1:11
	ds_load_2addr_stride64_b32 v[4:5], v0 offset1:11
	scratch_load_b64 v[8:9], off, off offset:8 ; 8-byte Folded Reload
	s_waitcnt vmcnt(0)
	v_mad_u64_u32 v[6:7], null, v1, s45, v[8:9]
	s_delay_alu instid0(VALU_DEP_1) | instskip(SKIP_3) | instid1(VALU_DEP_2)
	v_mad_u64_u32 v[0:1], null, v6, 40, v[236:237]
	s_waitcnt lgkmcnt(0)
	v_fma_mix_f32 v6, v4, v2, 0 op_sel_hi:[0,1,0]
	v_fma_mix_f32 v4, v4, v2, 0 op_sel:[0,1,0] op_sel_hi:[0,1,0]
	v_fma_mix_f32 v2, v5, v3, v6 op_sel_hi:[0,1,0]
	s_delay_alu instid0(VALU_DEP_4) | instskip(NEXT) | instid1(VALU_DEP_3)
	v_ashrrev_i32_e32 v1, 31, v0
	v_fma_mix_f32 v3, v5, v3, v4 op_sel:[0,1,0] op_sel_hi:[0,1,0]
	s_delay_alu instid0(VALU_DEP_2) | instskip(NEXT) | instid1(VALU_DEP_1)
	v_lshlrev_b64 v[0:1], 3, v[0:1]
	v_add_co_u32 v4, s4, s47, v0
	s_delay_alu instid0(VALU_DEP_1)
	v_add_co_ci_u32_e64 v5, s4, s67, v1, s4
	v_mov_b32_e32 v0, 0
	global_store_b64 v[4:5], v[2:3], off
.LBB9_117:                              ;   in Loop: Header=BB9_13 Depth=1
	s_or_b32 exec_lo, exec_lo, s5
	s_mov_b32 s5, -1
	s_mov_b32 s8, exec_lo
	v_cmpx_gt_i32_e32 0x47, v0
; %bb.118:                              ;   in Loop: Header=BB9_13 Depth=1
	v_cmp_eq_u32_e64 s4, 0, v0
	s_delay_alu instid0(VALU_DEP_1)
	s_or_not1_b32 s5, s4, exec_lo
; %bb.119:                              ;   in Loop: Header=BB9_13 Depth=1
	s_or_b32 exec_lo, exec_lo, s8
	s_delay_alu instid0(SALU_CYCLE_1)
	s_and_b32 exec_lo, exec_lo, s5
	s_cbranch_execz .LBB9_152
; %bb.120:                              ;   in Loop: Header=BB9_13 Depth=1
	s_clause 0x1
	scratch_load_b32 v0, off, off offset:472
	scratch_load_b64 v[1:2], off, off offset:456
	s_waitcnt vmcnt(1)
	v_add_nc_u32_e32 v0, s61, v0
	s_waitcnt vmcnt(0)
	v_or_b32_e32 v1, s96, v1
	s_delay_alu instid0(VALU_DEP_1) | instskip(SKIP_2) | instid1(VALU_DEP_1)
	v_cmp_gt_i32_e64 s5, s33, v1
	v_mov_b32_e32 v1, 0x47
	v_cmp_gt_i32_e64 s4, s44, v0
	s_and_b32 s4, s4, s5
	s_delay_alu instid0(SALU_CYCLE_1)
	s_and_saveexec_b32 s5, s4
	s_cbranch_execz .LBB9_122
; %bb.121:                              ;   in Loop: Header=BB9_13 Depth=1
	scratch_load_b32 v1, off, off offset:476 ; 4-byte Folded Reload
	s_waitcnt vmcnt(0)
	v_add_nc_u32_e32 v1, 0, v1
	s_delay_alu instid0(VALU_DEP_1)
	v_add_nc_u32_e32 v3, 0xa0, v1
	scratch_load_b32 v1, off, off offset:480 ; 4-byte Folded Reload
	s_waitcnt vmcnt(0)
	ds_load_2addr_stride64_b32 v[1:2], v1 offset1:11
	ds_load_2addr_stride64_b32 v[3:4], v3 offset1:11
	scratch_load_b64 v[7:8], off, off offset:456 ; 8-byte Folded Reload
	s_waitcnt vmcnt(0)
	v_mad_u64_u32 v[5:6], null, v0, s45, v[7:8]
	s_waitcnt lgkmcnt(0)
	v_fma_mix_f32 v8, v3, v1, 0 op_sel:[0,1,0] op_sel_hi:[0,1,0]
	s_delay_alu instid0(VALU_DEP_2) | instskip(SKIP_1) | instid1(VALU_DEP_1)
	v_mad_u64_u32 v[6:7], null, v5, 40, v[236:237]
	v_fma_mix_f32 v5, v3, v1, 0 op_sel_hi:[0,1,0]
	v_fma_mix_f32 v3, v4, v2, v5 op_sel_hi:[0,1,0]
	s_delay_alu instid0(VALU_DEP_3) | instskip(SKIP_1) | instid1(VALU_DEP_2)
	v_ashrrev_i32_e32 v7, 31, v6
	v_fma_mix_f32 v4, v4, v2, v8 op_sel:[0,1,0] op_sel_hi:[0,1,0]
	v_lshlrev_b64 v[0:1], 3, v[6:7]
	s_delay_alu instid0(VALU_DEP_1) | instskip(NEXT) | instid1(VALU_DEP_1)
	v_add_co_u32 v5, s4, s47, v0
	v_add_co_ci_u32_e64 v6, s4, s67, v1, s4
	v_mov_b32_e32 v1, 0
	global_store_b64 v[5:6], v[3:4], off
.LBB9_122:                              ;   in Loop: Header=BB9_13 Depth=1
	s_or_b32 exec_lo, exec_lo, s5
	s_mov_b32 s5, -1
	s_mov_b32 s8, exec_lo
	v_cmpx_gt_i32_e32 0x47, v1
; %bb.123:                              ;   in Loop: Header=BB9_13 Depth=1
	v_cmp_eq_u32_e64 s4, 0, v1
	s_delay_alu instid0(VALU_DEP_1)
	s_or_not1_b32 s5, s4, exec_lo
; %bb.124:                              ;   in Loop: Header=BB9_13 Depth=1
	s_or_b32 exec_lo, exec_lo, s8
	s_delay_alu instid0(SALU_CYCLE_1)
	s_and_b32 exec_lo, exec_lo, s5
	s_cbranch_execz .LBB9_152
; %bb.125:                              ;   in Loop: Header=BB9_13 Depth=1
	scratch_load_b32 v0, off, off offset:484 ; 4-byte Folded Reload
	s_waitcnt vmcnt(0)
	v_dual_mov_b32 v0, 0x47 :: v_dual_add_nc_u32 v1, s61, v0
	s_delay_alu instid0(VALU_DEP_1) | instskip(NEXT) | instid1(VALU_DEP_1)
	v_cmp_gt_i32_e64 s4, s44, v1
	s_and_b32 s4, s4, vcc_lo
	s_delay_alu instid0(SALU_CYCLE_1)
	s_and_saveexec_b32 s5, s4
	s_cbranch_execz .LBB9_127
; %bb.126:                              ;   in Loop: Header=BB9_13 Depth=1
	s_clause 0x1
	scratch_load_b32 v0, off, off offset:496
	scratch_load_b32 v2, off, off offset:500
	s_waitcnt vmcnt(1)
	v_add_nc_u32_e32 v0, 0, v0
	s_delay_alu instid0(VALU_DEP_1)
	v_add_nc_u32_e32 v0, 0xa0, v0
	s_waitcnt vmcnt(0)
	ds_load_2addr_stride64_b32 v[2:3], v2 offset1:11
	ds_load_2addr_stride64_b32 v[4:5], v0 offset1:11
	scratch_load_b64 v[8:9], off, off offset:8 ; 8-byte Folded Reload
	s_waitcnt vmcnt(0)
	v_mad_u64_u32 v[6:7], null, v1, s45, v[8:9]
	s_delay_alu instid0(VALU_DEP_1) | instskip(SKIP_3) | instid1(VALU_DEP_2)
	v_mad_u64_u32 v[0:1], null, v6, 40, v[236:237]
	s_waitcnt lgkmcnt(0)
	v_fma_mix_f32 v6, v4, v2, 0 op_sel_hi:[0,1,0]
	v_fma_mix_f32 v4, v4, v2, 0 op_sel:[0,1,0] op_sel_hi:[0,1,0]
	v_fma_mix_f32 v2, v5, v3, v6 op_sel_hi:[0,1,0]
	s_delay_alu instid0(VALU_DEP_4) | instskip(NEXT) | instid1(VALU_DEP_3)
	v_ashrrev_i32_e32 v1, 31, v0
	v_fma_mix_f32 v3, v5, v3, v4 op_sel:[0,1,0] op_sel_hi:[0,1,0]
	s_delay_alu instid0(VALU_DEP_2) | instskip(NEXT) | instid1(VALU_DEP_1)
	v_lshlrev_b64 v[0:1], 3, v[0:1]
	v_add_co_u32 v4, s4, s47, v0
	s_delay_alu instid0(VALU_DEP_1)
	v_add_co_ci_u32_e64 v5, s4, s67, v1, s4
	v_mov_b32_e32 v0, 0
	global_store_b64 v[4:5], v[2:3], off
.LBB9_127:                              ;   in Loop: Header=BB9_13 Depth=1
	s_or_b32 exec_lo, exec_lo, s5
	s_mov_b32 s5, -1
	s_mov_b32 s8, exec_lo
	v_cmpx_gt_i32_e32 0x47, v0
; %bb.128:                              ;   in Loop: Header=BB9_13 Depth=1
	v_cmp_eq_u32_e64 s4, 0, v0
	s_delay_alu instid0(VALU_DEP_1)
	s_or_not1_b32 s5, s4, exec_lo
; %bb.129:                              ;   in Loop: Header=BB9_13 Depth=1
	s_or_b32 exec_lo, exec_lo, s8
	s_delay_alu instid0(SALU_CYCLE_1)
	s_and_b32 exec_lo, exec_lo, s5
	s_cbranch_execz .LBB9_152
; %bb.130:                              ;   in Loop: Header=BB9_13 Depth=1
	s_clause 0x1
	scratch_load_b32 v0, off, off offset:504
	scratch_load_b64 v[1:2], off, off offset:488
	s_waitcnt vmcnt(1)
	v_add_nc_u32_e32 v0, s61, v0
	s_waitcnt vmcnt(0)
	v_or_b32_e32 v1, s96, v1
	s_delay_alu instid0(VALU_DEP_1) | instskip(SKIP_2) | instid1(VALU_DEP_1)
	v_cmp_gt_i32_e64 s5, s33, v1
	v_mov_b32_e32 v1, 0x47
	v_cmp_gt_i32_e64 s4, s44, v0
	s_and_b32 s4, s4, s5
	s_delay_alu instid0(SALU_CYCLE_1)
	s_and_saveexec_b32 s5, s4
	s_cbranch_execz .LBB9_132
; %bb.131:                              ;   in Loop: Header=BB9_13 Depth=1
	scratch_load_b32 v1, off, off offset:508 ; 4-byte Folded Reload
	s_waitcnt vmcnt(0)
	v_add_nc_u32_e32 v1, 0, v1
	s_delay_alu instid0(VALU_DEP_1)
	v_add_nc_u32_e32 v3, 0xa0, v1
	scratch_load_b32 v1, off, off offset:512 ; 4-byte Folded Reload
	s_waitcnt vmcnt(0)
	ds_load_2addr_stride64_b32 v[1:2], v1 offset1:11
	ds_load_2addr_stride64_b32 v[3:4], v3 offset1:11
	scratch_load_b64 v[7:8], off, off offset:488 ; 8-byte Folded Reload
	s_waitcnt vmcnt(0)
	v_mad_u64_u32 v[5:6], null, v0, s45, v[7:8]
	s_waitcnt lgkmcnt(0)
	v_fma_mix_f32 v8, v3, v1, 0 op_sel:[0,1,0] op_sel_hi:[0,1,0]
	s_delay_alu instid0(VALU_DEP_2) | instskip(SKIP_1) | instid1(VALU_DEP_1)
	v_mad_u64_u32 v[6:7], null, v5, 40, v[236:237]
	v_fma_mix_f32 v5, v3, v1, 0 op_sel_hi:[0,1,0]
	v_fma_mix_f32 v3, v4, v2, v5 op_sel_hi:[0,1,0]
	s_delay_alu instid0(VALU_DEP_3) | instskip(SKIP_1) | instid1(VALU_DEP_2)
	v_ashrrev_i32_e32 v7, 31, v6
	v_fma_mix_f32 v4, v4, v2, v8 op_sel:[0,1,0] op_sel_hi:[0,1,0]
	v_lshlrev_b64 v[0:1], 3, v[6:7]
	s_delay_alu instid0(VALU_DEP_1) | instskip(NEXT) | instid1(VALU_DEP_1)
	v_add_co_u32 v5, s4, s47, v0
	v_add_co_ci_u32_e64 v6, s4, s67, v1, s4
	v_mov_b32_e32 v1, 0
	global_store_b64 v[5:6], v[3:4], off
.LBB9_132:                              ;   in Loop: Header=BB9_13 Depth=1
	s_or_b32 exec_lo, exec_lo, s5
	s_mov_b32 s5, -1
	s_mov_b32 s8, exec_lo
	v_cmpx_gt_i32_e32 0x47, v1
; %bb.133:                              ;   in Loop: Header=BB9_13 Depth=1
	v_cmp_eq_u32_e64 s4, 0, v1
	s_delay_alu instid0(VALU_DEP_1)
	s_or_not1_b32 s5, s4, exec_lo
; %bb.134:                              ;   in Loop: Header=BB9_13 Depth=1
	s_or_b32 exec_lo, exec_lo, s8
	s_delay_alu instid0(SALU_CYCLE_1)
	s_and_b32 exec_lo, exec_lo, s5
	s_cbranch_execz .LBB9_152
; %bb.135:                              ;   in Loop: Header=BB9_13 Depth=1
	scratch_load_b32 v0, off, off offset:516 ; 4-byte Folded Reload
	s_waitcnt vmcnt(0)
	v_dual_mov_b32 v0, 0x47 :: v_dual_add_nc_u32 v1, s61, v0
	s_delay_alu instid0(VALU_DEP_1) | instskip(NEXT) | instid1(VALU_DEP_1)
	v_cmp_gt_i32_e64 s4, s44, v1
	s_and_b32 s4, s4, vcc_lo
	s_delay_alu instid0(SALU_CYCLE_1)
	s_and_saveexec_b32 s5, s4
	s_cbranch_execz .LBB9_137
; %bb.136:                              ;   in Loop: Header=BB9_13 Depth=1
	s_clause 0x1
	scratch_load_b32 v0, off, off offset:528
	scratch_load_b32 v2, off, off offset:532
	s_waitcnt vmcnt(1)
	v_add_nc_u32_e32 v0, 0, v0
	s_delay_alu instid0(VALU_DEP_1)
	v_add_nc_u32_e32 v0, 0xa0, v0
	s_waitcnt vmcnt(0)
	ds_load_2addr_stride64_b32 v[2:3], v2 offset1:11
	ds_load_2addr_stride64_b32 v[4:5], v0 offset1:11
	scratch_load_b64 v[8:9], off, off offset:8 ; 8-byte Folded Reload
	s_waitcnt vmcnt(0)
	v_mad_u64_u32 v[6:7], null, v1, s45, v[8:9]
	s_delay_alu instid0(VALU_DEP_1) | instskip(SKIP_3) | instid1(VALU_DEP_2)
	v_mad_u64_u32 v[0:1], null, v6, 40, v[236:237]
	s_waitcnt lgkmcnt(0)
	v_fma_mix_f32 v6, v4, v2, 0 op_sel_hi:[0,1,0]
	v_fma_mix_f32 v4, v4, v2, 0 op_sel:[0,1,0] op_sel_hi:[0,1,0]
	v_fma_mix_f32 v2, v5, v3, v6 op_sel_hi:[0,1,0]
	s_delay_alu instid0(VALU_DEP_4) | instskip(NEXT) | instid1(VALU_DEP_3)
	v_ashrrev_i32_e32 v1, 31, v0
	v_fma_mix_f32 v3, v5, v3, v4 op_sel:[0,1,0] op_sel_hi:[0,1,0]
	s_delay_alu instid0(VALU_DEP_2) | instskip(NEXT) | instid1(VALU_DEP_1)
	v_lshlrev_b64 v[0:1], 3, v[0:1]
	v_add_co_u32 v4, s4, s47, v0
	s_delay_alu instid0(VALU_DEP_1)
	v_add_co_ci_u32_e64 v5, s4, s67, v1, s4
	v_mov_b32_e32 v0, 0
	global_store_b64 v[4:5], v[2:3], off
.LBB9_137:                              ;   in Loop: Header=BB9_13 Depth=1
	s_or_b32 exec_lo, exec_lo, s5
	s_mov_b32 s5, -1
	s_mov_b32 s8, exec_lo
	v_cmpx_gt_i32_e32 0x47, v0
; %bb.138:                              ;   in Loop: Header=BB9_13 Depth=1
	v_cmp_eq_u32_e64 s4, 0, v0
	s_delay_alu instid0(VALU_DEP_1)
	s_or_not1_b32 s5, s4, exec_lo
; %bb.139:                              ;   in Loop: Header=BB9_13 Depth=1
	s_or_b32 exec_lo, exec_lo, s8
	s_delay_alu instid0(SALU_CYCLE_1)
	s_and_b32 exec_lo, exec_lo, s5
	s_cbranch_execz .LBB9_152
; %bb.140:                              ;   in Loop: Header=BB9_13 Depth=1
	s_clause 0x1
	scratch_load_b32 v0, off, off offset:536
	scratch_load_b64 v[1:2], off, off offset:520
	s_waitcnt vmcnt(1)
	v_add_nc_u32_e32 v0, s61, v0
	s_waitcnt vmcnt(0)
	v_or_b32_e32 v1, s96, v1
	s_delay_alu instid0(VALU_DEP_1) | instskip(SKIP_2) | instid1(VALU_DEP_1)
	v_cmp_gt_i32_e64 s5, s33, v1
	v_mov_b32_e32 v1, 0x47
	v_cmp_gt_i32_e64 s4, s44, v0
	s_and_b32 s4, s4, s5
	s_delay_alu instid0(SALU_CYCLE_1)
	s_and_saveexec_b32 s5, s4
	s_cbranch_execz .LBB9_142
; %bb.141:                              ;   in Loop: Header=BB9_13 Depth=1
	scratch_load_b32 v1, off, off offset:540 ; 4-byte Folded Reload
	s_waitcnt vmcnt(0)
	v_add_nc_u32_e32 v1, 0, v1
	s_delay_alu instid0(VALU_DEP_1)
	v_add_nc_u32_e32 v3, 0xa0, v1
	scratch_load_b32 v1, off, off offset:544 ; 4-byte Folded Reload
	s_waitcnt vmcnt(0)
	ds_load_2addr_stride64_b32 v[1:2], v1 offset1:11
	ds_load_2addr_stride64_b32 v[3:4], v3 offset1:11
	scratch_load_b64 v[7:8], off, off offset:520 ; 8-byte Folded Reload
	s_waitcnt vmcnt(0)
	v_mad_u64_u32 v[5:6], null, v0, s45, v[7:8]
	s_waitcnt lgkmcnt(0)
	v_fma_mix_f32 v8, v3, v1, 0 op_sel:[0,1,0] op_sel_hi:[0,1,0]
	s_delay_alu instid0(VALU_DEP_2) | instskip(SKIP_1) | instid1(VALU_DEP_1)
	v_mad_u64_u32 v[6:7], null, v5, 40, v[236:237]
	v_fma_mix_f32 v5, v3, v1, 0 op_sel_hi:[0,1,0]
	v_fma_mix_f32 v3, v4, v2, v5 op_sel_hi:[0,1,0]
	s_delay_alu instid0(VALU_DEP_3) | instskip(SKIP_1) | instid1(VALU_DEP_2)
	v_ashrrev_i32_e32 v7, 31, v6
	v_fma_mix_f32 v4, v4, v2, v8 op_sel:[0,1,0] op_sel_hi:[0,1,0]
	v_lshlrev_b64 v[0:1], 3, v[6:7]
	s_delay_alu instid0(VALU_DEP_1) | instskip(NEXT) | instid1(VALU_DEP_1)
	v_add_co_u32 v5, s4, s47, v0
	v_add_co_ci_u32_e64 v6, s4, s67, v1, s4
	v_mov_b32_e32 v1, 0
	global_store_b64 v[5:6], v[3:4], off
.LBB9_142:                              ;   in Loop: Header=BB9_13 Depth=1
	s_or_b32 exec_lo, exec_lo, s5
	s_mov_b32 s5, -1
	s_mov_b32 s8, exec_lo
	v_cmpx_gt_i32_e32 0x47, v1
; %bb.143:                              ;   in Loop: Header=BB9_13 Depth=1
	v_cmp_eq_u32_e64 s4, 0, v1
	s_delay_alu instid0(VALU_DEP_1)
	s_or_not1_b32 s5, s4, exec_lo
; %bb.144:                              ;   in Loop: Header=BB9_13 Depth=1
	s_or_b32 exec_lo, exec_lo, s8
	s_delay_alu instid0(SALU_CYCLE_1)
	s_and_b32 exec_lo, exec_lo, s5
	s_cbranch_execz .LBB9_152
; %bb.145:                              ;   in Loop: Header=BB9_13 Depth=1
	scratch_load_b32 v0, off, off offset:548 ; 4-byte Folded Reload
	s_waitcnt vmcnt(0)
	v_dual_mov_b32 v0, 0x47 :: v_dual_add_nc_u32 v1, s61, v0
	s_delay_alu instid0(VALU_DEP_1) | instskip(NEXT) | instid1(VALU_DEP_1)
	v_cmp_gt_i32_e64 s4, s44, v1
	s_and_b32 s5, s4, vcc_lo
	s_delay_alu instid0(SALU_CYCLE_1)
	s_and_saveexec_b32 s4, s5
	s_cbranch_execz .LBB9_147
; %bb.146:                              ;   in Loop: Header=BB9_13 Depth=1
	s_clause 0x1
	scratch_load_b32 v0, off, off offset:560
	scratch_load_b32 v2, off, off offset:564
	s_waitcnt vmcnt(1)
	v_add_nc_u32_e32 v0, 0, v0
	s_delay_alu instid0(VALU_DEP_1)
	v_add_nc_u32_e32 v0, 0xa0, v0
	s_waitcnt vmcnt(0)
	ds_load_2addr_stride64_b32 v[2:3], v2 offset1:11
	ds_load_2addr_stride64_b32 v[4:5], v0 offset1:11
	scratch_load_b64 v[8:9], off, off offset:8 ; 8-byte Folded Reload
	s_waitcnt vmcnt(0)
	v_mad_u64_u32 v[6:7], null, v1, s45, v[8:9]
	s_delay_alu instid0(VALU_DEP_1) | instskip(SKIP_3) | instid1(VALU_DEP_2)
	v_mad_u64_u32 v[0:1], null, v6, 40, v[236:237]
	s_waitcnt lgkmcnt(0)
	v_fma_mix_f32 v6, v4, v2, 0 op_sel_hi:[0,1,0]
	v_fma_mix_f32 v4, v4, v2, 0 op_sel:[0,1,0] op_sel_hi:[0,1,0]
	v_fma_mix_f32 v2, v5, v3, v6 op_sel_hi:[0,1,0]
	s_delay_alu instid0(VALU_DEP_4) | instskip(NEXT) | instid1(VALU_DEP_3)
	v_ashrrev_i32_e32 v1, 31, v0
	v_fma_mix_f32 v3, v5, v3, v4 op_sel:[0,1,0] op_sel_hi:[0,1,0]
	s_delay_alu instid0(VALU_DEP_2) | instskip(NEXT) | instid1(VALU_DEP_1)
	v_lshlrev_b64 v[0:1], 3, v[0:1]
	v_add_co_u32 v4, vcc_lo, s47, v0
	s_delay_alu instid0(VALU_DEP_2)
	v_add_co_ci_u32_e32 v5, vcc_lo, s67, v1, vcc_lo
	v_mov_b32_e32 v0, 0
	global_store_b64 v[4:5], v[2:3], off
.LBB9_147:                              ;   in Loop: Header=BB9_13 Depth=1
	s_or_b32 exec_lo, exec_lo, s4
	s_mov_b32 s4, -1
	s_mov_b32 s5, exec_lo
	v_cmpx_gt_i32_e32 0x47, v0
; %bb.148:                              ;   in Loop: Header=BB9_13 Depth=1
	v_cmp_eq_u32_e32 vcc_lo, 0, v0
	s_or_not1_b32 s4, vcc_lo, exec_lo
; %bb.149:                              ;   in Loop: Header=BB9_13 Depth=1
	s_or_b32 exec_lo, exec_lo, s5
	s_delay_alu instid0(SALU_CYCLE_1)
	s_and_b32 exec_lo, exec_lo, s4
	s_cbranch_execz .LBB9_152
; %bb.150:                              ;   in Loop: Header=BB9_13 Depth=1
	s_clause 0x1
	scratch_load_b32 v0, off, off offset:568
	scratch_load_b64 v[1:2], off, off offset:552
	s_waitcnt vmcnt(1)
	v_add_nc_u32_e32 v0, s61, v0
	s_waitcnt vmcnt(0)
	v_or_b32_e32 v1, s96, v1
	s_delay_alu instid0(VALU_DEP_2) | instskip(NEXT) | instid1(VALU_DEP_2)
	v_cmp_gt_i32_e32 vcc_lo, s44, v0
	v_cmp_gt_i32_e64 s4, s33, v1
	s_delay_alu instid0(VALU_DEP_1) | instskip(NEXT) | instid1(SALU_CYCLE_1)
	s_and_b32 s4, vcc_lo, s4
	s_and_b32 exec_lo, exec_lo, s4
	s_cbranch_execz .LBB9_152
; %bb.151:                              ;   in Loop: Header=BB9_13 Depth=1
	scratch_load_b32 v1, off, off offset:572 ; 4-byte Folded Reload
	s_waitcnt vmcnt(0)
	v_add_nc_u32_e32 v1, 0, v1
	s_delay_alu instid0(VALU_DEP_1)
	v_add_nc_u32_e32 v3, 0xa0, v1
	scratch_load_b32 v1, off, off offset:576 ; 4-byte Folded Reload
	s_waitcnt vmcnt(0)
	ds_load_2addr_stride64_b32 v[1:2], v1 offset1:11
	ds_load_2addr_stride64_b32 v[3:4], v3 offset1:11
	scratch_load_b64 v[7:8], off, off offset:552 ; 8-byte Folded Reload
	s_waitcnt vmcnt(0)
	v_mad_u64_u32 v[5:6], null, v0, s45, v[7:8]
	s_waitcnt lgkmcnt(0)
	v_fma_mix_f32 v8, v3, v1, 0 op_sel:[0,1,0] op_sel_hi:[0,1,0]
	s_delay_alu instid0(VALU_DEP_2) | instskip(SKIP_1) | instid1(VALU_DEP_1)
	v_mad_u64_u32 v[6:7], null, v5, 40, v[236:237]
	v_fma_mix_f32 v5, v3, v1, 0 op_sel_hi:[0,1,0]
	v_fma_mix_f32 v3, v4, v2, v5 op_sel_hi:[0,1,0]
	s_delay_alu instid0(VALU_DEP_3) | instskip(SKIP_1) | instid1(VALU_DEP_2)
	v_ashrrev_i32_e32 v7, 31, v6
	v_fma_mix_f32 v4, v4, v2, v8 op_sel:[0,1,0] op_sel_hi:[0,1,0]
	v_lshlrev_b64 v[0:1], 3, v[6:7]
	s_delay_alu instid0(VALU_DEP_1) | instskip(NEXT) | instid1(VALU_DEP_2)
	v_add_co_u32 v0, vcc_lo, s47, v0
	v_add_co_ci_u32_e32 v1, vcc_lo, s67, v1, vcc_lo
	global_store_b64 v[0:1], v[3:4], off
.LBB9_152:                              ;   in Loop: Header=BB9_13 Depth=1
	s_or_b32 exec_lo, exec_lo, s7
	scratch_load_b32 v0, off, off offset:24 ; 4-byte Folded Reload
	s_waitcnt vmcnt(0)
	v_dual_mov_b32 v0, 0x47 :: v_dual_add_nc_u32 v1, s61, v0
	s_delay_alu instid0(VALU_DEP_1) | instskip(SKIP_1) | instid1(SALU_CYCLE_1)
	v_cmp_gt_i32_e32 vcc_lo, s44, v1
	s_and_b32 s5, vcc_lo, s3
	s_and_saveexec_b32 s4, s5
	s_cbranch_execz .LBB9_154
; %bb.153:                              ;   in Loop: Header=BB9_13 Depth=1
	s_clause 0x1
	scratch_load_b32 v0, off, off offset:140
	scratch_load_b32 v2, off, off offset:144
	s_waitcnt vmcnt(1)
	v_add_nc_u32_e32 v0, 0, v0
	s_waitcnt vmcnt(0)
	v_add_nc_u32_e32 v4, 0x80, v2
	v_mad_u64_u32 v[2:3], null, v1, s45, v[115:116]
	s_delay_alu instid0(VALU_DEP_3) | instskip(SKIP_3) | instid1(VALU_DEP_1)
	v_add_nc_u32_e32 v5, 0xa0, v0
	ds_load_2addr_stride64_b32 v[0:1], v4 offset1:11
	ds_load_2addr_stride64_b32 v[3:4], v5 offset1:11
	v_mul_lo_u32 v2, v2, 40
	v_ashrrev_i32_e32 v6, 31, v2
	v_or_b32_e32 v5, v2, v193
	s_delay_alu instid0(VALU_DEP_2) | instskip(SKIP_3) | instid1(VALU_DEP_3)
	v_or_b32_e32 v6, 0, v6
	s_waitcnt lgkmcnt(0)
	v_fma_mix_f32 v7, v3, v0, 0 op_sel_hi:[0,1,0]
	v_fma_mix_f32 v0, v3, v0, 0 op_sel:[0,1,0] op_sel_hi:[0,1,0]
	v_lshlrev_b64 v[2:3], 3, v[5:6]
	s_delay_alu instid0(VALU_DEP_3) | instskip(NEXT) | instid1(VALU_DEP_3)
	v_fma_mix_f32 v5, v4, v1, v7 op_sel_hi:[0,1,0]
	v_fma_mix_f32 v6, v4, v1, v0 op_sel:[0,1,0] op_sel_hi:[0,1,0]
	v_mov_b32_e32 v0, 0
	s_delay_alu instid0(VALU_DEP_4)
	v_add_co_u32 v1, vcc_lo, s47, v2
	v_add_co_ci_u32_e32 v2, vcc_lo, s67, v3, vcc_lo
	global_store_b64 v[1:2], v[5:6], off offset:256
.LBB9_154:                              ;   in Loop: Header=BB9_13 Depth=1
	s_or_b32 exec_lo, exec_lo, s4
	s_mov_b32 s4, -1
	s_mov_b32 s5, exec_lo
	v_cmpx_gt_i32_e32 0x47, v0
; %bb.155:                              ;   in Loop: Header=BB9_13 Depth=1
	v_cmp_eq_u32_e32 vcc_lo, 0, v0
	s_or_not1_b32 s4, vcc_lo, exec_lo
; %bb.156:                              ;   in Loop: Header=BB9_13 Depth=1
	s_or_b32 exec_lo, exec_lo, s5
	s_delay_alu instid0(SALU_CYCLE_1)
	s_and_b32 exec_lo, exec_lo, s4
	s_cbranch_execz .LBB9_169
; %bb.157:                              ;   in Loop: Header=BB9_13 Depth=1
	scratch_load_b32 v0, off, off offset:148 ; 4-byte Folded Reload
	s_waitcnt vmcnt(0)
	v_dual_mov_b32 v0, 0x47 :: v_dual_add_nc_u32 v1, s61, v0
	s_delay_alu instid0(VALU_DEP_1) | instskip(SKIP_1) | instid1(SALU_CYCLE_1)
	v_cmp_gt_i32_e32 vcc_lo, s44, v1
	s_and_b32 s5, vcc_lo, s3
	s_and_saveexec_b32 s4, s5
	s_cbranch_execz .LBB9_159
; %bb.158:                              ;   in Loop: Header=BB9_13 Depth=1
	s_clause 0x1
	scratch_load_b32 v0, off, off offset:296
	scratch_load_b32 v2, off, off offset:300
	s_waitcnt vmcnt(1)
	v_add_nc_u32_e32 v0, 0, v0
	s_waitcnt vmcnt(0)
	v_add_nc_u32_e32 v4, 0x80, v2
	v_mad_u64_u32 v[2:3], null, v1, s45, v[115:116]
	s_delay_alu instid0(VALU_DEP_3) | instskip(SKIP_3) | instid1(VALU_DEP_1)
	v_add_nc_u32_e32 v5, 0xa0, v0
	ds_load_2addr_stride64_b32 v[0:1], v4 offset1:11
	ds_load_2addr_stride64_b32 v[3:4], v5 offset1:11
	v_mul_lo_u32 v2, v2, 40
	v_ashrrev_i32_e32 v6, 31, v2
	v_or_b32_e32 v5, v2, v193
	s_delay_alu instid0(VALU_DEP_2) | instskip(SKIP_3) | instid1(VALU_DEP_3)
	v_or_b32_e32 v6, 0, v6
	s_waitcnt lgkmcnt(0)
	v_fma_mix_f32 v7, v3, v0, 0 op_sel_hi:[0,1,0]
	v_fma_mix_f32 v0, v3, v0, 0 op_sel:[0,1,0] op_sel_hi:[0,1,0]
	v_lshlrev_b64 v[2:3], 3, v[5:6]
	s_delay_alu instid0(VALU_DEP_3) | instskip(NEXT) | instid1(VALU_DEP_3)
	v_fma_mix_f32 v5, v4, v1, v7 op_sel_hi:[0,1,0]
	v_fma_mix_f32 v6, v4, v1, v0 op_sel:[0,1,0] op_sel_hi:[0,1,0]
	v_mov_b32_e32 v0, 0
	s_delay_alu instid0(VALU_DEP_4)
	v_add_co_u32 v1, vcc_lo, s47, v2
	v_add_co_ci_u32_e32 v2, vcc_lo, s67, v3, vcc_lo
	global_store_b64 v[1:2], v[5:6], off offset:256
.LBB9_159:                              ;   in Loop: Header=BB9_13 Depth=1
	s_or_b32 exec_lo, exec_lo, s4
	s_mov_b32 s4, -1
	s_mov_b32 s5, exec_lo
	v_cmpx_gt_i32_e32 0x47, v0
; %bb.160:                              ;   in Loop: Header=BB9_13 Depth=1
	v_cmp_eq_u32_e32 vcc_lo, 0, v0
	s_or_not1_b32 s4, vcc_lo, exec_lo
; %bb.161:                              ;   in Loop: Header=BB9_13 Depth=1
	s_or_b32 exec_lo, exec_lo, s5
	s_delay_alu instid0(SALU_CYCLE_1)
	s_and_b32 exec_lo, exec_lo, s4
	s_cbranch_execz .LBB9_169
; %bb.162:                              ;   in Loop: Header=BB9_13 Depth=1
	;; [unrolled: 52-line block ×3, first 2 shown]
	scratch_load_b32 v0, off, off offset:332 ; 4-byte Folded Reload
	s_waitcnt vmcnt(0)
	v_add_nc_u32_e32 v0, s61, v0
	s_delay_alu instid0(VALU_DEP_1) | instskip(SKIP_1) | instid1(SALU_CYCLE_1)
	v_cmp_gt_i32_e32 vcc_lo, s44, v0
	s_and_b32 s3, vcc_lo, s3
	s_and_b32 exec_lo, exec_lo, s3
	s_cbranch_execz .LBB9_169
; %bb.168:                              ;   in Loop: Header=BB9_13 Depth=1
	s_clause 0x1
	scratch_load_b32 v1, off, off offset:360
	scratch_load_b32 v2, off, off offset:364
	s_waitcnt vmcnt(1)
	v_add_nc_u32_e32 v1, 0, v1
	s_waitcnt vmcnt(0)
	v_add_nc_u32_e32 v3, 0x80, v2
	s_delay_alu instid0(VALU_DEP_2) | instskip(SKIP_4) | instid1(VALU_DEP_1)
	v_add_nc_u32_e32 v4, 0xa0, v1
	v_mad_u64_u32 v[1:2], null, v0, s45, v[115:116]
	ds_load_2addr_stride64_b32 v[2:3], v3 offset1:11
	ds_load_2addr_stride64_b32 v[4:5], v4 offset1:11
	v_mul_lo_u32 v0, v1, 40
	v_ashrrev_i32_e32 v1, 31, v0
	v_or_b32_e32 v0, v0, v193
	s_delay_alu instid0(VALU_DEP_2) | instskip(SKIP_3) | instid1(VALU_DEP_3)
	v_or_b32_e32 v1, 0, v1
	s_waitcnt lgkmcnt(0)
	v_fma_mix_f32 v6, v4, v2, 0 op_sel_hi:[0,1,0]
	v_fma_mix_f32 v4, v4, v2, 0 op_sel:[0,1,0] op_sel_hi:[0,1,0]
	v_lshlrev_b64 v[0:1], 3, v[0:1]
	s_delay_alu instid0(VALU_DEP_3) | instskip(NEXT) | instid1(VALU_DEP_3)
	v_fma_mix_f32 v2, v5, v3, v6 op_sel_hi:[0,1,0]
	v_fma_mix_f32 v3, v5, v3, v4 op_sel:[0,1,0] op_sel_hi:[0,1,0]
	s_delay_alu instid0(VALU_DEP_3) | instskip(NEXT) | instid1(VALU_DEP_4)
	v_add_co_u32 v0, vcc_lo, s47, v0
	v_add_co_ci_u32_e32 v1, vcc_lo, s67, v1, vcc_lo
	global_store_b64 v[0:1], v[2:3], off offset:256
.LBB9_169:                              ;   in Loop: Header=BB9_13 Depth=1
	s_or_b32 exec_lo, exec_lo, s6
	s_waitcnt_vscnt null, 0x0
	s_barrier
	s_branch .LBB9_12
.LBB9_170:                              ;   in Loop: Header=BB9_13 Depth=1
	s_lshl_b32 s74, s76, 3
	v_cmp_gt_i32_e32 vcc_lo, s33, v134
	v_add_nc_u32_e32 v0, s74, v188
	s_xor_b32 s4, vcc_lo, -1
	s_delay_alu instid0(VALU_DEP_1) | instskip(NEXT) | instid1(VALU_DEP_1)
	v_cmp_le_i32_e64 s3, s44, v0
	s_or_b32 s3, s3, s4
	s_delay_alu instid0(SALU_CYCLE_1) | instskip(NEXT) | instid1(SALU_CYCLE_1)
	s_and_saveexec_b32 s5, s3
	s_xor_b32 s3, exec_lo, s5
	s_cbranch_execz .LBB9_172
; %bb.171:                              ;   in Loop: Header=BB9_13 Depth=1
	ds_store_b32 v191, v118
                                        ; implicit-def: $vgpr0
.LBB9_172:                              ;   in Loop: Header=BB9_13 Depth=1
	s_and_not1_saveexec_b32 s3, s3
	s_cbranch_execz .LBB9_174
; %bb.173:                              ;   in Loop: Header=BB9_13 Depth=1
	v_mad_u64_u32 v[1:2], null, v0, s59, v[183:184]
	s_delay_alu instid0(VALU_DEP_1) | instskip(NEXT) | instid1(VALU_DEP_1)
	v_ashrrev_i32_e32 v2, 31, v1
	v_lshlrev_b64 v[0:1], 3, v[1:2]
	s_delay_alu instid0(VALU_DEP_1) | instskip(NEXT) | instid1(VALU_DEP_2)
	v_add_co_u32 v0, vcc_lo, s78, v0
	v_add_co_ci_u32_e32 v1, vcc_lo, s79, v1, vcc_lo
	global_load_b64 v[0:1], v[0:1], off
	s_waitcnt vmcnt(0)
	v_cvt_f16_f32_e32 v0, v0
	v_cvt_f16_f32_e32 v1, v1
	s_delay_alu instid0(VALU_DEP_1) | instskip(NEXT) | instid1(VALU_DEP_1)
	v_pack_b32_f16 v0, v0, v1
	v_pk_mul_f16 v0, v147, v0
	ds_store_b32 v191, v0
.LBB9_174:                              ;   in Loop: Header=BB9_13 Depth=1
	s_or_b32 exec_lo, exec_lo, s3
	v_add_nc_u32_e32 v0, s74, v119
	s_delay_alu instid0(VALU_DEP_1) | instskip(SKIP_1) | instid1(SALU_CYCLE_1)
	v_cmp_le_i32_e32 vcc_lo, s44, v0
	s_or_b32 s3, vcc_lo, s4
	s_and_saveexec_b32 s5, s3
	s_delay_alu instid0(SALU_CYCLE_1)
	s_xor_b32 s3, exec_lo, s5
	s_cbranch_execz .LBB9_176
; %bb.175:                              ;   in Loop: Header=BB9_13 Depth=1
	ds_store_b32 v191, v118 offset:704
                                        ; implicit-def: $vgpr0
.LBB9_176:                              ;   in Loop: Header=BB9_13 Depth=1
	s_and_not1_saveexec_b32 s3, s3
	s_cbranch_execz .LBB9_178
; %bb.177:                              ;   in Loop: Header=BB9_13 Depth=1
	v_mad_u64_u32 v[1:2], null, v0, s59, v[183:184]
	s_delay_alu instid0(VALU_DEP_1) | instskip(NEXT) | instid1(VALU_DEP_1)
	v_ashrrev_i32_e32 v2, 31, v1
	v_lshlrev_b64 v[0:1], 3, v[1:2]
	s_delay_alu instid0(VALU_DEP_1) | instskip(NEXT) | instid1(VALU_DEP_2)
	v_add_co_u32 v0, vcc_lo, s78, v0
	v_add_co_ci_u32_e32 v1, vcc_lo, s79, v1, vcc_lo
	global_load_b64 v[0:1], v[0:1], off
	s_waitcnt vmcnt(0)
	v_cvt_f16_f32_e32 v0, v0
	v_cvt_f16_f32_e32 v1, v1
	s_delay_alu instid0(VALU_DEP_1) | instskip(NEXT) | instid1(VALU_DEP_1)
	v_pack_b32_f16 v0, v0, v1
	v_pk_mul_f16 v0, v147, v0
	ds_store_b32 v191, v0 offset:704
.LBB9_178:                              ;   in Loop: Header=BB9_13 Depth=1
	s_or_b32 exec_lo, exec_lo, s3
	v_add_nc_u32_e32 v0, s74, v140
	s_delay_alu instid0(VALU_DEP_1) | instskip(SKIP_1) | instid1(SALU_CYCLE_1)
	v_cmp_le_i32_e32 vcc_lo, s44, v0
	s_or_b32 s3, vcc_lo, s4
	s_and_saveexec_b32 s5, s3
	s_delay_alu instid0(SALU_CYCLE_1)
	s_xor_b32 s3, exec_lo, s5
	s_cbranch_execz .LBB9_180
; %bb.179:                              ;   in Loop: Header=BB9_13 Depth=1
	ds_store_b32 v191, v118 offset:1408
                                        ; implicit-def: $vgpr0
.LBB9_180:                              ;   in Loop: Header=BB9_13 Depth=1
	s_and_not1_saveexec_b32 s3, s3
	s_cbranch_execz .LBB9_182
; %bb.181:                              ;   in Loop: Header=BB9_13 Depth=1
	v_mad_u64_u32 v[1:2], null, v0, s59, v[183:184]
	s_delay_alu instid0(VALU_DEP_1) | instskip(NEXT) | instid1(VALU_DEP_1)
	v_ashrrev_i32_e32 v2, 31, v1
	v_lshlrev_b64 v[0:1], 3, v[1:2]
	s_delay_alu instid0(VALU_DEP_1) | instskip(NEXT) | instid1(VALU_DEP_2)
	v_add_co_u32 v0, vcc_lo, s78, v0
	v_add_co_ci_u32_e32 v1, vcc_lo, s79, v1, vcc_lo
	global_load_b64 v[0:1], v[0:1], off
	s_waitcnt vmcnt(0)
	v_cvt_f16_f32_e32 v0, v0
	v_cvt_f16_f32_e32 v1, v1
	s_delay_alu instid0(VALU_DEP_1) | instskip(NEXT) | instid1(VALU_DEP_1)
	v_pack_b32_f16 v0, v0, v1
	v_pk_mul_f16 v0, v147, v0
	ds_store_b32 v191, v0 offset:1408
.LBB9_182:                              ;   in Loop: Header=BB9_13 Depth=1
	;; [unrolled: 32-line block ×7, first 2 shown]
	s_or_b32 exec_lo, exec_lo, s3
	v_or_b32_e32 v1, s96, v115
	v_add_nc_u32_e32 v0, s74, v192
	s_delay_alu instid0(VALU_DEP_2) | instskip(NEXT) | instid1(VALU_DEP_2)
	v_cmp_gt_i32_e64 s3, s33, v1
	v_cmp_le_i32_e32 vcc_lo, s44, v0
	s_delay_alu instid0(VALU_DEP_2) | instskip(NEXT) | instid1(SALU_CYCLE_1)
	s_xor_b32 s4, s3, -1
	s_or_b32 s5, vcc_lo, s4
	s_delay_alu instid0(SALU_CYCLE_1) | instskip(NEXT) | instid1(SALU_CYCLE_1)
	s_and_saveexec_b32 s6, s5
	s_xor_b32 s5, exec_lo, s6
	s_cbranch_execz .LBB9_204
; %bb.203:                              ;   in Loop: Header=BB9_13 Depth=1
	ds_store_b32 v206, v118 offset:128
                                        ; implicit-def: $vgpr0
.LBB9_204:                              ;   in Loop: Header=BB9_13 Depth=1
	s_and_not1_saveexec_b32 s5, s5
	s_cbranch_execz .LBB9_206
; %bb.205:                              ;   in Loop: Header=BB9_13 Depth=1
	v_mad_u64_u32 v[1:2], null, v0, s59, v[116:117]
	s_delay_alu instid0(VALU_DEP_1) | instskip(NEXT) | instid1(VALU_DEP_1)
	v_ashrrev_i32_e32 v2, 31, v1
	v_lshlrev_b64 v[0:1], 3, v[1:2]
	s_delay_alu instid0(VALU_DEP_1) | instskip(NEXT) | instid1(VALU_DEP_2)
	v_add_co_u32 v0, vcc_lo, s78, v0
	v_add_co_ci_u32_e32 v1, vcc_lo, s79, v1, vcc_lo
	global_load_b64 v[0:1], v[0:1], off
	s_waitcnt vmcnt(0)
	v_cvt_f16_f32_e32 v0, v0
	v_cvt_f16_f32_e32 v1, v1
	s_delay_alu instid0(VALU_DEP_1) | instskip(NEXT) | instid1(VALU_DEP_1)
	v_pack_b32_f16 v0, v0, v1
	v_pk_mul_f16 v0, v147, v0
	ds_store_b32 v206, v0 offset:128
.LBB9_206:                              ;   in Loop: Header=BB9_13 Depth=1
	s_or_b32 exec_lo, exec_lo, s5
	v_add_nc_u32_e32 v0, s74, v237
	s_delay_alu instid0(VALU_DEP_1) | instskip(SKIP_1) | instid1(SALU_CYCLE_1)
	v_cmp_le_i32_e32 vcc_lo, s44, v0
	s_or_b32 s4, vcc_lo, s4
	s_and_saveexec_b32 s5, s4
	s_delay_alu instid0(SALU_CYCLE_1)
	s_xor_b32 s4, exec_lo, s5
	s_cbranch_execz .LBB9_208
; %bb.207:                              ;   in Loop: Header=BB9_13 Depth=1
	ds_store_b32 v206, v118 offset:2944
                                        ; implicit-def: $vgpr0
.LBB9_208:                              ;   in Loop: Header=BB9_13 Depth=1
	s_and_not1_saveexec_b32 s4, s4
	s_cbranch_execz .LBB9_210
; %bb.209:                              ;   in Loop: Header=BB9_13 Depth=1
	v_mad_u64_u32 v[1:2], null, v0, s59, v[116:117]
	s_delay_alu instid0(VALU_DEP_1) | instskip(NEXT) | instid1(VALU_DEP_1)
	v_ashrrev_i32_e32 v2, 31, v1
	v_lshlrev_b64 v[0:1], 3, v[1:2]
	s_delay_alu instid0(VALU_DEP_1) | instskip(NEXT) | instid1(VALU_DEP_2)
	v_add_co_u32 v0, vcc_lo, s78, v0
	v_add_co_ci_u32_e32 v1, vcc_lo, s79, v1, vcc_lo
	global_load_b64 v[0:1], v[0:1], off
	s_waitcnt vmcnt(0)
	v_cvt_f16_f32_e32 v0, v0
	v_cvt_f16_f32_e32 v1, v1
	s_delay_alu instid0(VALU_DEP_1) | instskip(NEXT) | instid1(VALU_DEP_1)
	v_pack_b32_f16 v0, v0, v1
	v_pk_mul_f16 v0, v147, v0
	ds_store_b32 v206, v0 offset:2944
.LBB9_210:                              ;   in Loop: Header=BB9_13 Depth=1
	s_or_b32 exec_lo, exec_lo, s4
	v_add_nc_u32_e32 v0, v189, v190
	s_waitcnt lgkmcnt(0)
	s_waitcnt_vscnt null, 0x0
	s_barrier
	buffer_gl0_inv
	s_cmp_gt_i32 s103, 1
	ds_load_b128 v[48:51], v0
	ds_load_b128 v[52:55], v0 offset:16
	ds_load_b128 v[40:43], v0 offset:32
	;; [unrolled: 1-line block ×9, first 2 shown]
	s_waitcnt lgkmcnt(0)
	s_barrier
	buffer_gl0_inv
	s_cbranch_scc1 .LBB9_212
; %bb.211:                              ;   in Loop: Header=BB9_13 Depth=1
	v_dual_mov_b32 v133, 32 :: v_dual_add_nc_u32 v0, s74, v235
	v_add_nc_u32_e32 v1, s74, v129
	v_xor_b32_e32 v132, 16, v185
	s_mov_b32 s61, 0
	s_delay_alu instid0(VALU_DEP_3) | instskip(SKIP_2) | instid1(VALU_DEP_2)
	v_mul_hi_u32 v2, s34, v0
	s_mov_b32 s4, 0xfeffffff
	v_mul_hi_u32 v3, s34, v1
	v_add_nc_u32_e32 v2, v0, v2
	s_delay_alu instid0(VALU_DEP_2) | instskip(NEXT) | instid1(VALU_DEP_2)
	v_add_nc_u32_e32 v3, v1, v3
	v_lshrrev_b32_e32 v2, s35, v2
	s_delay_alu instid0(VALU_DEP_2) | instskip(NEXT) | instid1(VALU_DEP_2)
	v_lshrrev_b32_e32 v3, s35, v3
	v_mul_lo_u32 v2, v2, s44
	s_delay_alu instid0(VALU_DEP_2) | instskip(NEXT) | instid1(VALU_DEP_2)
	v_mul_lo_u32 v3, v3, s44
	v_sub_nc_u32_e32 v0, v0, v2
	s_delay_alu instid0(VALU_DEP_2) | instskip(NEXT) | instid1(VALU_DEP_2)
	v_sub_nc_u32_e32 v1, v1, v3
	v_mad_i64_i32 v[80:81], null, v0, s46, 0
	s_delay_alu instid0(VALU_DEP_2)
	v_mad_i64_i32 v[86:87], null, v1, s46, 0
	s_branch .LBB9_213
.LBB9_212:                              ;   in Loop: Header=BB9_13 Depth=1
	s_mov_b32 s61, -1
                                        ; implicit-def: $sgpr4
                                        ; implicit-def: $vgpr80_vgpr81
                                        ; implicit-def: $vgpr86_vgpr87
                                        ; implicit-def: $vgpr132
                                        ; implicit-def: $vgpr133
.LBB9_213:                              ;   in Loop: Header=BB9_13 Depth=1
	s_delay_alu instid0(SALU_CYCLE_1)
	v_dual_mov_b32 v7, s61 :: v_dual_mov_b32 v6, s61
	v_dual_mov_b32 v5, s61 :: v_dual_mov_b32 v4, s61
	;; [unrolled: 1-line block ×21, first 2 shown]
	s_and_not1_b32 vcc_lo, exec_lo, s61
	s_cbranch_vccnz .LBB9_217
; %bb.214:                              ;   in Loop: Header=BB9_13 Depth=1
	scratch_load_b32 v5, off, off offset:196 ; 4-byte Folded Reload
	v_dual_mov_b32 v198, 0 :: v_dual_add_nc_u32 v1, s74, v129
	v_add_nc_u32_e32 v0, s74, v235
	s_add_i32 s61, s103, -1
	v_xor_b32_e32 v132, 16, v185
	s_add_u32 s4, s22, s14
	v_mov_b32_e32 v25, v198
	v_mul_hi_u32 v2, s34, v0
	s_addc_u32 s5, s23, s50
	s_add_u32 s6, s64, s9
	s_addc_u32 s7, s66, s77
	v_readlane_b32 s76, v255, 11
	v_mov_b32_e32 v27, v198
	v_cmp_gt_i32_e32 vcc_lo, 32, v132
	s_add_u32 s8, s63, s15
	v_add_nc_u32_e32 v2, v0, v2
	s_mov_b32 s50, s76
	v_mul_hi_u32 v3, s34, v1
	v_dual_cndmask_b32 v4, v185, v132 :: v_dual_mov_b32 v29, v198
	s_delay_alu instid0(VALU_DEP_3) | instskip(SKIP_1) | instid1(VALU_DEP_2)
	v_lshrrev_b32_e32 v2, s35, v2
	s_addc_u32 s14, vcc_hi, s60
	v_dual_mov_b32 v24, 0 :: v_dual_lshlrev_b32 v123, 2, v4
	v_mov_b32_e32 v26, v198
	s_delay_alu instid0(VALU_DEP_3) | instskip(SKIP_3) | instid1(VALU_DEP_3)
	v_mul_lo_u32 v2, v2, s44
	v_dual_mov_b32 v28, v198 :: v_dual_add_nc_u32 v3, v1, v3
	v_dual_mov_b32 v133, 32 :: v_dual_mov_b32 v30, v198
	v_mov_b32_e32 v213, 0xfeffffff
	v_lshrrev_b32_e32 v3, s35, v3
	v_dual_mov_b32 v31, v198 :: v_dual_mov_b32 v32, 0
	v_sub_nc_u32_e32 v80, v0, v2
	v_dual_mov_b32 v33, v198 :: v_dual_mov_b32 v16, 0
	s_delay_alu instid0(VALU_DEP_4) | instskip(SKIP_1) | instid1(VALU_DEP_4)
	v_mul_lo_u32 v3, v3, s44
	v_mov_b32_e32 v34, v198
	v_mad_i64_i32 v[82:83], null, v80, s46, 0
	v_mad_i64_i32 v[139:140], null, s50, v80, s[4:5]
	scratch_load_b32 v80, off, off offset:212 ; 4-byte Folded Reload
	v_dual_mov_b32 v35, v198 :: v_dual_mov_b32 v8, 0
	v_sub_nc_u32_e32 v81, v1, v3
	scratch_store_b64 off, v[82:83], off offset:104 ; 8-byte Folded Spill
	v_mov_b32_e32 v36, v198
	v_dual_mov_b32 v37, v198 :: v_dual_mov_b32 v0, 0
	v_mad_i64_i32 v[82:83], null, v81, s46, 0
	scratch_store_b32 off, v185, off offset:92 ; 4-byte Folded Spill
	v_mad_i64_i32 v[141:142], null, s50, v81, s[4:5]
	v_mov_b32_e32 v38, v198
	v_mov_b32_e32 v39, v198
	;; [unrolled: 1-line block ×3, first 2 shown]
	scratch_store_b64 off, v[82:83], off offset:96 ; 8-byte Folded Spill
	v_mov_b32_e32 v18, v198
	v_mov_b32_e32 v19, v198
	;; [unrolled: 1-line block ×19, first 2 shown]
	s_mov_b32 s9, s61
	v_readlane_b32 s77, v255, 12
	s_waitcnt vmcnt(1)
	v_add_co_u32 v134, vcc_lo, v5, s6
	scratch_load_b32 v5, off, off offset:200 ; 4-byte Folded Reload
	s_waitcnt vmcnt(0)
	v_add_co_ci_u32_e32 v135, vcc_lo, s7, v5, vcc_lo
	scratch_load_b32 v5, off, off offset:204 ; 4-byte Folded Reload
	s_waitcnt vmcnt(0)
	v_add_co_u32 v137, vcc_lo, v5, s8
	scratch_load_b32 v5, off, off offset:208 ; 4-byte Folded Reload
	s_waitcnt vmcnt(0)
	v_add_co_ci_u32_e32 v138, vcc_lo, s14, v5, vcc_lo
	v_add_co_u32 v191, vcc_lo, v80, s6
	scratch_load_b32 v80, off, off offset:216 ; 4-byte Folded Reload
	v_mov_b32_e32 v5, v198
	s_waitcnt vmcnt(0)
	v_add_co_ci_u32_e32 v192, vcc_lo, s7, v80, vcc_lo
	scratch_load_b32 v80, off, off offset:220 ; 4-byte Folded Reload
	s_waitcnt vmcnt(0)
	v_add_co_u32 v193, vcc_lo, v80, s6
	scratch_load_b32 v80, off, off offset:224 ; 4-byte Folded Reload
	s_waitcnt vmcnt(0)
	v_add_co_ci_u32_e32 v189, vcc_lo, s7, v80, vcc_lo
	scratch_load_b32 v80, off, off offset:228 ; 4-byte Folded Reload
	s_waitcnt vmcnt(0)
	v_add_co_u32 v190, vcc_lo, v80, s6
	scratch_load_b32 v80, off, off offset:232 ; 4-byte Folded Reload
	;; [unrolled: 6-line block ×7, first 2 shown]
	s_waitcnt vmcnt(0)
	v_add_co_ci_u32_e32 v226, vcc_lo, s14, v80, vcc_lo
.LBB9_215:                              ;   Parent Loop BB9_13 Depth=1
                                        ; =>  This Inner Loop Header: Depth=2
	v_add_co_u32 v80, vcc_lo, v139, v156
	v_add_co_ci_u32_e32 v81, vcc_lo, 0, v140, vcc_lo
	v_add_nc_u32_e32 v96, v120, v159
	v_cmp_eq_u32_e64 s5, 1, v160
	v_cmp_eq_u32_e64 s6, 0, v160
	global_load_b32 v82, v[80:81], off
	v_add_co_u32 v80, vcc_lo, v141, v156
	v_add_co_ci_u32_e32 v81, vcc_lo, 0, v142, vcc_lo
	s_add_i32 s9, s9, -1
	v_dual_mov_b32 v206, s43 :: v_dual_mov_b32 v205, s42
	global_load_b32 v80, v[80:81], off
	v_add_nc_u32_e32 v81, v136, v238
	v_dual_mov_b32 v203, s40 :: v_dual_mov_b32 v202, s39
	v_dual_mov_b32 v204, s41 :: v_dual_mov_b32 v201, s38
	s_delay_alu instid0(VALU_DEP_3)
	v_dual_mov_b32 v200, s37 :: v_dual_add_nc_u32 v81, 0x2c00, v81
	v_mov_b32_e32 v199, s36
	s_cmp_lg_u32 s9, 0
	s_waitcnt vmcnt(0)
	ds_store_2addr_b32 v81, v82, v80 offset1:144
	global_load_b128 v[80:83], v[137:138], off
	s_waitcnt vmcnt(0)
	ds_store_b128 v161, v[80:83]
	v_add_co_u32 v80, vcc_lo, v187, v208
	v_add_co_ci_u32_e32 v81, vcc_lo, 0, v188, vcc_lo
	v_add_co_u32 v84, vcc_lo, v228, v208
	v_add_co_ci_u32_e32 v85, vcc_lo, 0, v229, vcc_lo
	global_load_b128 v[80:83], v[80:81], off
	global_load_b128 v[84:87], v[84:85], off
	s_waitcnt vmcnt(1)
	ds_store_b128 v146, v[80:83]
	s_waitcnt vmcnt(0)
	ds_store_b128 v240, v[84:87]
	v_add_co_u32 v80, vcc_lo, v184, v208
	v_add_co_ci_u32_e32 v81, vcc_lo, 0, v185, vcc_lo
	v_add_co_u32 v84, vcc_lo, v225, v208
	v_add_co_ci_u32_e32 v85, vcc_lo, 0, v226, vcc_lo
	global_load_b128 v[80:83], v[80:81], off
	global_load_b128 v[84:87], v[84:85], off
	s_waitcnt vmcnt(1)
	ds_store_b128 v241, v[80:83]
	s_waitcnt vmcnt(0)
	ds_store_b128 v242, v[84:87]
	s_waitcnt lgkmcnt(0)
	s_waitcnt_vscnt null, 0x0
	s_barrier
	buffer_gl0_inv
	ds_load_b128 v[80:83], v96
	ds_load_b128 v[84:87], v96 offset:16
	ds_load_b128 v[88:91], v96 offset:5632
	;; [unrolled: 1-line block ×3, first 2 shown]
	s_waitcnt lgkmcnt(2)
	v_wmma_f32_16x16x16_f16 v[217:224], v[80:87], v[48:55], v[199:206]
	ds_load_b128 v[80:83], v96 offset:32
	ds_load_b128 v[84:87], v96 offset:48
	s_waitcnt lgkmcnt(2)
	v_wmma_f32_16x16x16_f16 v[148:155], v[88:95], v[48:55], v[199:206]
	s_waitcnt lgkmcnt(0)
	v_wmma_f32_16x16x16_f16 v[217:224], v[80:87], v[40:47], v[217:224]
	ds_load_b128 v[80:83], v96 offset:5664
	ds_load_b128 v[84:87], v96 offset:5680
	s_waitcnt lgkmcnt(0)
	v_wmma_f32_16x16x16_f16 v[148:155], v[80:87], v[40:47], v[148:155]
	ds_load_b128 v[80:83], v96 offset:64
	ds_load_b128 v[84:87], v96 offset:80
	;; [unrolled: 4-line block ×7, first 2 shown]
	s_waitcnt lgkmcnt(0)
	s_barrier
	buffer_gl0_inv
	v_wmma_f32_16x16x16_f16 v[148:155], v[80:87], v[72:79], v[148:155]
	ds_load_u16 v80, v162 offset:11264
	ds_load_u16 v81, v162 offset:11268
	;; [unrolled: 1-line block ×16, first 2 shown]
	s_waitcnt lgkmcnt(15)
	v_cvt_f32_f16_e32 v80, v80
	s_waitcnt lgkmcnt(7)
	v_cvt_f32_f16_e32 v88, v88
	;; [unrolled: 2-line block ×5, first 2 shown]
	v_add_f32_e32 v80, v217, v80
	v_cvt_f32_f16_e32 v85, v85
	v_cvt_f32_f16_e32 v87, v87
	;; [unrolled: 1-line block ×3, first 2 shown]
	v_dual_add_f32 v183, v148, v88 :: v_dual_add_f32 v182, v150, v90
	s_delay_alu instid0(VALU_DEP_4) | instskip(NEXT) | instid1(VALU_DEP_4)
	v_add_f32_e32 v85, v222, v85
	v_dual_add_f32 v87, v224, v87 :: v_dual_add_f32 v222, v149, v89
	v_add_f32_e32 v181, v151, v91
	global_load_b128 v[88:91], v[134:135], off
	v_cvt_f32_f16_e32 v81, v81
	v_cvt_f32_f16_e32 v82, v82
	s_waitcnt lgkmcnt(3)
	v_cvt_f32_f16_e32 v92, v92
	s_waitcnt lgkmcnt(2)
	v_cvt_f32_f16_e32 v93, v93
	v_cvt_f32_f16_e32 v83, v83
	v_dual_add_f32 v81, v218, v81 :: v_dual_add_f32 v82, v219, v82
	v_add_f32_e32 v121, v152, v92
	v_cvt_f32_f16_e32 v84, v84
	s_waitcnt lgkmcnt(1)
	v_cvt_f32_f16_e32 v94, v94
	s_waitcnt lgkmcnt(0)
	v_cvt_f32_f16_e32 v95, v95
	v_add_f32_e32 v145, v153, v93
	v_dual_add_f32 v83, v220, v83 :: v_dual_add_f32 v84, v221, v84
	v_add_f32_e32 v86, v223, v86
	v_add_f32_e32 v211, v154, v94
	;; [unrolled: 1-line block ×3, first 2 shown]
	s_waitcnt vmcnt(0)
	ds_store_b128 v161, v[88:91]
	v_add_co_u32 v88, vcc_lo, v191, v208
	v_add_co_ci_u32_e32 v89, vcc_lo, 0, v192, vcc_lo
	v_add_co_u32 v92, vcc_lo, v193, v208
	v_add_co_ci_u32_e32 v93, vcc_lo, 0, v189, vcc_lo
	global_load_b128 v[88:91], v[88:89], off
	global_load_b128 v[92:95], v[92:93], off
	s_waitcnt vmcnt(1)
	ds_store_b128 v146, v[88:91]
	s_waitcnt vmcnt(0)
	ds_store_b128 v240, v[92:95]
	v_add_co_u32 v88, vcc_lo, v190, v208
	v_add_co_ci_u32_e32 v89, vcc_lo, 0, v212, vcc_lo
	v_add_co_u32 v92, vcc_lo, v122, v208
	v_add_co_ci_u32_e32 v93, vcc_lo, 0, v186, vcc_lo
	global_load_b128 v[88:91], v[88:89], off
	global_load_b128 v[92:95], v[92:93], off
	s_waitcnt vmcnt(1)
	ds_store_b128 v241, v[88:91]
	s_waitcnt vmcnt(0)
	ds_store_b128 v242, v[92:95]
	v_dual_mov_b32 v88, v213 :: v_dual_add_f32 v89, 0x40051340, v80
	v_dual_add_f32 v90, 0x40051340, v81 :: v_dual_add_f32 v91, 0x40051340, v83
	s_waitcnt lgkmcnt(0)
	s_barrier
	buffer_gl0_inv
	v_max3_f32 v89, v88, v89, v90
	v_add_f32_e32 v90, 0x40051340, v82
	s_delay_alu instid0(VALU_DEP_1) | instskip(SKIP_1) | instid1(VALU_DEP_1)
	v_max3_f32 v89, v89, v90, v91
	v_dual_add_f32 v90, 0x40051340, v84 :: v_dual_add_f32 v91, 0x40051340, v85
	v_max3_f32 v89, v89, v90, v91
	v_dual_add_f32 v90, 0x40051340, v86 :: v_dual_add_f32 v91, 0x40051340, v87
	s_delay_alu instid0(VALU_DEP_1) | instskip(SKIP_1) | instid1(VALU_DEP_1)
	v_max3_f32 v89, v89, v90, v91
	v_dual_add_f32 v90, 0x40051340, v183 :: v_dual_add_f32 v91, 0x40051340, v222
	v_max3_f32 v89, v89, v90, v91
	v_dual_add_f32 v90, 0x40051340, v182 :: v_dual_add_f32 v91, 0x40051340, v181
	s_delay_alu instid0(VALU_DEP_1) | instskip(SKIP_2) | instid1(VALU_DEP_1)
	v_max3_f32 v89, v89, v90, v91
	v_add_f32_e32 v90, 0x40051340, v121
	v_add_f32_e32 v91, 0x40051340, v145
	v_max3_f32 v89, v89, v90, v91
	v_add_f32_e32 v90, 0x40051340, v211
	v_add_f32_e32 v91, 0x40051340, v227
	s_delay_alu instid0(VALU_DEP_1) | instskip(SKIP_3) | instid1(VALU_DEP_1)
	v_max3_f32 v89, v89, v90, v91
	ds_bpermute_b32 v90, v123, v89
	s_waitcnt lgkmcnt(0)
	v_max_f32_e32 v90, v90, v90
	v_max_f32_e32 v213, v89, v90
	s_delay_alu instid0(VALU_DEP_1) | instskip(NEXT) | instid1(VALU_DEP_1)
	v_sub_f32_e32 v81, v81, v213
	v_mul_f32_e32 v89, 0x3fb8aa3b, v81
	s_delay_alu instid0(VALU_DEP_1) | instskip(SKIP_1) | instid1(VALU_DEP_2)
	v_fma_f32 v90, 0x3fb8aa3b, v81, -v89
	v_rndne_f32_e32 v91, v89
	v_fmac_f32_e32 v90, 0x32a5705f, v81
	s_delay_alu instid0(VALU_DEP_2) | instskip(SKIP_3) | instid1(VALU_DEP_4)
	v_dual_sub_f32 v80, v80, v213 :: v_dual_sub_f32 v89, v89, v91
	v_sub_f32_e32 v82, v82, v213
	v_cvt_i32_f32_e32 v91, v91
	v_sub_f32_e32 v83, v83, v213
	v_cmp_ngt_f32_e64 s4, 0xc2ce8ed0, v80
	v_dual_add_f32 v89, v89, v90 :: v_dual_mul_f32 v90, 0x3fb8aa3b, v80
	v_cmp_ngt_f32_e32 vcc_lo, 0xc2ce8ed0, v81
	v_cmp_ngt_f32_e64 s7, 0xc2ce8ed0, v82
	v_sub_f32_e32 v85, v85, v213
	s_delay_alu instid0(VALU_DEP_4) | instskip(SKIP_3) | instid1(VALU_DEP_3)
	v_exp_f32_e32 v89, v89
	v_fma_f32 v92, 0x3fb8aa3b, v80, -v90
	v_rndne_f32_e32 v93, v90
	v_sub_f32_e32 v88, v88, v213
	v_dual_sub_f32 v87, v87, v213 :: v_dual_fmac_f32 v92, 0x32a5705f, v80
	s_delay_alu instid0(VALU_DEP_3) | instskip(SKIP_3) | instid1(VALU_DEP_2)
	v_sub_f32_e32 v90, v90, v93
	s_waitcnt_depctr 0xfff
	v_ldexp_f32 v89, v89, v91
	v_cvt_i32_f32_e32 v91, v93
	v_dual_add_f32 v90, v90, v92 :: v_dual_cndmask_b32 v89, 0, v89
	v_cmp_nlt_f32_e32 vcc_lo, 0x42b17218, v81
	s_delay_alu instid0(VALU_DEP_2) | instskip(NEXT) | instid1(VALU_DEP_2)
	v_exp_f32_e32 v90, v90
	v_cndmask_b32_e32 v224, 0x7f800000, v89, vcc_lo
	v_cmp_eq_u32_e32 vcc_lo, 1, v239
	v_sub_f32_e32 v84, v84, v213
	v_sub_f32_e32 v86, v86, v213
	ds_bpermute_b32 v89, v123, v224
	v_ldexp_f32 v90, v90, v91
	s_delay_alu instid0(VALU_DEP_1) | instskip(SKIP_1) | instid1(VALU_DEP_1)
	v_cndmask_b32_e64 v81, 0, v90, s4
	v_cmp_nlt_f32_e64 s4, 0x42b17218, v80
	v_cndmask_b32_e64 v223, 0x7f800000, v81, s4
	v_cmp_eq_u32_e64 s4, 0, v239
	ds_bpermute_b32 v80, v123, v223
	s_waitcnt lgkmcnt(0)
	v_cndmask_b32_e32 v81, v223, v80, vcc_lo
	v_cndmask_b32_e64 v80, v223, v80, s4
	s_delay_alu instid0(VALU_DEP_2) | instskip(NEXT) | instid1(VALU_DEP_2)
	v_cndmask_b32_e64 v91, v81, v224, s5
	v_cndmask_b32_e64 v90, v80, v224, s6
	v_cvt_f16_f32_e32 v80, v80
	v_cvt_f16_f32_e32 v81, v81
	s_delay_alu instid0(VALU_DEP_3) | instskip(SKIP_1) | instid1(VALU_DEP_3)
	v_cndmask_b32_e64 v90, v90, v89, s4
	v_cndmask_b32_e32 v89, v91, v89, vcc_lo
	v_pack_b32_f16 v80, v80, v81
	s_delay_alu instid0(VALU_DEP_3) | instskip(NEXT) | instid1(VALU_DEP_3)
	v_cvt_f16_f32_e32 v91, v90
	v_cvt_f16_f32_e32 v92, v89
	s_delay_alu instid0(VALU_DEP_1) | instskip(SKIP_1) | instid1(VALU_DEP_1)
	v_pack_b32_f16 v81, v91, v92
	v_mul_f32_e32 v91, 0x3fb8aa3b, v82
	v_fma_f32 v92, 0x3fb8aa3b, v82, -v91
	v_rndne_f32_e32 v93, v91
	s_delay_alu instid0(VALU_DEP_1) | instskip(NEXT) | instid1(VALU_DEP_1)
	v_dual_fmac_f32 v92, 0x32a5705f, v82 :: v_dual_sub_f32 v91, v91, v93
	v_add_f32_e32 v91, v91, v92
	v_cvt_i32_f32_e32 v92, v93
	s_delay_alu instid0(VALU_DEP_2) | instskip(SKIP_2) | instid1(VALU_DEP_1)
	v_exp_f32_e32 v91, v91
	s_waitcnt_depctr 0xfff
	v_ldexp_f32 v91, v91, v92
	v_cndmask_b32_e64 v91, 0, v91, s7
	v_cmp_nlt_f32_e64 s7, 0x42b17218, v82
	s_delay_alu instid0(VALU_DEP_1) | instskip(SKIP_1) | instid1(VALU_DEP_2)
	v_cndmask_b32_e64 v149, 0x7f800000, v91, s7
	v_cmp_ngt_f32_e64 s7, 0xc2ce8ed0, v83
	v_cndmask_b32_e64 v82, v90, v149, s6
	ds_bpermute_b32 v90, v123, v149
	v_cndmask_b32_e64 v89, v89, v149, s5
	s_waitcnt lgkmcnt(0)
	v_cndmask_b32_e64 v91, v82, v90, s4
	s_delay_alu instid0(VALU_DEP_2) | instskip(NEXT) | instid1(VALU_DEP_2)
	v_cndmask_b32_e32 v89, v89, v90, vcc_lo
	v_cvt_f16_f32_e32 v82, v91
	s_delay_alu instid0(VALU_DEP_2) | instskip(NEXT) | instid1(VALU_DEP_1)
	v_cvt_f16_f32_e32 v90, v89
	v_pack_b32_f16 v82, v82, v90
	v_mul_f32_e32 v90, 0x3fb8aa3b, v83
	s_delay_alu instid0(VALU_DEP_1) | instskip(SKIP_1) | instid1(VALU_DEP_2)
	v_fma_f32 v92, 0x3fb8aa3b, v83, -v90
	v_rndne_f32_e32 v93, v90
	v_fmac_f32_e32 v92, 0x32a5705f, v83
	s_delay_alu instid0(VALU_DEP_2) | instskip(NEXT) | instid1(VALU_DEP_1)
	v_sub_f32_e32 v90, v90, v93
	v_add_f32_e32 v90, v90, v92
	v_cvt_i32_f32_e32 v92, v93
	s_delay_alu instid0(VALU_DEP_2) | instskip(SKIP_2) | instid1(VALU_DEP_1)
	v_exp_f32_e32 v90, v90
	s_waitcnt_depctr 0xfff
	v_ldexp_f32 v90, v90, v92
	v_cndmask_b32_e64 v90, 0, v90, s7
	v_cmp_nlt_f32_e64 s7, 0x42b17218, v83
	s_delay_alu instid0(VALU_DEP_1)
	v_cndmask_b32_e64 v150, 0x7f800000, v90, s7
	v_cmp_ngt_f32_e64 s7, 0xc2ce8ed0, v84
	ds_bpermute_b32 v90, v123, v150
	v_cndmask_b32_e64 v83, v91, v150, s6
	v_cndmask_b32_e64 v89, v89, v150, s5
	s_waitcnt lgkmcnt(0)
	s_delay_alu instid0(VALU_DEP_2) | instskip(NEXT) | instid1(VALU_DEP_2)
	v_cndmask_b32_e64 v91, v83, v90, s4
	v_cndmask_b32_e32 v89, v89, v90, vcc_lo
	s_delay_alu instid0(VALU_DEP_2) | instskip(NEXT) | instid1(VALU_DEP_2)
	v_cvt_f16_f32_e32 v83, v91
	v_cvt_f16_f32_e32 v90, v89
	s_delay_alu instid0(VALU_DEP_1) | instskip(SKIP_1) | instid1(VALU_DEP_1)
	v_pack_b32_f16 v83, v83, v90
	v_mul_f32_e32 v90, 0x3fb8aa3b, v84
	v_fma_f32 v92, 0x3fb8aa3b, v84, -v90
	v_rndne_f32_e32 v93, v90
	s_delay_alu instid0(VALU_DEP_2) | instskip(NEXT) | instid1(VALU_DEP_2)
	v_fmac_f32_e32 v92, 0x32a5705f, v84
	v_sub_f32_e32 v90, v90, v93
	s_delay_alu instid0(VALU_DEP_1) | instskip(SKIP_1) | instid1(VALU_DEP_2)
	v_add_f32_e32 v90, v90, v92
	v_cvt_i32_f32_e32 v92, v93
	v_exp_f32_e32 v90, v90
	s_waitcnt_depctr 0xfff
	v_ldexp_f32 v90, v90, v92
	s_delay_alu instid0(VALU_DEP_1) | instskip(SKIP_1) | instid1(VALU_DEP_1)
	v_cndmask_b32_e64 v90, 0, v90, s7
	v_cmp_nlt_f32_e64 s7, 0x42b17218, v84
	v_cndmask_b32_e64 v151, 0x7f800000, v90, s7
	ds_bpermute_b32 v90, v123, v151
	v_cndmask_b32_e64 v84, v91, v151, s6
	v_cndmask_b32_e64 v89, v89, v151, s5
	s_waitcnt lgkmcnt(0)
	s_delay_alu instid0(VALU_DEP_2) | instskip(NEXT) | instid1(VALU_DEP_2)
	v_cndmask_b32_e64 v91, v84, v90, s4
	v_cndmask_b32_e32 v89, v89, v90, vcc_lo
	s_delay_alu instid0(VALU_DEP_2) | instskip(NEXT) | instid1(VALU_DEP_2)
	v_cvt_f16_f32_e32 v84, v91
	v_cvt_f16_f32_e32 v90, v89
	s_delay_alu instid0(VALU_DEP_1) | instskip(SKIP_1) | instid1(VALU_DEP_1)
	v_pack_b32_f16 v84, v84, v90
	v_mul_f32_e32 v90, 0x3fb8aa3b, v85
	v_fma_f32 v92, 0x3fb8aa3b, v85, -v90
	v_rndne_f32_e32 v93, v90
	s_delay_alu instid0(VALU_DEP_2) | instskip(NEXT) | instid1(VALU_DEP_2)
	v_fmac_f32_e32 v92, 0x32a5705f, v85
	v_sub_f32_e32 v90, v90, v93
	s_delay_alu instid0(VALU_DEP_1) | instskip(SKIP_2) | instid1(VALU_DEP_3)
	v_add_f32_e32 v90, v90, v92
	v_cvt_i32_f32_e32 v92, v93
	v_cmp_ngt_f32_e64 s7, 0xc2ce8ed0, v85
	v_exp_f32_e32 v90, v90
	s_waitcnt_depctr 0xfff
	v_ldexp_f32 v90, v90, v92
	s_delay_alu instid0(VALU_DEP_1) | instskip(SKIP_1) | instid1(VALU_DEP_1)
	v_cndmask_b32_e64 v90, 0, v90, s7
	v_cmp_nlt_f32_e64 s7, 0x42b17218, v85
	v_cndmask_b32_e64 v152, 0x7f800000, v90, s7
	v_cmp_ngt_f32_e64 s7, 0xc2ce8ed0, v86
	ds_bpermute_b32 v90, v123, v152
	v_cndmask_b32_e64 v85, v91, v152, s6
	v_cndmask_b32_e64 v89, v89, v152, s5
	s_waitcnt lgkmcnt(0)
	s_delay_alu instid0(VALU_DEP_2) | instskip(NEXT) | instid1(VALU_DEP_2)
	v_cndmask_b32_e64 v91, v85, v90, s4
	v_cndmask_b32_e32 v89, v89, v90, vcc_lo
	s_delay_alu instid0(VALU_DEP_2) | instskip(NEXT) | instid1(VALU_DEP_2)
	v_cvt_f16_f32_e32 v85, v91
	v_cvt_f16_f32_e32 v90, v89
	s_delay_alu instid0(VALU_DEP_1) | instskip(SKIP_1) | instid1(VALU_DEP_1)
	v_pack_b32_f16 v85, v85, v90
	v_mul_f32_e32 v90, 0x3fb8aa3b, v86
	v_fma_f32 v92, 0x3fb8aa3b, v86, -v90
	v_rndne_f32_e32 v93, v90
	s_delay_alu instid0(VALU_DEP_2) | instskip(NEXT) | instid1(VALU_DEP_2)
	v_fmac_f32_e32 v92, 0x32a5705f, v86
	v_sub_f32_e32 v90, v90, v93
	s_delay_alu instid0(VALU_DEP_1) | instskip(SKIP_1) | instid1(VALU_DEP_2)
	v_add_f32_e32 v90, v90, v92
	v_cvt_i32_f32_e32 v92, v93
	v_exp_f32_e32 v90, v90
	s_waitcnt_depctr 0xfff
	v_ldexp_f32 v90, v90, v92
	s_delay_alu instid0(VALU_DEP_1) | instskip(SKIP_1) | instid1(VALU_DEP_1)
	v_cndmask_b32_e64 v90, 0, v90, s7
	v_cmp_nlt_f32_e64 s7, 0x42b17218, v86
	v_cndmask_b32_e64 v153, 0x7f800000, v90, s7
	v_cmp_ngt_f32_e64 s7, 0xc2ce8ed0, v87
	ds_bpermute_b32 v90, v123, v153
	v_cndmask_b32_e64 v86, v91, v153, s6
	v_cndmask_b32_e64 v89, v89, v153, s5
	s_waitcnt lgkmcnt(0)
	s_delay_alu instid0(VALU_DEP_2) | instskip(NEXT) | instid1(VALU_DEP_2)
	v_cndmask_b32_e64 v91, v86, v90, s4
	v_cndmask_b32_e32 v89, v89, v90, vcc_lo
	s_delay_alu instid0(VALU_DEP_2) | instskip(NEXT) | instid1(VALU_DEP_2)
	v_cvt_f16_f32_e32 v86, v91
	v_cvt_f16_f32_e32 v90, v89
	s_delay_alu instid0(VALU_DEP_1) | instskip(SKIP_1) | instid1(VALU_DEP_1)
	v_pack_b32_f16 v86, v86, v90
	v_mul_f32_e32 v90, 0x3fb8aa3b, v87
	v_fma_f32 v92, 0x3fb8aa3b, v87, -v90
	v_rndne_f32_e32 v93, v90
	s_delay_alu instid0(VALU_DEP_2) | instskip(NEXT) | instid1(VALU_DEP_2)
	v_fmac_f32_e32 v92, 0x32a5705f, v87
	v_sub_f32_e32 v90, v90, v93
	s_delay_alu instid0(VALU_DEP_1) | instskip(SKIP_1) | instid1(VALU_DEP_2)
	v_add_f32_e32 v90, v90, v92
	v_cvt_i32_f32_e32 v92, v93
	v_exp_f32_e32 v90, v90
	s_waitcnt_depctr 0xfff
	v_ldexp_f32 v90, v90, v92
	s_delay_alu instid0(VALU_DEP_1) | instskip(SKIP_1) | instid1(VALU_DEP_1)
	v_cndmask_b32_e64 v90, 0, v90, s7
	v_cmp_nlt_f32_e64 s7, 0x42b17218, v87
	v_cndmask_b32_e64 v154, 0x7f800000, v90, s7
	ds_bpermute_b32 v90, v123, v154
	v_cndmask_b32_e64 v87, v91, v154, s6
	v_cndmask_b32_e64 v89, v89, v154, s5
	s_waitcnt lgkmcnt(0)
	s_delay_alu instid0(VALU_DEP_2) | instskip(NEXT) | instid1(VALU_DEP_2)
	v_cndmask_b32_e64 v87, v87, v90, s4
	v_cndmask_b32_e32 v89, v89, v90, vcc_lo
	s_delay_alu instid0(VALU_DEP_2) | instskip(NEXT) | instid1(VALU_DEP_2)
	v_cvt_f16_f32_e32 v87, v87
	v_cvt_f16_f32_e32 v89, v89
	s_delay_alu instid0(VALU_DEP_1) | instskip(SKIP_1) | instid1(VALU_DEP_1)
	v_pack_b32_f16 v87, v87, v89
	v_mul_f32_e32 v89, 0x3fb8aa3b, v88
	v_fma_f32 v90, 0x3fb8aa3b, v88, -v89
	v_rndne_f32_e32 v91, v89
	s_delay_alu instid0(VALU_DEP_1) | instskip(NEXT) | instid1(VALU_DEP_1)
	v_dual_fmac_f32 v90, 0x32a5705f, v88 :: v_dual_sub_f32 v89, v89, v91
	v_add_f32_e32 v89, v89, v90
	v_cvt_i32_f32_e32 v90, v91
	v_cmp_ngt_f32_e64 s7, 0xc2ce8ed0, v88
	s_delay_alu instid0(VALU_DEP_3) | instskip(SKIP_2) | instid1(VALU_DEP_1)
	v_exp_f32_e32 v89, v89
	s_waitcnt_depctr 0xfff
	v_ldexp_f32 v89, v89, v90
	v_cndmask_b32_e64 v89, 0, v89, s7
	v_cmp_nlt_f32_e64 s7, 0x42b17218, v88
	s_delay_alu instid0(VALU_DEP_1) | instskip(SKIP_1) | instid1(VALU_DEP_1)
	v_cndmask_b32_e64 v89, 0x7f800000, v89, s7
	v_cmp_le_f32_e64 s7, 0xc1a00000, v88
	v_cndmask_b32_e64 v179, 0, v89, s7
	ds_load_u16 v89, v163 offset:352
	ds_load_u16 v90, v163 offset:704
	;; [unrolled: 1-line block ×14, first 2 shown]
	ds_load_u16 v88, v163
	ds_load_u16 v199, v163 offset:32
	ds_load_u16 v214, v163 offset:64
	ds_load_u16 v124, v163 offset:96
	ds_load_u16 v128, v247 offset:1408
	ds_load_u16 v125, v247 offset:352
	ds_load_u16 v127, v247 offset:1056
	ds_load_u16 v129, v247 offset:1760
	ds_load_u16 v130, v247 offset:2112
	ds_load_u16 v100, v248 offset:1408
	ds_load_u16 v102, v248 offset:2112
	ds_load_u16 v97, v248 offset:352
	ds_load_u16 v99, v248 offset:1056
	ds_load_u16 v101, v248 offset:1760
	ds_load_u16 v103, v248 offset:2464
	ds_load_u16 v105, v244 offset:352
	ds_load_u16 v106, v244 offset:704
	ds_load_u16 v107, v244 offset:1056
	ds_load_u16 v108, v244 offset:1408
	ds_load_u16 v109, v244 offset:1760
	ds_load_u16 v110, v244 offset:2112
	ds_load_u16 v201, v245 offset:704
	ds_load_u16 v111, v244 offset:2464
	ds_load_u16 v204, v245 offset:1760
	ds_load_u16 v205, v245 offset:2112
	ds_load_u16 v206, v245 offset:2464
	ds_load_u16 v112, v245 offset:5632
	ds_load_u16 v113, v164 offset:352
	ds_load_u16 v114, v164 offset:704
	ds_load_u16 v115, v164 offset:1056
	ds_load_u16 v116, v164 offset:1408
	ds_load_u16 v117, v164 offset:1760
	ds_load_u16 v118, v164 offset:2112
	ds_load_u16 v216, v246 offset:704
	ds_load_u16 v119, v164 offset:2464
	ds_load_u16 v220, v246 offset:2112
	ds_load_u16 v221, v246 offset:2464
	ds_load_u16 v169, v246 offset:5632
	ds_load_u16 v170, v165 offset:352
	ds_load_u16 v172, v165 offset:1056
	ds_load_u16 v173, v165 offset:1408
	ds_load_u16 v174, v165 offset:1760
	ds_load_u16 v175, v165 offset:2112
	ds_load_u16 v126, v247 offset:704
	ds_load_u16 v176, v165 offset:2464
	ds_load_u16 v131, v247 offset:2464
	ds_load_u16 v230, v247 offset:5632
	ds_load_u16 v234, v166 offset:1408
	ds_load_u16 v231, v166 offset:352
	ds_load_u16 v233, v166 offset:1056
	ds_load_u16 v235, v166 offset:1760
	ds_load_u16 v236, v166 offset:2112
	ds_load_u16 v98, v248 offset:704
	ds_load_u16 v237, v166 offset:2464
	s_waitcnt lgkmcnt(32)
	ds_load_u16_d16_hi v201, v163 offset:912
	ds_load_u16_d16_hi v202, v163 offset:1264
	;; [unrolled: 1-line block ×3, first 2 shown]
	s_waitcnt lgkmcnt(29)
	ds_load_u16_d16_hi v113, v245 offset:6160
	s_waitcnt lgkmcnt(28)
	ds_load_u16_d16_hi v115, v245 offset:6864
	s_waitcnt lgkmcnt(27)
	ds_load_u16_d16_hi v117, v245 offset:7568
	s_waitcnt lgkmcnt(25)
	ds_load_u16_d16_hi v119, v245 offset:8272
	ds_load_u16_d16_hi v204, v163 offset:1968
	ds_load_u16_d16_hi v206, v163 offset:2672
	;; [unrolled: 1-line block ×3, first 2 shown]
	s_waitcnt lgkmcnt(20)
	ds_load_u16_d16_hi v126, v163 offset:976
	ds_load_u16_d16_hi v90, v163 offset:880
	;; [unrolled: 1-line block ×14, first 2 shown]
	s_waitcnt lgkmcnt(33)
	ds_load_u16_d16_hi v176, v246 offset:8272
	ds_load_u16_d16_hi v220, v163 offset:2352
	ds_load_u16_d16_hi v92, v163 offset:1584
	ds_load_u16_d16_hi v99, v163 offset:1360
	ds_load_u16_d16_hi v91, v163 offset:1232
	s_waitcnt lgkmcnt(30)
	ds_load_u16_d16_hi v98, v163 offset:1008
	ds_load_u16_d16_hi v102, v163 offset:2416
	;; [unrolled: 1-line block ×7, first 2 shown]
	s_waitcnt lgkmcnt(36)
	ds_load_u16_d16_hi v237, v247 offset:8272
	ds_load_u16_d16_hi v95, v163 offset:2640
	;; [unrolled: 1-line block ×5, first 2 shown]
	ds_load_u16 v104, v163 offset:5632
	ds_load_u16_d16_hi v105, v163 offset:6160
	ds_load_u16_d16_hi v107, v163 offset:6864
	;; [unrolled: 1-line block ×9, first 2 shown]
	ds_load_u16 v96, v163 offset:128
	ds_load_u16_d16_hi v89, v163 offset:528
	ds_load_u16_d16_hi v88, v163 offset:176
	;; [unrolled: 1-line block ×7, first 2 shown]
	v_mul_f32_e32 v27, v27, v179
	ds_load_u16_d16_hi v128, v163 offset:1680
	v_mul_f32_e32 v32, v32, v179
	v_mul_f32_e32 v33, v33, v179
	;; [unrolled: 1-line block ×10, first 2 shown]
	s_waitcnt lgkmcnt(8)
	ds_load_u16_d16_hi v96, v163 offset:304
	v_mul_f32_e32 v26, v26, v179
	v_mul_f32_e32 v28, v28, v179
	;; [unrolled: 1-line block ×29, first 2 shown]
	s_waitcnt lgkmcnt(7)
	v_wmma_f32_16x16x16_f16 v[32:39], v[88:95], v[80:87], v[32:39]
	s_waitcnt lgkmcnt(6)
	v_wmma_f32_16x16x16_f16 v[24:31], v[199:206], v[80:87], v[24:31]
	;; [unrolled: 2-line block ×5, first 2 shown]
	v_sub_f32_e32 v80, v222, v213
	ds_load_u16_d16_hi v104, v163 offset:5808
	ds_load_u16_d16_hi v106, v163 offset:6512
	;; [unrolled: 1-line block ×7, first 2 shown]
	ds_load_u16 v171, v165 offset:704
	ds_load_u16_d16_hi v169, v246 offset:5808
	s_waitcnt lgkmcnt(1)
	ds_load_u16_d16_hi v171, v246 offset:6512
	ds_load_u16_d16_hi v173, v246 offset:7216
	v_mul_f32_e32 v81, 0x3fb8aa3b, v80
	v_cmp_ngt_f32_e64 s7, 0xc2ce8ed0, v80
	ds_load_u16 v232, v166 offset:704
	ds_load_u16_d16_hi v230, v247 offset:5808
	s_waitcnt lgkmcnt(1)
	ds_load_u16_d16_hi v232, v247 offset:6512
	ds_load_u16_d16_hi v234, v247 offset:7216
	v_fma_f32 v82, 0x3fb8aa3b, v80, -v81
	v_rndne_f32_e32 v83, v81
	s_delay_alu instid0(VALU_DEP_1) | instskip(SKIP_1) | instid1(VALU_DEP_2)
	v_dual_fmac_f32 v82, 0x32a5705f, v80 :: v_dual_sub_f32 v81, v81, v83
	v_cvt_i32_f32_e32 v83, v83
	v_dual_add_f32 v81, v81, v82 :: v_dual_sub_f32 v82, v183, v213
	s_delay_alu instid0(VALU_DEP_1) | instskip(NEXT) | instid1(VALU_DEP_1)
	v_exp_f32_e32 v81, v81
	v_mul_f32_e32 v84, 0x3fb8aa3b, v82
	v_cmp_ngt_f32_e64 s8, 0xc2ce8ed0, v82
	s_delay_alu instid0(VALU_DEP_2)
	v_fma_f32 v85, 0x3fb8aa3b, v82, -v84
	v_rndne_f32_e32 v86, v84
	s_waitcnt_depctr 0xfff
	v_ldexp_f32 v81, v81, v83
	v_fmac_f32_e32 v85, 0x32a5705f, v82
	v_sub_f32_e32 v84, v84, v86
	v_cvt_i32_f32_e32 v83, v86
	s_delay_alu instid0(VALU_DEP_4) | instskip(SKIP_1) | instid1(VALU_DEP_4)
	v_cndmask_b32_e64 v81, 0, v81, s7
	v_cmp_nlt_f32_e64 s7, 0x42b17218, v80
	v_add_f32_e32 v84, v84, v85
	s_delay_alu instid0(VALU_DEP_2) | instskip(NEXT) | instid1(VALU_DEP_2)
	v_cndmask_b32_e64 v97, 0x7f800000, v81, s7
	v_exp_f32_e32 v84, v84
	s_waitcnt_depctr 0xfff
	v_ldexp_f32 v83, v84, v83
	s_delay_alu instid0(VALU_DEP_1)
	v_cndmask_b32_e64 v80, 0, v83, s8
	v_cmp_nlt_f32_e64 s8, 0x42b17218, v82
	ds_bpermute_b32 v82, v123, v97
	v_cndmask_b32_e64 v96, 0x7f800000, v80, s8
	ds_bpermute_b32 v80, v123, v96
	s_waitcnt lgkmcnt(0)
	v_cndmask_b32_e32 v81, v96, v80, vcc_lo
	v_cndmask_b32_e64 v80, v96, v80, s4
	s_delay_alu instid0(VALU_DEP_2) | instskip(NEXT) | instid1(VALU_DEP_2)
	v_cndmask_b32_e64 v84, v81, v97, s5
	v_cndmask_b32_e64 v83, v80, v97, s6
	v_cvt_f16_f32_e32 v80, v80
	v_cvt_f16_f32_e32 v81, v81
	s_delay_alu instid0(VALU_DEP_3) | instskip(SKIP_1) | instid1(VALU_DEP_3)
	v_cndmask_b32_e64 v83, v83, v82, s4
	v_cndmask_b32_e32 v82, v84, v82, vcc_lo
	v_pack_b32_f16 v80, v80, v81
	s_delay_alu instid0(VALU_DEP_3) | instskip(NEXT) | instid1(VALU_DEP_3)
	v_cvt_f16_f32_e32 v84, v83
	v_cvt_f16_f32_e32 v85, v82
	s_delay_alu instid0(VALU_DEP_1) | instskip(SKIP_1) | instid1(VALU_DEP_1)
	v_pack_b32_f16 v81, v84, v85
	v_sub_f32_e32 v84, v182, v213
	v_mul_f32_e32 v85, 0x3fb8aa3b, v84
	v_cmp_ngt_f32_e64 s7, 0xc2ce8ed0, v84
	s_delay_alu instid0(VALU_DEP_2) | instskip(SKIP_1) | instid1(VALU_DEP_1)
	v_fma_f32 v86, 0x3fb8aa3b, v84, -v85
	v_rndne_f32_e32 v87, v85
	v_dual_fmac_f32 v86, 0x32a5705f, v84 :: v_dual_sub_f32 v85, v85, v87
	s_delay_alu instid0(VALU_DEP_1) | instskip(SKIP_1) | instid1(VALU_DEP_2)
	v_add_f32_e32 v85, v85, v86
	v_cvt_i32_f32_e32 v86, v87
	v_exp_f32_e32 v85, v85
	s_waitcnt_depctr 0xfff
	v_ldexp_f32 v85, v85, v86
	s_delay_alu instid0(VALU_DEP_1) | instskip(SKIP_1) | instid1(VALU_DEP_1)
	v_cndmask_b32_e64 v85, 0, v85, s7
	v_cmp_nlt_f32_e64 s7, 0x42b17218, v84
	v_cndmask_b32_e64 v98, 0x7f800000, v85, s7
	ds_bpermute_b32 v84, v123, v98
	v_cndmask_b32_e64 v83, v83, v98, s6
	v_cndmask_b32_e64 v82, v82, v98, s5
	s_waitcnt lgkmcnt(0)
	s_delay_alu instid0(VALU_DEP_2) | instskip(NEXT) | instid1(VALU_DEP_2)
	v_cndmask_b32_e64 v83, v83, v84, s4
	v_cndmask_b32_e32 v84, v82, v84, vcc_lo
	s_delay_alu instid0(VALU_DEP_2) | instskip(NEXT) | instid1(VALU_DEP_2)
	v_cvt_f16_f32_e32 v82, v83
	v_cvt_f16_f32_e32 v85, v84
	s_delay_alu instid0(VALU_DEP_1) | instskip(SKIP_1) | instid1(VALU_DEP_1)
	v_pack_b32_f16 v82, v82, v85
	v_sub_f32_e32 v85, v181, v213
	v_mul_f32_e32 v86, 0x3fb8aa3b, v85
	v_cmp_ngt_f32_e64 s7, 0xc2ce8ed0, v85
	s_delay_alu instid0(VALU_DEP_2) | instskip(SKIP_1) | instid1(VALU_DEP_1)
	v_fma_f32 v87, 0x3fb8aa3b, v85, -v86
	v_rndne_f32_e32 v88, v86
	v_dual_fmac_f32 v87, 0x32a5705f, v85 :: v_dual_sub_f32 v86, v86, v88
	s_delay_alu instid0(VALU_DEP_1) | instskip(SKIP_1) | instid1(VALU_DEP_2)
	v_add_f32_e32 v86, v86, v87
	v_cvt_i32_f32_e32 v87, v88
	v_exp_f32_e32 v86, v86
	s_waitcnt_depctr 0xfff
	v_ldexp_f32 v86, v86, v87
	s_delay_alu instid0(VALU_DEP_1) | instskip(SKIP_1) | instid1(VALU_DEP_1)
	v_cndmask_b32_e64 v86, 0, v86, s7
	v_cmp_nlt_f32_e64 s7, 0x42b17218, v85
	v_cndmask_b32_e64 v99, 0x7f800000, v86, s7
	ds_bpermute_b32 v85, v123, v99
	v_cndmask_b32_e64 v83, v83, v99, s6
	v_cndmask_b32_e64 v84, v84, v99, s5
	s_waitcnt lgkmcnt(0)
	s_delay_alu instid0(VALU_DEP_2) | instskip(NEXT) | instid1(VALU_DEP_2)
	v_cndmask_b32_e64 v86, v83, v85, s4
	v_cndmask_b32_e32 v84, v84, v85, vcc_lo
	s_delay_alu instid0(VALU_DEP_2) | instskip(NEXT) | instid1(VALU_DEP_2)
	v_cvt_f16_f32_e32 v83, v86
	v_cvt_f16_f32_e32 v85, v84
	s_delay_alu instid0(VALU_DEP_1) | instskip(SKIP_1) | instid1(VALU_DEP_1)
	v_pack_b32_f16 v83, v83, v85
	v_sub_f32_e32 v85, v121, v213
	v_mul_f32_e32 v87, 0x3fb8aa3b, v85
	v_cmp_ngt_f32_e64 s7, 0xc2ce8ed0, v85
	s_delay_alu instid0(VALU_DEP_2) | instskip(SKIP_1) | instid1(VALU_DEP_2)
	v_fma_f32 v88, 0x3fb8aa3b, v85, -v87
	v_rndne_f32_e32 v89, v87
	v_fmac_f32_e32 v88, 0x32a5705f, v85
	s_delay_alu instid0(VALU_DEP_2) | instskip(NEXT) | instid1(VALU_DEP_1)
	v_sub_f32_e32 v87, v87, v89
	v_add_f32_e32 v87, v87, v88
	v_cvt_i32_f32_e32 v88, v89
	s_delay_alu instid0(VALU_DEP_2) | instskip(SKIP_2) | instid1(VALU_DEP_1)
	v_exp_f32_e32 v87, v87
	s_waitcnt_depctr 0xfff
	v_ldexp_f32 v87, v87, v88
	v_cndmask_b32_e64 v87, 0, v87, s7
	v_cmp_nlt_f32_e64 s7, 0x42b17218, v85
	s_delay_alu instid0(VALU_DEP_1) | instskip(NEXT) | instid1(VALU_DEP_1)
	v_cndmask_b32_e64 v100, 0x7f800000, v87, s7
	v_cndmask_b32_e64 v85, v86, v100, s6
	ds_bpermute_b32 v86, v123, v100
	v_cndmask_b32_e64 v84, v84, v100, s5
	s_waitcnt lgkmcnt(0)
	v_cndmask_b32_e64 v85, v85, v86, s4
	s_delay_alu instid0(VALU_DEP_2) | instskip(NEXT) | instid1(VALU_DEP_2)
	v_cndmask_b32_e32 v86, v84, v86, vcc_lo
	v_cvt_f16_f32_e32 v84, v85
	s_delay_alu instid0(VALU_DEP_2) | instskip(NEXT) | instid1(VALU_DEP_1)
	v_cvt_f16_f32_e32 v87, v86
	v_pack_b32_f16 v84, v84, v87
	v_sub_f32_e32 v87, v145, v213
	s_delay_alu instid0(VALU_DEP_1) | instskip(SKIP_1) | instid1(VALU_DEP_2)
	v_mul_f32_e32 v88, 0x3fb8aa3b, v87
	v_cmp_ngt_f32_e64 s7, 0xc2ce8ed0, v87
	v_fma_f32 v89, 0x3fb8aa3b, v87, -v88
	v_rndne_f32_e32 v90, v88
	s_delay_alu instid0(VALU_DEP_1) | instskip(NEXT) | instid1(VALU_DEP_1)
	v_dual_fmac_f32 v89, 0x32a5705f, v87 :: v_dual_sub_f32 v88, v88, v90
	v_add_f32_e32 v88, v88, v89
	v_cvt_i32_f32_e32 v89, v90
	s_delay_alu instid0(VALU_DEP_2) | instskip(SKIP_2) | instid1(VALU_DEP_1)
	v_exp_f32_e32 v88, v88
	s_waitcnt_depctr 0xfff
	v_ldexp_f32 v88, v88, v89
	v_cndmask_b32_e64 v88, 0, v88, s7
	v_cmp_nlt_f32_e64 s7, 0x42b17218, v87
	s_delay_alu instid0(VALU_DEP_1) | instskip(SKIP_4) | instid1(VALU_DEP_2)
	v_cndmask_b32_e64 v101, 0x7f800000, v88, s7
	ds_bpermute_b32 v87, v123, v101
	v_cndmask_b32_e64 v85, v85, v101, s6
	v_cndmask_b32_e64 v86, v86, v101, s5
	s_waitcnt lgkmcnt(0)
	v_cndmask_b32_e64 v88, v85, v87, s4
	s_delay_alu instid0(VALU_DEP_2) | instskip(NEXT) | instid1(VALU_DEP_2)
	v_cndmask_b32_e32 v86, v86, v87, vcc_lo
	v_cvt_f16_f32_e32 v85, v88
	s_delay_alu instid0(VALU_DEP_2) | instskip(NEXT) | instid1(VALU_DEP_1)
	v_cvt_f16_f32_e32 v87, v86
	v_pack_b32_f16 v85, v85, v87
	v_sub_f32_e32 v87, v211, v213
	s_delay_alu instid0(VALU_DEP_1) | instskip(SKIP_1) | instid1(VALU_DEP_2)
	v_mul_f32_e32 v89, 0x3fb8aa3b, v87
	v_cmp_ngt_f32_e64 s7, 0xc2ce8ed0, v87
	v_fma_f32 v90, 0x3fb8aa3b, v87, -v89
	v_rndne_f32_e32 v91, v89
	s_delay_alu instid0(VALU_DEP_2) | instskip(NEXT) | instid1(VALU_DEP_2)
	v_fmac_f32_e32 v90, 0x32a5705f, v87
	v_sub_f32_e32 v89, v89, v91
	s_delay_alu instid0(VALU_DEP_1) | instskip(SKIP_1) | instid1(VALU_DEP_2)
	v_add_f32_e32 v89, v89, v90
	v_cvt_i32_f32_e32 v90, v91
	v_exp_f32_e32 v89, v89
	s_waitcnt_depctr 0xfff
	v_ldexp_f32 v89, v89, v90
	s_delay_alu instid0(VALU_DEP_1) | instskip(SKIP_1) | instid1(VALU_DEP_1)
	v_cndmask_b32_e64 v89, 0, v89, s7
	v_cmp_nlt_f32_e64 s7, 0x42b17218, v87
	v_cndmask_b32_e64 v102, 0x7f800000, v89, s7
	s_delay_alu instid0(VALU_DEP_1) | instskip(SKIP_4) | instid1(VALU_DEP_2)
	v_cndmask_b32_e64 v87, v88, v102, s6
	ds_bpermute_b32 v88, v123, v102
	v_cndmask_b32_e64 v86, v86, v102, s5
	s_waitcnt lgkmcnt(0)
	v_cndmask_b32_e64 v87, v87, v88, s4
	v_cndmask_b32_e32 v88, v86, v88, vcc_lo
	s_delay_alu instid0(VALU_DEP_2) | instskip(NEXT) | instid1(VALU_DEP_2)
	v_cvt_f16_f32_e32 v86, v87
	v_cvt_f16_f32_e32 v89, v88
	s_delay_alu instid0(VALU_DEP_1) | instskip(SKIP_1) | instid1(VALU_DEP_1)
	v_pack_b32_f16 v86, v86, v89
	v_sub_f32_e32 v89, v227, v213
	v_mul_f32_e32 v90, 0x3fb8aa3b, v89
	v_cmp_ngt_f32_e64 s7, 0xc2ce8ed0, v89
	s_delay_alu instid0(VALU_DEP_2) | instskip(SKIP_1) | instid1(VALU_DEP_1)
	v_fma_f32 v91, 0x3fb8aa3b, v89, -v90
	v_rndne_f32_e32 v92, v90
	v_dual_fmac_f32 v91, 0x32a5705f, v89 :: v_dual_sub_f32 v90, v90, v92
	s_delay_alu instid0(VALU_DEP_1) | instskip(SKIP_1) | instid1(VALU_DEP_2)
	v_add_f32_e32 v90, v90, v91
	v_cvt_i32_f32_e32 v91, v92
	v_exp_f32_e32 v90, v90
	s_waitcnt_depctr 0xfff
	v_ldexp_f32 v90, v90, v91
	s_delay_alu instid0(VALU_DEP_1) | instskip(SKIP_1) | instid1(VALU_DEP_1)
	v_cndmask_b32_e64 v90, 0, v90, s7
	v_cmp_nlt_f32_e64 s7, 0x42b17218, v89
	v_cndmask_b32_e64 v103, 0x7f800000, v90, s7
	ds_bpermute_b32 v89, v123, v103
	v_cndmask_b32_e64 v87, v87, v103, s6
	v_cndmask_b32_e64 v88, v88, v103, s5
	s_waitcnt lgkmcnt(0)
	s_delay_alu instid0(VALU_DEP_2) | instskip(NEXT) | instid1(VALU_DEP_2)
	v_cndmask_b32_e64 v87, v87, v89, s4
	v_cndmask_b32_e32 v88, v88, v89, vcc_lo
	v_add_co_u32 v139, vcc_lo, 0x80, v139
	v_add_co_ci_u32_e32 v140, vcc_lo, 0, v140, vcc_lo
	s_delay_alu instid0(VALU_DEP_4) | instskip(NEXT) | instid1(VALU_DEP_4)
	v_cvt_f16_f32_e32 v87, v87
	v_cvt_f16_f32_e32 v88, v88
	v_add_co_u32 v141, vcc_lo, 0x80, v141
	v_add_co_ci_u32_e32 v142, vcc_lo, 0, v142, vcc_lo
	s_delay_alu instid0(VALU_DEP_3)
	v_pack_b32_f16 v87, v87, v88
	ds_load_u16 v89, v167 offset:352
	ds_load_u16 v91, v167 offset:1056
	;; [unrolled: 1-line block ×8, first 2 shown]
	s_waitcnt lgkmcnt(7)
	ds_load_u16_d16_hi v89, v248 offset:6160
	s_waitcnt lgkmcnt(7)
	ds_load_u16_d16_hi v91, v248 offset:6864
	;; [unrolled: 2-line block ×8, first 2 shown]
	v_wmma_f32_16x16x16_f16 v[32:39], v[104:111], v[80:87], v[32:39]
	v_wmma_f32_16x16x16_f16 v[24:31], v[112:119], v[80:87], v[24:31]
	;; [unrolled: 1-line block ×4, first 2 shown]
	v_add_co_u32 v191, vcc_lo, v191, s68
	v_add_co_ci_u32_e32 v192, vcc_lo, s69, v192, vcc_lo
	v_add_co_u32 v193, vcc_lo, v193, s68
	v_add_co_ci_u32_e32 v189, vcc_lo, s69, v189, vcc_lo
	;; [unrolled: 2-line block ×4, first 2 shown]
	s_waitcnt lgkmcnt(0)
	v_wmma_f32_16x16x16_f16 v[0:7], v[88:95], v[80:87], v[0:7]
	v_add_f32_e32 v80, v223, v224
	v_add_co_u32 v137, vcc_lo, v137, s70
	v_add_co_ci_u32_e32 v138, vcc_lo, s71, v138, vcc_lo
	s_delay_alu instid0(VALU_DEP_3) | instskip(SKIP_2) | instid1(VALU_DEP_3)
	v_add_f32_e32 v80, v149, v80
	v_add_co_u32 v187, vcc_lo, v187, s70
	v_add_co_ci_u32_e32 v188, vcc_lo, s71, v188, vcc_lo
	v_add_f32_e32 v80, v150, v80
	v_add_co_u32 v228, vcc_lo, v228, s70
	v_add_co_ci_u32_e32 v229, vcc_lo, s71, v229, vcc_lo
	s_delay_alu instid0(VALU_DEP_3) | instskip(SKIP_2) | instid1(VALU_DEP_3)
	v_add_f32_e32 v80, v151, v80
	v_add_co_u32 v184, vcc_lo, v184, s70
	v_add_co_ci_u32_e32 v185, vcc_lo, s71, v185, vcc_lo
	v_dual_add_f32 v80, v152, v80 :: v_dual_mov_b32 v81, v198
	v_add_co_u32 v225, vcc_lo, v225, s70
	v_add_co_ci_u32_e32 v226, vcc_lo, s71, v226, vcc_lo
	s_delay_alu instid0(VALU_DEP_3) | instskip(SKIP_2) | instid1(VALU_DEP_3)
	v_add_f32_e32 v80, v153, v80
	v_add_co_u32 v134, vcc_lo, v134, s68
	v_add_co_ci_u32_e32 v135, vcc_lo, s69, v135, vcc_lo
	v_add_f32_e32 v80, v154, v80
	s_barrier
	buffer_gl0_inv
	v_add_f32_e32 v80, v96, v80
	s_delay_alu instid0(VALU_DEP_1) | instskip(NEXT) | instid1(VALU_DEP_1)
	v_add_f32_e32 v80, v97, v80
	v_add_f32_e32 v80, v98, v80
	s_delay_alu instid0(VALU_DEP_1) | instskip(NEXT) | instid1(VALU_DEP_1)
	v_add_f32_e32 v80, v99, v80
	;; [unrolled: 3-line block ×4, first 2 shown]
	v_fmac_f32_e32 v198, v81, v179
	s_cbranch_scc1 .LBB9_215
; %bb.216:                              ;   in Loop: Header=BB9_13 Depth=1
	s_clause 0x1a
	scratch_load_b32 v235, off, off offset:128
	scratch_load_b64 v[236:237], off, off offset:120
	scratch_load_b32 v129, off, off offset:156
	scratch_load_b32 v179, off, off offset:160
	;; [unrolled: 1-line block ×10, first 2 shown]
	scratch_load_b64 v[124:125], off, off
	scratch_load_b64 v[115:116], off, off offset:28
	scratch_load_b64 v[116:117], off, off offset:36
	scratch_load_b32 v117, off, off offset:44
	scratch_load_b32 v119, off, off offset:52
	;; [unrolled: 1-line block ×8, first 2 shown]
	scratch_load_b64 v[183:184], off, off offset:84
	scratch_load_b32 v185, off, off offset:92
	scratch_load_b64 v[86:87], off, off offset:96
	scratch_load_b64 v[80:81], off, off offset:104
	v_mov_b32_e32 v118, 0
.LBB9_217:                              ;   in Loop: Header=BB9_13 Depth=1
	s_lshl_b32 s64, s61, 6
	s_waitcnt vmcnt(11)
	v_dual_mov_b32 v103, s43 :: v_dual_lshlrev_b32 v82, 1, v117
	s_lshl_b64 s[4:5], s[64:65], 1
	s_waitcnt vmcnt(0)
	v_lshlrev_b64 v[80:81], 1, v[80:81]
	s_add_u32 s4, s101, s4
	s_addc_u32 s5, s102, s5
	v_add_co_u32 v84, s4, s4, v82
	s_delay_alu instid0(VALU_DEP_1) | instskip(SKIP_1) | instid1(VALU_DEP_3)
	v_add_co_ci_u32_e64 v85, null, s5, 0, s4
	v_lshlrev_b64 v[82:83], 1, v[86:87]
	v_add_co_u32 v80, vcc_lo, v84, v80
	s_delay_alu instid0(VALU_DEP_3) | instskip(SKIP_1) | instid1(VALU_DEP_3)
	v_add_co_ci_u32_e32 v81, vcc_lo, v85, v81, vcc_lo
	s_mul_i32 s5, s13, s64
	v_add_co_u32 v82, vcc_lo, v84, v82
	s_delay_alu instid0(VALU_DEP_4)
	v_add_co_ci_u32_e32 v83, vcc_lo, v85, v83, vcc_lo
	s_clause 0x1
	global_load_b32 v80, v[80:81], off
	global_load_b32 v81, v[82:83], off
	v_dual_mov_b32 v101, s41 :: v_dual_add_nc_u32 v82, v136, v238
	s_mul_hi_u32 s6, s12, s64
	s_mul_i32 s4, s12, s64
	s_add_i32 s5, s6, s5
	s_delay_alu instid0(VALU_DEP_1)
	v_dual_mov_b32 v99, s39 :: v_dual_add_nc_u32 v82, 0x2c00, v82
	s_lshl_b64 s[4:5], s[4:5], 2
	v_dual_mov_b32 v97, s37 :: v_dual_add_nc_u32 v112, v120, v159
	s_add_u32 s4, s99, s4
	s_addc_u32 s5, s100, s5
	v_mov_b32_e32 v102, s42
	v_mov_b32_e32 v100, s40
	;; [unrolled: 1-line block ×4, first 2 shown]
	s_mul_hi_u32 s6, s10, s64
	s_waitcnt vmcnt(0)
	ds_store_2addr_b32 v82, v80, v81 offset1:144
	v_add_co_u32 v80, vcc_lo, s4, v157
	v_add_co_ci_u32_e32 v81, vcc_lo, s5, v158, vcc_lo
	s_delay_alu instid0(VALU_DEP_2) | instskip(NEXT) | instid1(VALU_DEP_2)
	v_add_co_u32 v80, vcc_lo, v80, v180
	v_add_co_ci_u32_e32 v81, vcc_lo, 0, v81, vcc_lo
	v_add_co_u32 v82, vcc_lo, s4, v253
	v_add_co_ci_u32_e32 v83, vcc_lo, s5, v254, vcc_lo
	s_delay_alu instid0(VALU_DEP_2) | instskip(NEXT) | instid1(VALU_DEP_2)
	v_add_co_u32 v84, vcc_lo, v82, v207
	v_add_co_ci_u32_e32 v85, vcc_lo, 0, v83, vcc_lo
	s_clause 0x1
	global_load_b128 v[80:83], v[80:81], off offset:128
	global_load_b128 v[84:87], v[84:85], off
	s_waitcnt vmcnt(1)
	ds_store_b128 v161, v[80:83]
	v_add_co_u32 v80, vcc_lo, s4, v143
	v_add_co_ci_u32_e32 v81, vcc_lo, s5, v144, vcc_lo
	s_delay_alu instid0(VALU_DEP_2) | instskip(NEXT) | instid1(VALU_DEP_2)
	v_add_co_u32 v80, vcc_lo, v80, v207
	v_add_co_ci_u32_e32 v81, vcc_lo, 0, v81, vcc_lo
	v_add_co_u32 v82, vcc_lo, s4, v177
	v_add_co_ci_u32_e32 v83, vcc_lo, s5, v178, vcc_lo
	s_delay_alu instid0(VALU_DEP_2) | instskip(NEXT) | instid1(VALU_DEP_2)
	v_add_co_u32 v88, vcc_lo, v82, v207
	v_add_co_ci_u32_e32 v89, vcc_lo, 0, v83, vcc_lo
	s_clause 0x1
	global_load_b128 v[80:83], v[80:81], off
	global_load_b128 v[88:91], v[88:89], off
	s_waitcnt vmcnt(2)
	ds_store_b128 v146, v[84:87]
	s_waitcnt vmcnt(1)
	ds_store_b128 v240, v[80:83]
	v_add_co_u32 v80, vcc_lo, s4, v196
	v_add_co_ci_u32_e32 v81, vcc_lo, s5, v197, vcc_lo
	s_mul_i32 s5, s11, s64
	s_delay_alu instid0(VALU_DEP_2) | instskip(NEXT) | instid1(VALU_DEP_2)
	v_add_co_u32 v80, vcc_lo, v80, v207
	v_add_co_ci_u32_e32 v81, vcc_lo, 0, v81, vcc_lo
	v_cmp_lt_i32_e32 vcc_lo, v132, v133
	s_mul_i32 s4, s10, s64
	s_add_i32 s5, s6, s5
	global_load_b128 v[80:83], v[80:81], off
	s_lshl_b64 s[4:5], s[4:5], 2
	v_cmp_eq_u32_e64 s6, 1, v160
	s_add_u32 s4, s97, s4
	s_addc_u32 s5, s98, s5
	s_cmp_lg_u64 s[72:73], 0
	s_waitcnt vmcnt(1)
	ds_store_b128 v241, v[88:91]
	s_waitcnt vmcnt(0)
	ds_store_b128 v242, v[80:83]
	s_waitcnt lgkmcnt(0)
	s_barrier
	buffer_gl0_inv
	ds_load_b128 v[80:83], v112
	ds_load_b128 v[84:87], v112 offset:16
	ds_load_b128 v[88:91], v112 offset:5632
	;; [unrolled: 1-line block ×3, first 2 shown]
	s_waitcnt lgkmcnt(2)
	v_wmma_f32_16x16x16_f16 v[104:111], v[80:87], v[48:55], v[96:103]
	s_waitcnt lgkmcnt(0)
	v_wmma_f32_16x16x16_f16 v[80:87], v[88:95], v[48:55], v[96:103]
	ds_load_b128 v[48:51], v112 offset:32
	ds_load_b128 v[52:55], v112 offset:48
	s_waitcnt lgkmcnt(0)
	v_wmma_f32_16x16x16_f16 v[104:111], v[48:55], v[40:47], v[104:111]
	ds_load_b128 v[48:51], v112 offset:5664
	ds_load_b128 v[52:55], v112 offset:5680
	s_waitcnt lgkmcnt(0)
	v_wmma_f32_16x16x16_f16 v[80:87], v[48:55], v[40:47], v[80:87]
	ds_load_b128 v[40:43], v112 offset:64
	ds_load_b128 v[44:47], v112 offset:80
	s_waitcnt lgkmcnt(0)
	v_wmma_f32_16x16x16_f16 v[104:111], v[40:47], v[56:63], v[104:111]
	ds_load_b128 v[40:43], v112 offset:5696
	ds_load_b128 v[44:47], v112 offset:5712
	s_waitcnt lgkmcnt(0)
	v_wmma_f32_16x16x16_f16 v[80:87], v[40:47], v[56:63], v[80:87]
	ds_load_b128 v[40:43], v112 offset:96
	ds_load_b128 v[44:47], v112 offset:112
	s_waitcnt lgkmcnt(0)
	v_wmma_f32_16x16x16_f16 v[104:111], v[40:47], v[64:71], v[104:111]
	ds_load_b128 v[40:43], v112 offset:5728
	ds_load_b128 v[44:47], v112 offset:5744
	s_waitcnt lgkmcnt(0)
	v_wmma_f32_16x16x16_f16 v[80:87], v[40:47], v[64:71], v[80:87]
	ds_load_b128 v[40:43], v112 offset:128
	ds_load_b128 v[44:47], v112 offset:144
	s_waitcnt lgkmcnt(0)
	v_wmma_f32_16x16x16_f16 v[104:111], v[40:47], v[72:79], v[104:111]
	ds_load_b128 v[40:43], v112 offset:5760
	ds_load_b128 v[44:47], v112 offset:5776
	s_waitcnt lgkmcnt(0)
	s_barrier
	buffer_gl0_inv
	v_wmma_f32_16x16x16_f16 v[80:87], v[40:47], v[72:79], v[80:87]
	ds_load_u16 v40, v162 offset:11264
	ds_load_u16 v41, v162 offset:11268
	;; [unrolled: 1-line block ×16, first 2 shown]
	s_waitcnt lgkmcnt(15)
	v_cvt_f32_f16_e32 v40, v40
	s_waitcnt lgkmcnt(14)
	v_cvt_f32_f16_e32 v41, v41
	;; [unrolled: 2-line block ×6, first 2 shown]
	v_cvt_f32_f16_e32 v46, v46
	v_add_f32_e32 v41, v105, v41
	s_waitcnt lgkmcnt(6)
	v_cvt_f32_f16_e32 v49, v49
	v_add_f32_e32 v40, v104, v40
	s_waitcnt lgkmcnt(5)
	v_cvt_f32_f16_e32 v50, v50
	v_cvt_f32_f16_e32 v45, v45
	v_add_f32_e32 v43, v107, v43
	v_dual_add_f32 v65, v81, v49 :: v_dual_add_f32 v44, v108, v44
	s_delay_alu instid0(VALU_DEP_4)
	v_add_f32_e32 v63, v82, v50
	v_dual_add_f32 v46, v110, v46 :: v_dual_add_f32 v49, 0x40051340, v41
	s_waitcnt lgkmcnt(4)
	v_cvt_f32_f16_e32 v51, v51
	s_waitcnt lgkmcnt(3)
	v_cvt_f32_f16_e32 v52, v52
	v_add_f32_e32 v42, v106, v42
	s_waitcnt lgkmcnt(1)
	v_cvt_f32_f16_e32 v54, v54
	v_add_f32_e32 v64, v80, v48
	v_add_f32_e32 v48, 0x40051340, v40
	v_cvt_f32_f16_e32 v47, v47
	v_add_f32_e32 v45, v109, v45
	v_cvt_f32_f16_e32 v53, v53
	v_dual_add_f32 v61, v84, v52 :: v_dual_add_f32 v62, v83, v51
	v_add_f32_e32 v59, v86, v54
	v_max3_f32 v48, v213, v48, v49
	v_dual_add_f32 v49, 0x40051340, v42 :: v_dual_add_f32 v50, 0x40051340, v43
	v_add_f32_e32 v47, v111, v47
	s_waitcnt lgkmcnt(0)
	v_cvt_f32_f16_e32 v55, v55
	v_add_f32_e32 v60, v85, v53
	v_max3_f32 v48, v48, v49, v50
	v_dual_add_f32 v49, 0x40051340, v44 :: v_dual_add_f32 v50, 0x40051340, v45
	s_delay_alu instid0(VALU_DEP_4) | instskip(NEXT) | instid1(VALU_DEP_2)
	v_add_f32_e32 v58, v87, v55
	v_max3_f32 v48, v48, v49, v50
	v_dual_add_f32 v49, 0x40051340, v46 :: v_dual_add_f32 v50, 0x40051340, v47
	s_delay_alu instid0(VALU_DEP_1) | instskip(SKIP_1) | instid1(VALU_DEP_1)
	v_max3_f32 v48, v48, v49, v50
	v_dual_add_f32 v49, 0x40051340, v64 :: v_dual_add_f32 v50, 0x40051340, v65
	v_max3_f32 v48, v48, v49, v50
	v_dual_add_f32 v49, 0x40051340, v63 :: v_dual_add_f32 v50, 0x40051340, v62
	s_delay_alu instid0(VALU_DEP_1) | instskip(SKIP_1) | instid1(VALU_DEP_1)
	v_max3_f32 v48, v48, v49, v50
	v_dual_add_f32 v49, 0x40051340, v61 :: v_dual_add_f32 v50, 0x40051340, v60
	v_max3_f32 v48, v48, v49, v50
	v_dual_add_f32 v49, 0x40051340, v59 :: v_dual_add_f32 v50, 0x40051340, v58
	s_delay_alu instid0(VALU_DEP_1) | instskip(SKIP_1) | instid1(VALU_DEP_1)
	v_max3_f32 v48, v48, v49, v50
	v_cndmask_b32_e32 v49, v185, v132, vcc_lo
	v_lshlrev_b32_e32 v56, 2, v49
	ds_bpermute_b32 v49, v56, v48
	s_waitcnt lgkmcnt(0)
	v_max_f32_e32 v49, v49, v49
	s_delay_alu instid0(VALU_DEP_1) | instskip(NEXT) | instid1(VALU_DEP_1)
	v_max_f32_e32 v57, v48, v49
	v_sub_f32_e32 v48, v213, v57
	v_sub_f32_e32 v41, v41, v57
	;; [unrolled: 1-line block ×5, first 2 shown]
	v_mul_f32_e32 v49, 0x3fb8aa3b, v48
	v_cmp_ngt_f32_e32 vcc_lo, 0xc2ce8ed0, v48
	v_sub_f32_e32 v44, v44, v57
	v_sub_f32_e32 v45, v45, v57
	;; [unrolled: 1-line block ×3, first 2 shown]
	v_fma_f32 v50, 0x3fb8aa3b, v48, -v49
	v_rndne_f32_e32 v51, v49
	v_cmp_ngt_f32_e64 s7, 0xc2ce8ed0, v42
	s_delay_alu instid0(VALU_DEP_3) | instskip(NEXT) | instid1(VALU_DEP_3)
	v_dual_sub_f32 v47, v47, v57 :: v_dual_fmac_f32 v50, 0x32a5705f, v48
	v_sub_f32_e32 v49, v49, v51
	s_delay_alu instid0(VALU_DEP_1) | instskip(SKIP_1) | instid1(VALU_DEP_2)
	v_add_f32_e32 v49, v49, v50
	v_cvt_i32_f32_e32 v50, v51
	v_exp_f32_e32 v49, v49
	s_waitcnt_depctr 0xfff
	v_ldexp_f32 v49, v49, v50
	s_delay_alu instid0(VALU_DEP_1) | instskip(SKIP_1) | instid1(VALU_DEP_2)
	v_cndmask_b32_e32 v49, 0, v49, vcc_lo
	v_cmp_nlt_f32_e32 vcc_lo, 0x42b17218, v48
	v_cndmask_b32_e32 v49, 0x7f800000, v49, vcc_lo
	v_cmp_le_f32_e32 vcc_lo, 0xc1a00000, v48
	s_delay_alu instid0(VALU_DEP_2) | instskip(SKIP_2) | instid1(VALU_DEP_2)
	v_cndmask_b32_e32 v66, 0, v49, vcc_lo
	v_add_co_u32 v48, vcc_lo, s4, v124
	v_add_co_ci_u32_e32 v49, vcc_lo, s5, v125, vcc_lo
	v_add_co_u32 v48, vcc_lo, v48, v180
	s_delay_alu instid0(VALU_DEP_2) | instskip(SKIP_2) | instid1(VALU_DEP_2)
	v_add_co_ci_u32_e32 v49, vcc_lo, 0, v49, vcc_lo
	v_add_co_u32 v50, vcc_lo, s4, v209
	v_add_co_ci_u32_e32 v51, vcc_lo, s5, v210, vcc_lo
	v_add_co_u32 v52, vcc_lo, v50, v207
	s_delay_alu instid0(VALU_DEP_2)
	v_add_co_ci_u32_e32 v53, vcc_lo, 0, v51, vcc_lo
	s_clause 0x1
	global_load_b128 v[48:51], v[48:49], off offset:128
	global_load_b128 v[52:55], v[52:53], off
	s_waitcnt vmcnt(1)
	ds_store_b128 v161, v[48:51]
	v_add_co_u32 v48, vcc_lo, s4, v194
	v_add_co_ci_u32_e32 v49, vcc_lo, s5, v195, vcc_lo
	s_delay_alu instid0(VALU_DEP_2) | instskip(NEXT) | instid1(VALU_DEP_2)
	v_add_co_u32 v48, vcc_lo, v48, v207
	v_add_co_ci_u32_e32 v49, vcc_lo, 0, v49, vcc_lo
	v_add_co_u32 v50, vcc_lo, s4, v249
	v_add_co_ci_u32_e32 v51, vcc_lo, s5, v250, vcc_lo
	s_delay_alu instid0(VALU_DEP_2) | instskip(NEXT) | instid1(VALU_DEP_2)
	v_add_co_u32 v67, vcc_lo, v50, v207
	v_add_co_ci_u32_e32 v68, vcc_lo, 0, v51, vcc_lo
	s_clause 0x1
	global_load_b128 v[48:51], v[48:49], off
	global_load_b128 v[67:70], v[67:68], off
	s_waitcnt vmcnt(2)
	ds_store_b128 v146, v[52:55]
	s_waitcnt vmcnt(1)
	ds_store_b128 v240, v[48:51]
	v_add_co_u32 v48, vcc_lo, s4, v251
	v_add_co_ci_u32_e32 v49, vcc_lo, s5, v252, vcc_lo
	v_cmp_ngt_f32_e64 s4, 0xc2ce8ed0, v40
	s_delay_alu instid0(VALU_DEP_3) | instskip(NEXT) | instid1(VALU_DEP_3)
	v_add_co_u32 v48, vcc_lo, v48, v207
	v_add_co_ci_u32_e32 v49, vcc_lo, 0, v49, vcc_lo
	v_cmp_eq_u32_e64 s5, 0, v160
	global_load_b128 v[48:51], v[48:49], off
	s_waitcnt vmcnt(1)
	ds_store_b128 v241, v[67:70]
	s_waitcnt vmcnt(0)
	ds_store_b128 v242, v[48:51]
	v_mul_f32_e32 v48, 0x3fb8aa3b, v41
	s_waitcnt lgkmcnt(0)
	s_barrier
	buffer_gl0_inv
	v_fma_f32 v49, 0x3fb8aa3b, v41, -v48
	v_rndne_f32_e32 v50, v48
	s_delay_alu instid0(VALU_DEP_1) | instskip(SKIP_2) | instid1(VALU_DEP_3)
	v_dual_sub_f32 v48, v48, v50 :: v_dual_fmac_f32 v49, 0x32a5705f, v41
	v_cvt_i32_f32_e32 v50, v50
	v_cmp_ngt_f32_e32 vcc_lo, 0xc2ce8ed0, v41
	v_dual_add_f32 v48, v48, v49 :: v_dual_mul_f32 v49, 0x3fb8aa3b, v40
	v_mul_f32_e32 v27, v27, v66
	v_mul_f32_e32 v24, v24, v66
	;; [unrolled: 1-line block ×3, first 2 shown]
	s_delay_alu instid0(VALU_DEP_4)
	v_exp_f32_e32 v48, v48
	v_fma_f32 v51, 0x3fb8aa3b, v40, -v49
	v_rndne_f32_e32 v52, v49
	v_mul_f32_e32 v34, v34, v66
	v_mul_f32_e32 v36, v36, v66
	v_mul_f32_e32 v21, v21, v66
	v_fmac_f32_e32 v51, 0x32a5705f, v40
	v_dual_sub_f32 v49, v49, v52 :: v_dual_mul_f32 v38, v38, v66
	v_mul_f32_e32 v18, v18, v66
	s_delay_alu instid0(TRANS32_DEP_1) | instskip(SKIP_1) | instid1(VALU_DEP_4)
	v_ldexp_f32 v48, v48, v50
	v_cvt_i32_f32_e32 v50, v52
	v_add_f32_e32 v49, v49, v51
	v_mul_f32_e32 v33, v33, v66
	v_mul_f32_e32 v10, v10, v66
	v_cndmask_b32_e32 v48, 0, v48, vcc_lo
	v_cmp_nlt_f32_e32 vcc_lo, 0x42b17218, v41
	v_exp_f32_e32 v49, v49
	v_mul_f32_e32 v37, v37, v66
	v_mul_f32_e32 v12, v12, v66
	v_dual_mul_f32 v11, v11, v66 :: v_dual_cndmask_b32 v68, 0x7f800000, v48
	v_cmp_eq_u32_e32 vcc_lo, 1, v239
	v_mul_f32_e32 v32, v32, v66
	v_mul_f32_e32 v35, v35, v66
	;; [unrolled: 1-line block ×3, first 2 shown]
	ds_bpermute_b32 v48, v56, v68
	v_ldexp_f32 v49, v49, v50
	v_mul_f32_e32 v3, v3, v66
	v_mul_f32_e32 v5, v5, v66
	;; [unrolled: 1-line block ×3, first 2 shown]
	s_delay_alu instid0(VALU_DEP_4) | instskip(SKIP_1) | instid1(VALU_DEP_1)
	v_cndmask_b32_e64 v41, 0, v49, s4
	v_cmp_nlt_f32_e64 s4, 0x42b17218, v40
	v_cndmask_b32_e64 v67, 0x7f800000, v41, s4
	v_cmp_eq_u32_e64 s4, 0, v239
	ds_bpermute_b32 v40, v56, v67
	v_mul_f32_e32 v25, v25, v66
	s_waitcnt lgkmcnt(0)
	v_cndmask_b32_e64 v41, v67, v40, s4
	v_cndmask_b32_e32 v40, v67, v40, vcc_lo
	s_delay_alu instid0(VALU_DEP_2) | instskip(NEXT) | instid1(VALU_DEP_2)
	v_cndmask_b32_e64 v49, v41, v68, s5
	v_cndmask_b32_e64 v50, v40, v68, s6
	v_mul_f32_e32 v39, v39, v66
	v_cvt_f16_f32_e32 v41, v41
	v_cvt_f16_f32_e32 v40, v40
	v_cndmask_b32_e64 v49, v49, v48, s4
	v_cndmask_b32_e32 v48, v50, v48, vcc_lo
	s_delay_alu instid0(VALU_DEP_3) | instskip(NEXT) | instid1(VALU_DEP_3)
	v_pack_b32_f16 v40, v41, v40
	v_cvt_f16_f32_e32 v50, v49
	s_delay_alu instid0(VALU_DEP_3) | instskip(NEXT) | instid1(VALU_DEP_1)
	v_cvt_f16_f32_e32 v51, v48
	v_pack_b32_f16 v41, v50, v51
	v_mul_f32_e32 v50, 0x3fb8aa3b, v42
	s_delay_alu instid0(VALU_DEP_1) | instskip(SKIP_2) | instid1(VALU_DEP_2)
	v_fma_f32 v51, 0x3fb8aa3b, v42, -v50
	v_rndne_f32_e32 v52, v50
	v_mul_f32_e32 v29, v29, v66
	v_dual_fmac_f32 v51, 0x32a5705f, v42 :: v_dual_sub_f32 v50, v50, v52
	s_delay_alu instid0(VALU_DEP_1) | instskip(SKIP_1) | instid1(VALU_DEP_2)
	v_dual_mul_f32 v31, v31, v66 :: v_dual_add_f32 v50, v50, v51
	v_cvt_i32_f32_e32 v51, v52
	v_exp_f32_e32 v50, v50
	s_waitcnt_depctr 0xfff
	v_ldexp_f32 v50, v50, v51
	s_delay_alu instid0(VALU_DEP_1) | instskip(SKIP_1) | instid1(VALU_DEP_1)
	v_cndmask_b32_e64 v50, 0, v50, s7
	v_cmp_nlt_f32_e64 s7, 0x42b17218, v42
	v_cndmask_b32_e64 v69, 0x7f800000, v50, s7
	v_cmp_ngt_f32_e64 s7, 0xc2ce8ed0, v43
	s_delay_alu instid0(VALU_DEP_2) | instskip(SKIP_3) | instid1(VALU_DEP_1)
	v_cndmask_b32_e64 v42, v49, v69, s5
	ds_bpermute_b32 v49, v56, v69
	v_cndmask_b32_e64 v48, v48, v69, s6
	s_waitcnt lgkmcnt(0)
	v_dual_mul_f32 v17, v17, v66 :: v_dual_cndmask_b32 v48, v48, v49
	v_cndmask_b32_e64 v50, v42, v49, s4
	s_delay_alu instid0(VALU_DEP_2) | instskip(NEXT) | instid1(VALU_DEP_2)
	v_cvt_f16_f32_e32 v49, v48
	v_cvt_f16_f32_e32 v42, v50
	s_delay_alu instid0(VALU_DEP_1) | instskip(SKIP_1) | instid1(VALU_DEP_1)
	v_pack_b32_f16 v42, v42, v49
	v_mul_f32_e32 v49, 0x3fb8aa3b, v43
	v_fma_f32 v51, 0x3fb8aa3b, v43, -v49
	v_rndne_f32_e32 v52, v49
	v_mul_f32_e32 v28, v28, v66
	s_delay_alu instid0(VALU_DEP_3) | instskip(NEXT) | instid1(VALU_DEP_3)
	v_dual_mul_f32 v30, v30, v66 :: v_dual_fmac_f32 v51, 0x32a5705f, v43
	v_dual_sub_f32 v49, v49, v52 :: v_dual_mul_f32 v16, v16, v66
	s_delay_alu instid0(VALU_DEP_1) | instskip(SKIP_1) | instid1(VALU_DEP_2)
	v_add_f32_e32 v49, v49, v51
	v_cvt_i32_f32_e32 v51, v52
	v_exp_f32_e32 v49, v49
	s_waitcnt_depctr 0xfff
	v_ldexp_f32 v49, v49, v51
	s_delay_alu instid0(VALU_DEP_1) | instskip(SKIP_1) | instid1(VALU_DEP_1)
	v_cndmask_b32_e64 v49, 0, v49, s7
	v_cmp_nlt_f32_e64 s7, 0x42b17218, v43
	v_cndmask_b32_e64 v70, 0x7f800000, v49, s7
	v_cmp_ngt_f32_e64 s7, 0xc2ce8ed0, v44
	ds_bpermute_b32 v49, v56, v70
	v_cndmask_b32_e64 v43, v50, v70, s5
	v_cndmask_b32_e64 v48, v48, v70, s6
	s_waitcnt lgkmcnt(0)
	s_delay_alu instid0(VALU_DEP_1) | instskip(NEXT) | instid1(VALU_DEP_3)
	v_dual_mul_f32 v19, v19, v66 :: v_dual_cndmask_b32 v48, v48, v49
	v_cndmask_b32_e64 v50, v43, v49, s4
	s_delay_alu instid0(VALU_DEP_2) | instskip(NEXT) | instid1(VALU_DEP_2)
	v_cvt_f16_f32_e32 v49, v48
	v_cvt_f16_f32_e32 v43, v50
	s_delay_alu instid0(VALU_DEP_1) | instskip(SKIP_1) | instid1(VALU_DEP_1)
	v_pack_b32_f16 v43, v43, v49
	v_mul_f32_e32 v49, 0x3fb8aa3b, v44
	v_fma_f32 v51, 0x3fb8aa3b, v44, -v49
	v_rndne_f32_e32 v52, v49
	v_mul_f32_e32 v20, v20, v66
	s_delay_alu instid0(VALU_DEP_3) | instskip(NEXT) | instid1(VALU_DEP_3)
	v_dual_mul_f32 v22, v22, v66 :: v_dual_fmac_f32 v51, 0x32a5705f, v44
	v_dual_sub_f32 v49, v49, v52 :: v_dual_mul_f32 v8, v8, v66
	s_delay_alu instid0(VALU_DEP_1) | instskip(SKIP_1) | instid1(VALU_DEP_2)
	v_add_f32_e32 v49, v49, v51
	v_cvt_i32_f32_e32 v51, v52
	v_exp_f32_e32 v49, v49
	s_waitcnt_depctr 0xfff
	v_ldexp_f32 v49, v49, v51
	s_delay_alu instid0(VALU_DEP_1) | instskip(SKIP_1) | instid1(VALU_DEP_1)
	v_cndmask_b32_e64 v49, 0, v49, s7
	v_cmp_nlt_f32_e64 s7, 0x42b17218, v44
	v_cndmask_b32_e64 v71, 0x7f800000, v49, s7
	v_cmp_ngt_f32_e64 s7, 0xc2ce8ed0, v45
	ds_bpermute_b32 v49, v56, v71
	v_cndmask_b32_e64 v44, v50, v71, s5
	v_cndmask_b32_e64 v48, v48, v71, s6
	s_waitcnt lgkmcnt(0)
	s_delay_alu instid0(VALU_DEP_1) | instskip(NEXT) | instid1(VALU_DEP_3)
	;; [unrolled: 30-line block ×3, first 2 shown]
	v_dual_mul_f32 v9, v9, v66 :: v_dual_cndmask_b32 v48, v48, v49
	v_cndmask_b32_e64 v50, v45, v49, s4
	s_delay_alu instid0(VALU_DEP_2) | instskip(NEXT) | instid1(VALU_DEP_2)
	v_cvt_f16_f32_e32 v49, v48
	v_cvt_f16_f32_e32 v45, v50
	s_delay_alu instid0(VALU_DEP_1) | instskip(SKIP_1) | instid1(VALU_DEP_1)
	v_pack_b32_f16 v45, v45, v49
	v_mul_f32_e32 v49, 0x3fb8aa3b, v46
	v_fma_f32 v51, 0x3fb8aa3b, v46, -v49
	v_rndne_f32_e32 v52, v49
	v_mul_f32_e32 v4, v4, v66
	s_delay_alu instid0(VALU_DEP_3) | instskip(NEXT) | instid1(VALU_DEP_3)
	v_fmac_f32_e32 v51, 0x32a5705f, v46
	v_dual_sub_f32 v49, v49, v52 :: v_dual_mul_f32 v6, v6, v66
	s_delay_alu instid0(VALU_DEP_1) | instskip(SKIP_1) | instid1(VALU_DEP_2)
	v_add_f32_e32 v49, v49, v51
	v_cvt_i32_f32_e32 v51, v52
	v_exp_f32_e32 v49, v49
	s_waitcnt_depctr 0xfff
	v_ldexp_f32 v49, v49, v51
	s_delay_alu instid0(VALU_DEP_1) | instskip(SKIP_1) | instid1(VALU_DEP_1)
	v_cndmask_b32_e64 v49, 0, v49, s7
	v_cmp_nlt_f32_e64 s7, 0x42b17218, v46
	v_cndmask_b32_e64 v73, 0x7f800000, v49, s7
	v_cmp_ngt_f32_e64 s7, 0xc2ce8ed0, v47
	ds_bpermute_b32 v49, v56, v73
	v_cndmask_b32_e64 v46, v50, v73, s5
	v_cndmask_b32_e64 v48, v48, v73, s6
	s_waitcnt lgkmcnt(0)
	s_delay_alu instid0(VALU_DEP_1) | instskip(NEXT) | instid1(VALU_DEP_3)
	v_dual_mul_f32 v13, v13, v66 :: v_dual_cndmask_b32 v48, v48, v49
	v_cndmask_b32_e64 v50, v46, v49, s4
	s_delay_alu instid0(VALU_DEP_2) | instskip(NEXT) | instid1(VALU_DEP_2)
	v_cvt_f16_f32_e32 v49, v48
	v_cvt_f16_f32_e32 v46, v50
	s_delay_alu instid0(VALU_DEP_1) | instskip(SKIP_1) | instid1(VALU_DEP_1)
	v_pack_b32_f16 v46, v46, v49
	v_mul_f32_e32 v49, 0x3fb8aa3b, v47
	v_fma_f32 v51, 0x3fb8aa3b, v47, -v49
	v_rndne_f32_e32 v52, v49
	s_delay_alu instid0(VALU_DEP_2) | instskip(NEXT) | instid1(VALU_DEP_2)
	v_fmac_f32_e32 v51, 0x32a5705f, v47
	v_sub_f32_e32 v49, v49, v52
	s_delay_alu instid0(VALU_DEP_1) | instskip(SKIP_1) | instid1(VALU_DEP_2)
	v_add_f32_e32 v49, v49, v51
	v_cvt_i32_f32_e32 v51, v52
	v_exp_f32_e32 v49, v49
	s_waitcnt_depctr 0xfff
	v_ldexp_f32 v49, v49, v51
	s_delay_alu instid0(VALU_DEP_1) | instskip(SKIP_1) | instid1(VALU_DEP_1)
	v_cndmask_b32_e64 v49, 0, v49, s7
	v_cmp_nlt_f32_e64 s7, 0x42b17218, v47
	v_cndmask_b32_e64 v74, 0x7f800000, v49, s7
	ds_bpermute_b32 v49, v56, v74
	v_cndmask_b32_e64 v47, v50, v74, s5
	v_cndmask_b32_e64 v48, v48, v74, s6
	s_waitcnt lgkmcnt(0)
	s_delay_alu instid0(VALU_DEP_1) | instskip(NEXT) | instid1(VALU_DEP_3)
	v_dual_mul_f32 v15, v15, v66 :: v_dual_cndmask_b32 v48, v48, v49
	v_cndmask_b32_e64 v47, v47, v49, s4
	s_delay_alu instid0(VALU_DEP_2) | instskip(NEXT) | instid1(VALU_DEP_2)
	v_cvt_f16_f32_e32 v48, v48
	v_cvt_f16_f32_e32 v47, v47
	s_delay_alu instid0(VALU_DEP_1)
	v_pack_b32_f16 v47, v47, v48
	ds_load_u16 v50, v163 offset:704
	ds_load_u16 v49, v163 offset:352
	;; [unrolled: 1-line block ×22, first 2 shown]
	ds_load_u16 v48, v163
	ds_load_u16 v75, v163 offset:32
	ds_load_u16 v83, v163 offset:64
	ds_load_u16 v91, v163 offset:96
	ds_load_u16 v100, v248 offset:352
	ds_load_u16 v102, v248 offset:1056
	ds_load_u16 v106, v248 offset:2464
	ds_load_u16 v104, v248 offset:1760
	ds_load_u16 v108, v244 offset:352
	ds_load_u16 v113, v244 offset:2112
	ds_load_u16 v77, v245 offset:704
	ds_load_u16 v114, v244 offset:2464
	ds_load_u16 v112, v244 offset:1760
	ds_load_u16 v111, v244 offset:1408
	ds_load_u16 v110, v244 offset:1056
	ds_load_u16 v109, v244 offset:704
	ds_load_u16 v85, v246 offset:704
	ds_load_u16 v122, v164 offset:352
	ds_load_u16 v128, v164 offset:2464
	ds_load_u16 v127, v164 offset:2112
	ds_load_u16 v126, v164 offset:1760
	ds_load_u16 v125, v164 offset:1408
	ds_load_u16 v124, v164 offset:1056
	ds_load_u16 v123, v164 offset:704
	ds_load_u16 v149, v165 offset:352
	ds_load_u16 v151, v165 offset:1056
	ds_load_u16 v93, v247 offset:704
	ds_load_u16 v155, v165 offset:2464
	ds_load_u16 v154, v165 offset:2112
	ds_load_u16 v153, v165 offset:1760
	ds_load_u16 v152, v165 offset:1408
	ds_load_u16 v170, v166 offset:352
	ds_load_u16 v172, v166 offset:1056
	ds_load_u16 v174, v166 offset:1760
	ds_load_u16 v173, v166 offset:1408
	ds_load_u16 v105, v248 offset:2112
	ds_load_u16 v103, v248 offset:1408
	ds_load_u16 v101, v248 offset:704
	ds_load_u16 v176, v166 offset:2464
	ds_load_u16 v175, v166 offset:2112
	ds_load_u16 v121, v245 offset:5632
	s_waitcnt lgkmcnt(23)
	ds_load_u16_d16_hi v122, v245 offset:6160
	s_waitcnt lgkmcnt(19)
	ds_load_u16_d16_hi v124, v245 offset:6864
	ds_load_u16_d16_hi v126, v245 offset:7568
	;; [unrolled: 1-line block ×3, first 2 shown]
	ds_load_u16 v81, v245 offset:2112
	ds_load_u16 v55, v163 offset:2464
	ds_load_u16_d16_hi v82, v163 offset:2672
	ds_load_u16_d16_hi v77, v163 offset:912
	ds_load_u16_d16_hi v78, v163 offset:1264
	ds_load_u16_d16_hi v79, v163 offset:1616
	ds_load_u16 v53, v163 offset:1760
	ds_load_u16_d16_hi v80, v163 offset:1968
	ds_load_u16_d16_hi v94, v163 offset:1328
	s_waitcnt lgkmcnt(27)
	ds_load_u16_d16_hi v93, v163 offset:976
	ds_load_u16_d16_hi v50, v163 offset:880
	ds_load_u16_d16_hi v85, v163 offset:944
	ds_load_u16_d16_hi v51, v163 offset:1232
	ds_load_u16_d16_hi v86, v163 offset:1296
	ds_load_u16_d16_hi v87, v163 offset:1648
	ds_load_u16_d16_hi v52, v163 offset:1584
	ds_load_u16_d16_hi v102, v163 offset:1360
	ds_load_u16_d16_hi v127, v245 offset:7920
	ds_load_u16 v148, v246 offset:5632
	ds_load_u16_d16_hi v149, v246 offset:6160
	ds_load_u16_d16_hi v151, v246 offset:6864
	s_waitcnt lgkmcnt(36)
	ds_load_u16_d16_hi v153, v246 offset:7568
	ds_load_u16_d16_hi v155, v246 offset:8272
	;; [unrolled: 1-line block ×3, first 2 shown]
	s_waitcnt lgkmcnt(23)
	ds_load_u16_d16_hi v81, v163 offset:2320
	ds_load_u16_d16_hi v97, v163 offset:2384
	;; [unrolled: 1-line block ×6, first 2 shown]
	s_waitcnt lgkmcnt(28)
	ds_load_u16_d16_hi v55, v163 offset:2640
	ds_load_u16_d16_hi v90, v163 offset:2704
	;; [unrolled: 1-line block ×3, first 2 shown]
	s_waitcnt lgkmcnt(26)
	ds_load_u16_d16_hi v53, v163 offset:1936
	ds_load_u16_d16_hi v88, v163 offset:2000
	;; [unrolled: 1-line block ×5, first 2 shown]
	ds_load_u16 v99, v163 offset:128
	ds_load_u16_d16_hi v49, v163 offset:528
	ds_load_u16_d16_hi v48, v163 offset:176
	;; [unrolled: 1-line block ×6, first 2 shown]
	ds_load_u16 v169, v247 offset:5632
	ds_load_u16_d16_hi v170, v247 offset:6160
	ds_load_u16_d16_hi v172, v247 offset:6864
	;; [unrolled: 1-line block ×8, first 2 shown]
	ds_load_u16 v107, v163 offset:5632
	ds_load_u16_d16_hi v108, v163 offset:6160
	ds_load_u16_d16_hi v110, v163 offset:6864
	;; [unrolled: 1-line block ×5, first 2 shown]
	s_waitcnt lgkmcnt(21)
	ds_load_u16_d16_hi v99, v163 offset:304
	ds_load_u16_d16_hi v95, v163 offset:1680
	s_waitcnt lgkmcnt(21)
	v_wmma_f32_16x16x16_f16 v[32:39], v[48:55], v[40:47], v[32:39]
	s_waitcnt lgkmcnt(20)
	v_wmma_f32_16x16x16_f16 v[24:31], v[75:82], v[40:47], v[24:31]
	;; [unrolled: 2-line block ×3, first 2 shown]
	s_waitcnt lgkmcnt(7)
	ds_load_u16_d16_hi v107, v163 offset:5808
	ds_load_u16_d16_hi v109, v163 offset:6512
	;; [unrolled: 1-line block ×7, first 2 shown]
	ds_load_u16 v150, v165 offset:704
	ds_load_u16_d16_hi v148, v246 offset:5808
	s_waitcnt lgkmcnt(1)
	ds_load_u16_d16_hi v150, v246 offset:6512
	ds_load_u16_d16_hi v152, v246 offset:7216
	v_wmma_f32_16x16x16_f16 v[8:15], v[91:98], v[40:47], v[8:15]
	v_wmma_f32_16x16x16_f16 v[0:7], v[99:106], v[40:47], v[0:7]
	v_sub_f32_e32 v40, v65, v57
	ds_load_u16 v171, v166 offset:704
	ds_load_u16_d16_hi v169, v247 offset:5808
	s_waitcnt lgkmcnt(1)
	ds_load_u16_d16_hi v171, v247 offset:6512
	ds_load_u16_d16_hi v173, v247 offset:7216
	v_mul_f32_e32 v41, 0x3fb8aa3b, v40
	v_cmp_ngt_f32_e64 s7, 0xc2ce8ed0, v40
	s_delay_alu instid0(VALU_DEP_2) | instskip(SKIP_1) | instid1(VALU_DEP_1)
	v_fma_f32 v42, 0x3fb8aa3b, v40, -v41
	v_rndne_f32_e32 v43, v41
	v_dual_fmac_f32 v42, 0x32a5705f, v40 :: v_dual_sub_f32 v41, v41, v43
	v_cvt_i32_f32_e32 v43, v43
	s_delay_alu instid0(VALU_DEP_2) | instskip(NEXT) | instid1(VALU_DEP_1)
	v_dual_add_f32 v41, v41, v42 :: v_dual_sub_f32 v42, v64, v57
	v_exp_f32_e32 v41, v41
	s_delay_alu instid0(VALU_DEP_1) | instskip(SKIP_1) | instid1(VALU_DEP_2)
	v_mul_f32_e32 v44, 0x3fb8aa3b, v42
	v_cmp_ngt_f32_e64 s8, 0xc2ce8ed0, v42
	v_fma_f32 v45, 0x3fb8aa3b, v42, -v44
	v_rndne_f32_e32 v46, v44
	s_waitcnt_depctr 0xfff
	v_ldexp_f32 v41, v41, v43
	v_fmac_f32_e32 v45, 0x32a5705f, v42
	v_sub_f32_e32 v44, v44, v46
	s_delay_alu instid0(VALU_DEP_3) | instskip(SKIP_1) | instid1(VALU_DEP_3)
	v_cndmask_b32_e64 v41, 0, v41, s7
	v_cmp_nlt_f32_e64 s7, 0x42b17218, v40
	v_add_f32_e32 v44, v44, v45
	s_delay_alu instid0(VALU_DEP_2) | instskip(NEXT) | instid1(VALU_DEP_2)
	v_cndmask_b32_e64 v65, 0x7f800000, v41, s7
	v_exp_f32_e32 v43, v44
	v_cvt_i32_f32_e32 v44, v46
	s_waitcnt_depctr 0xfff
	v_ldexp_f32 v43, v43, v44
	s_delay_alu instid0(VALU_DEP_1)
	v_cndmask_b32_e64 v40, 0, v43, s8
	v_cmp_nlt_f32_e64 s8, 0x42b17218, v42
	ds_bpermute_b32 v42, v56, v65
	v_cndmask_b32_e64 v64, 0x7f800000, v40, s8
	ds_bpermute_b32 v40, v56, v64
	s_waitcnt lgkmcnt(0)
	v_cndmask_b32_e32 v41, v64, v40, vcc_lo
	v_cndmask_b32_e64 v40, v64, v40, s4
	s_delay_alu instid0(VALU_DEP_2) | instskip(NEXT) | instid1(VALU_DEP_2)
	v_cndmask_b32_e64 v44, v41, v65, s6
	v_cndmask_b32_e64 v43, v40, v65, s5
	v_cvt_f16_f32_e32 v40, v40
	v_cvt_f16_f32_e32 v41, v41
	s_delay_alu instid0(VALU_DEP_3) | instskip(SKIP_1) | instid1(VALU_DEP_3)
	v_cndmask_b32_e64 v43, v43, v42, s4
	v_cndmask_b32_e32 v42, v44, v42, vcc_lo
	v_pack_b32_f16 v40, v40, v41
	s_delay_alu instid0(VALU_DEP_3) | instskip(NEXT) | instid1(VALU_DEP_3)
	v_cvt_f16_f32_e32 v44, v43
	v_cvt_f16_f32_e32 v45, v42
	s_delay_alu instid0(VALU_DEP_1) | instskip(SKIP_1) | instid1(VALU_DEP_1)
	v_pack_b32_f16 v41, v44, v45
	v_sub_f32_e32 v44, v63, v57
	v_mul_f32_e32 v45, 0x3fb8aa3b, v44
	v_cmp_ngt_f32_e64 s7, 0xc2ce8ed0, v44
	s_delay_alu instid0(VALU_DEP_2) | instskip(SKIP_1) | instid1(VALU_DEP_1)
	v_fma_f32 v46, 0x3fb8aa3b, v44, -v45
	v_rndne_f32_e32 v47, v45
	v_dual_fmac_f32 v46, 0x32a5705f, v44 :: v_dual_sub_f32 v45, v45, v47
	s_delay_alu instid0(VALU_DEP_1) | instskip(SKIP_1) | instid1(VALU_DEP_2)
	v_add_f32_e32 v45, v45, v46
	v_cvt_i32_f32_e32 v46, v47
	v_exp_f32_e32 v45, v45
	s_waitcnt_depctr 0xfff
	v_ldexp_f32 v45, v45, v46
	s_delay_alu instid0(VALU_DEP_1) | instskip(SKIP_1) | instid1(VALU_DEP_1)
	v_cndmask_b32_e64 v45, 0, v45, s7
	v_cmp_nlt_f32_e64 s7, 0x42b17218, v44
	v_cndmask_b32_e64 v63, 0x7f800000, v45, s7
	ds_bpermute_b32 v44, v56, v63
	v_cndmask_b32_e64 v43, v43, v63, s5
	v_cndmask_b32_e64 v42, v42, v63, s6
	s_waitcnt lgkmcnt(0)
	s_delay_alu instid0(VALU_DEP_2) | instskip(NEXT) | instid1(VALU_DEP_2)
	v_cndmask_b32_e64 v43, v43, v44, s4
	v_cndmask_b32_e32 v44, v42, v44, vcc_lo
	s_delay_alu instid0(VALU_DEP_2) | instskip(NEXT) | instid1(VALU_DEP_2)
	v_cvt_f16_f32_e32 v42, v43
	v_cvt_f16_f32_e32 v45, v44
	s_delay_alu instid0(VALU_DEP_1) | instskip(SKIP_1) | instid1(VALU_DEP_1)
	v_pack_b32_f16 v42, v42, v45
	v_sub_f32_e32 v45, v62, v57
	v_mul_f32_e32 v46, 0x3fb8aa3b, v45
	v_cmp_ngt_f32_e64 s7, 0xc2ce8ed0, v45
	s_delay_alu instid0(VALU_DEP_2) | instskip(SKIP_1) | instid1(VALU_DEP_1)
	v_fma_f32 v47, 0x3fb8aa3b, v45, -v46
	v_rndne_f32_e32 v48, v46
	v_dual_fmac_f32 v47, 0x32a5705f, v45 :: v_dual_sub_f32 v46, v46, v48
	s_delay_alu instid0(VALU_DEP_1) | instskip(SKIP_1) | instid1(VALU_DEP_2)
	v_add_f32_e32 v46, v46, v47
	v_cvt_i32_f32_e32 v47, v48
	v_exp_f32_e32 v46, v46
	s_waitcnt_depctr 0xfff
	v_ldexp_f32 v46, v46, v47
	s_delay_alu instid0(VALU_DEP_1) | instskip(SKIP_1) | instid1(VALU_DEP_1)
	v_cndmask_b32_e64 v46, 0, v46, s7
	v_cmp_nlt_f32_e64 s7, 0x42b17218, v45
	v_cndmask_b32_e64 v62, 0x7f800000, v46, s7
	ds_bpermute_b32 v45, v56, v62
	v_cndmask_b32_e64 v43, v43, v62, s5
	v_cndmask_b32_e64 v44, v44, v62, s6
	s_waitcnt lgkmcnt(0)
	s_delay_alu instid0(VALU_DEP_2) | instskip(NEXT) | instid1(VALU_DEP_2)
	v_cndmask_b32_e64 v46, v43, v45, s4
	v_cndmask_b32_e32 v44, v44, v45, vcc_lo
	s_delay_alu instid0(VALU_DEP_2) | instskip(NEXT) | instid1(VALU_DEP_2)
	v_cvt_f16_f32_e32 v43, v46
	v_cvt_f16_f32_e32 v45, v44
	s_delay_alu instid0(VALU_DEP_1) | instskip(SKIP_1) | instid1(VALU_DEP_1)
	v_pack_b32_f16 v43, v43, v45
	v_sub_f32_e32 v45, v61, v57
	v_mul_f32_e32 v47, 0x3fb8aa3b, v45
	v_cmp_ngt_f32_e64 s7, 0xc2ce8ed0, v45
	s_delay_alu instid0(VALU_DEP_2) | instskip(SKIP_1) | instid1(VALU_DEP_2)
	v_fma_f32 v48, 0x3fb8aa3b, v45, -v47
	v_rndne_f32_e32 v49, v47
	v_fmac_f32_e32 v48, 0x32a5705f, v45
	s_delay_alu instid0(VALU_DEP_2) | instskip(NEXT) | instid1(VALU_DEP_1)
	v_sub_f32_e32 v47, v47, v49
	v_add_f32_e32 v47, v47, v48
	v_cvt_i32_f32_e32 v48, v49
	s_delay_alu instid0(VALU_DEP_2) | instskip(SKIP_2) | instid1(VALU_DEP_1)
	v_exp_f32_e32 v47, v47
	s_waitcnt_depctr 0xfff
	v_ldexp_f32 v47, v47, v48
	v_cndmask_b32_e64 v47, 0, v47, s7
	v_cmp_nlt_f32_e64 s7, 0x42b17218, v45
	s_delay_alu instid0(VALU_DEP_1) | instskip(NEXT) | instid1(VALU_DEP_1)
	v_cndmask_b32_e64 v61, 0x7f800000, v47, s7
	v_cndmask_b32_e64 v45, v46, v61, s5
	ds_bpermute_b32 v46, v56, v61
	v_cndmask_b32_e64 v44, v44, v61, s6
	s_waitcnt lgkmcnt(0)
	v_cndmask_b32_e64 v45, v45, v46, s4
	s_delay_alu instid0(VALU_DEP_2) | instskip(NEXT) | instid1(VALU_DEP_2)
	v_cndmask_b32_e32 v46, v44, v46, vcc_lo
	v_cvt_f16_f32_e32 v44, v45
	s_delay_alu instid0(VALU_DEP_2) | instskip(NEXT) | instid1(VALU_DEP_1)
	v_cvt_f16_f32_e32 v47, v46
	v_pack_b32_f16 v44, v44, v47
	v_sub_f32_e32 v47, v60, v57
	s_delay_alu instid0(VALU_DEP_1) | instskip(SKIP_1) | instid1(VALU_DEP_2)
	v_mul_f32_e32 v48, 0x3fb8aa3b, v47
	v_cmp_ngt_f32_e64 s7, 0xc2ce8ed0, v47
	v_fma_f32 v49, 0x3fb8aa3b, v47, -v48
	v_rndne_f32_e32 v50, v48
	s_delay_alu instid0(VALU_DEP_1) | instskip(NEXT) | instid1(VALU_DEP_1)
	v_dual_fmac_f32 v49, 0x32a5705f, v47 :: v_dual_sub_f32 v48, v48, v50
	v_add_f32_e32 v48, v48, v49
	v_cvt_i32_f32_e32 v49, v50
	s_delay_alu instid0(VALU_DEP_2) | instskip(SKIP_2) | instid1(VALU_DEP_1)
	v_exp_f32_e32 v48, v48
	s_waitcnt_depctr 0xfff
	v_ldexp_f32 v48, v48, v49
	v_cndmask_b32_e64 v48, 0, v48, s7
	v_cmp_nlt_f32_e64 s7, 0x42b17218, v47
	s_delay_alu instid0(VALU_DEP_1) | instskip(SKIP_4) | instid1(VALU_DEP_2)
	v_cndmask_b32_e64 v60, 0x7f800000, v48, s7
	ds_bpermute_b32 v47, v56, v60
	v_cndmask_b32_e64 v45, v45, v60, s5
	v_cndmask_b32_e64 v46, v46, v60, s6
	s_waitcnt lgkmcnt(0)
	v_cndmask_b32_e64 v48, v45, v47, s4
	s_delay_alu instid0(VALU_DEP_2) | instskip(NEXT) | instid1(VALU_DEP_2)
	v_cndmask_b32_e32 v46, v46, v47, vcc_lo
	v_cvt_f16_f32_e32 v45, v48
	s_delay_alu instid0(VALU_DEP_2) | instskip(NEXT) | instid1(VALU_DEP_1)
	v_cvt_f16_f32_e32 v47, v46
	v_pack_b32_f16 v45, v45, v47
	v_sub_f32_e32 v47, v59, v57
	s_delay_alu instid0(VALU_DEP_1) | instskip(SKIP_1) | instid1(VALU_DEP_2)
	v_mul_f32_e32 v49, 0x3fb8aa3b, v47
	v_cmp_ngt_f32_e64 s7, 0xc2ce8ed0, v47
	v_fma_f32 v50, 0x3fb8aa3b, v47, -v49
	v_rndne_f32_e32 v51, v49
	s_delay_alu instid0(VALU_DEP_2) | instskip(NEXT) | instid1(VALU_DEP_2)
	v_fmac_f32_e32 v50, 0x32a5705f, v47
	v_sub_f32_e32 v49, v49, v51
	s_delay_alu instid0(VALU_DEP_1) | instskip(SKIP_1) | instid1(VALU_DEP_2)
	v_add_f32_e32 v49, v49, v50
	v_cvt_i32_f32_e32 v50, v51
	v_exp_f32_e32 v49, v49
	s_waitcnt_depctr 0xfff
	v_ldexp_f32 v49, v49, v50
	s_delay_alu instid0(VALU_DEP_1) | instskip(SKIP_1) | instid1(VALU_DEP_1)
	v_cndmask_b32_e64 v49, 0, v49, s7
	v_cmp_nlt_f32_e64 s7, 0x42b17218, v47
	v_cndmask_b32_e64 v59, 0x7f800000, v49, s7
	s_delay_alu instid0(VALU_DEP_1) | instskip(SKIP_4) | instid1(VALU_DEP_2)
	v_cndmask_b32_e64 v47, v48, v59, s5
	ds_bpermute_b32 v48, v56, v59
	v_cndmask_b32_e64 v46, v46, v59, s6
	s_waitcnt lgkmcnt(0)
	v_cndmask_b32_e64 v47, v47, v48, s4
	v_cndmask_b32_e32 v48, v46, v48, vcc_lo
	s_delay_alu instid0(VALU_DEP_2) | instskip(NEXT) | instid1(VALU_DEP_2)
	v_cvt_f16_f32_e32 v46, v47
	v_cvt_f16_f32_e32 v49, v48
	s_delay_alu instid0(VALU_DEP_1) | instskip(SKIP_1) | instid1(VALU_DEP_1)
	v_pack_b32_f16 v46, v46, v49
	v_sub_f32_e32 v49, v58, v57
	v_mul_f32_e32 v50, 0x3fb8aa3b, v49
	v_cmp_ngt_f32_e64 s7, 0xc2ce8ed0, v49
	s_delay_alu instid0(VALU_DEP_2) | instskip(SKIP_1) | instid1(VALU_DEP_1)
	v_fma_f32 v51, 0x3fb8aa3b, v49, -v50
	v_rndne_f32_e32 v52, v50
	v_dual_fmac_f32 v51, 0x32a5705f, v49 :: v_dual_sub_f32 v50, v50, v52
	s_delay_alu instid0(VALU_DEP_1) | instskip(SKIP_1) | instid1(VALU_DEP_2)
	v_add_f32_e32 v50, v50, v51
	v_cvt_i32_f32_e32 v51, v52
	v_exp_f32_e32 v50, v50
	s_waitcnt_depctr 0xfff
	v_ldexp_f32 v50, v50, v51
	s_delay_alu instid0(VALU_DEP_1) | instskip(SKIP_1) | instid1(VALU_DEP_1)
	v_cndmask_b32_e64 v50, 0, v50, s7
	v_cmp_nlt_f32_e64 s7, 0x42b17218, v49
	v_cndmask_b32_e64 v58, 0x7f800000, v50, s7
	ds_bpermute_b32 v49, v56, v58
	v_cndmask_b32_e64 v47, v47, v58, s5
	v_cndmask_b32_e64 v48, v48, v58, s6
	s_waitcnt lgkmcnt(0)
	s_delay_alu instid0(VALU_DEP_2) | instskip(NEXT) | instid1(VALU_DEP_2)
	v_cndmask_b32_e64 v47, v47, v49, s4
	v_cndmask_b32_e32 v48, v48, v49, vcc_lo
	s_cselect_b32 s4, -1, 0
	s_delay_alu instid0(SALU_CYCLE_1) | instskip(NEXT) | instid1(VALU_DEP_2)
	s_and_b32 s5, s0, s4
	v_cvt_f16_f32_e32 v47, v47
	s_delay_alu instid0(VALU_DEP_2) | instskip(NEXT) | instid1(VALU_DEP_1)
	v_cvt_f16_f32_e32 v48, v48
	v_pack_b32_f16 v47, v47, v48
	ds_load_u16 v49, v167 offset:352
	ds_load_u16 v51, v167 offset:1056
	;; [unrolled: 1-line block ×8, first 2 shown]
	s_waitcnt lgkmcnt(7)
	ds_load_u16_d16_hi v49, v248 offset:6160
	s_waitcnt lgkmcnt(7)
	ds_load_u16_d16_hi v51, v248 offset:6864
	;; [unrolled: 2-line block ×8, first 2 shown]
	v_wmma_f32_16x16x16_f16 v[32:39], v[107:114], v[40:47], v[32:39]
	v_wmma_f32_16x16x16_f16 v[24:31], v[121:128], v[40:47], v[24:31]
	;; [unrolled: 1-line block ×4, first 2 shown]
	s_waitcnt lgkmcnt(0)
	s_barrier
	buffer_gl0_inv
	v_wmma_f32_16x16x16_f16 v[0:7], v[48:55], v[40:47], v[0:7]
	v_add_f32_e32 v40, v67, v68
	s_delay_alu instid0(VALU_DEP_1) | instskip(NEXT) | instid1(VALU_DEP_1)
	v_add_f32_e32 v40, v69, v40
	v_add_f32_e32 v40, v70, v40
	s_delay_alu instid0(VALU_DEP_1) | instskip(NEXT) | instid1(VALU_DEP_1)
	v_add_f32_e32 v40, v71, v40
	;; [unrolled: 3-line block ×7, first 2 shown]
	v_add_f32_e32 v40, v58, v40
	s_delay_alu instid0(VALU_DEP_1)
	v_fmac_f32_e32 v40, v198, v66
	ds_bpermute_b32 v41, v56, v40
	s_waitcnt lgkmcnt(0)
	v_add_f32_e32 v40, v40, v41
	s_and_saveexec_b32 s4, s5
	s_cbranch_execz .LBB9_219
; %bb.218:                              ;   in Loop: Header=BB9_13 Depth=1
	scratch_load_b32 v41, off, off offset:48 ; 4-byte Folded Reload
	v_max_f32_e32 v42, v57, v57
	s_waitcnt vmcnt(0)
	v_lshlrev_b32_e32 v41, 2, v41
	global_load_b32 v41, v41, s[72:73]
	s_waitcnt vmcnt(0)
	v_max_f32_e32 v43, v41, v41
	s_delay_alu instid0(VALU_DEP_1) | instskip(NEXT) | instid1(VALU_DEP_1)
	v_max_f32_e32 v42, v42, v43
	v_sub_f32_e32 v43, v57, v42
	v_sub_f32_e32 v41, v41, v42
	s_delay_alu instid0(VALU_DEP_2) | instskip(NEXT) | instid1(VALU_DEP_1)
	v_dual_mov_b32 v57, v42 :: v_dual_mul_f32 v44, 0x3fb8aa3b, v43
	v_fma_f32 v45, 0x3fb8aa3b, v43, -v44
	v_rndne_f32_e32 v46, v44
	s_delay_alu instid0(VALU_DEP_1) | instskip(SKIP_1) | instid1(VALU_DEP_2)
	v_dual_fmac_f32 v45, 0x32a5705f, v43 :: v_dual_sub_f32 v44, v44, v46
	v_cvt_i32_f32_e32 v46, v46
	v_add_f32_e32 v44, v44, v45
	v_cmp_ngt_f32_e32 vcc_lo, 0xc2ce8ed0, v43
	s_delay_alu instid0(VALU_DEP_2) | instskip(SKIP_2) | instid1(VALU_DEP_1)
	v_exp_f32_e32 v44, v44
	s_waitcnt_depctr 0xfff
	v_ldexp_f32 v44, v44, v46
	v_dual_mul_f32 v47, 0x3fb8aa3b, v41 :: v_dual_cndmask_b32 v44, 0, v44
	s_delay_alu instid0(VALU_DEP_1) | instskip(SKIP_2) | instid1(VALU_DEP_2)
	v_fma_f32 v48, 0x3fb8aa3b, v41, -v47
	v_rndne_f32_e32 v49, v47
	v_cmp_nlt_f32_e32 vcc_lo, 0x42b17218, v43
	v_dual_sub_f32 v45, v47, v49 :: v_dual_cndmask_b32 v44, 0x7f800000, v44
	s_delay_alu instid0(VALU_DEP_4) | instskip(SKIP_2) | instid1(VALU_DEP_3)
	v_fmac_f32_e32 v48, 0x32a5705f, v41
	v_cvt_i32_f32_e32 v46, v49
	v_cmp_ngt_f32_e32 vcc_lo, 0xc2ce8ed0, v41
	v_add_f32_e32 v45, v45, v48
	s_delay_alu instid0(VALU_DEP_1) | instskip(SKIP_2) | instid1(VALU_DEP_1)
	v_exp_f32_e32 v45, v45
	s_waitcnt_depctr 0xfff
	v_ldexp_f32 v45, v45, v46
	v_cndmask_b32_e32 v45, 0, v45, vcc_lo
	v_cmp_le_f32_e32 vcc_lo, 0xc1a00000, v43
	v_cndmask_b32_e32 v43, 0, v44, vcc_lo
	v_cmp_nlt_f32_e32 vcc_lo, 0x42b17218, v41
	s_delay_alu instid0(VALU_DEP_2)
	v_dual_mul_f32 v34, v34, v43 :: v_dual_cndmask_b32 v41, 0x7f800000, v45
	v_mul_f32_e32 v36, v36, v43
	v_mul_f32_e32 v32, v32, v43
	;; [unrolled: 1-line block ×4, first 2 shown]
	v_fmac_f32_e32 v41, v40, v43
	v_mul_f32_e32 v35, v35, v43
	v_mul_f32_e32 v38, v38, v43
	;; [unrolled: 1-line block ×34, first 2 shown]
	v_dual_mul_f32 v7, v7, v43 :: v_dual_mov_b32 v40, v41
.LBB9_219:                              ;   in Loop: Header=BB9_13 Depth=1
	s_or_b32 exec_lo, exec_lo, s4
	s_and_saveexec_b32 s4, s2
	s_cbranch_execz .LBB9_221
; %bb.220:                              ;   in Loop: Header=BB9_13 Depth=1
	scratch_load_b32 v41, off, off offset:16 ; 4-byte Folded Reload
	s_waitcnt vmcnt(0)
	v_add_nc_u32_e32 v41, 0, v41
	ds_store_2addr_b32 v41, v57, v40 offset0:40 offset1:41
.LBB9_221:                              ;   in Loop: Header=BB9_13 Depth=1
	s_or_b32 exec_lo, exec_lo, s4
	s_waitcnt lgkmcnt(0)
	s_barrier
	buffer_gl0_inv
	s_mov_b32 s4, exec_lo
	scratch_load_b64 v[124:125], off, off   ; 8-byte Folded Reload
	s_and_b32 s5, s4, s1
	s_delay_alu instid0(SALU_CYCLE_1)
	s_xor_b32 s4, s5, s4
	s_mov_b32 exec_lo, s5
	s_cbranch_execz .LBB9_223
; %bb.222:                              ;   in Loop: Header=BB9_13 Depth=1
	s_waitcnt vmcnt(0)
	s_barrier
	buffer_gl0_inv
                                        ; implicit-def: $vgpr56
.LBB9_223:                              ;   in Loop: Header=BB9_13 Depth=1
	s_and_not1_saveexec_b32 s4, s4
	s_cbranch_execz .LBB9_225
; %bb.224:                              ;   in Loop: Header=BB9_13 Depth=1
	scratch_load_b32 v40, off, off offset:20 ; 4-byte Folded Reload
	s_waitcnt vmcnt(0)
	v_add_nc_u32_e32 v44, 0, v40
	ds_load_b64 v[40:41], v44 offset:160
	s_waitcnt lgkmcnt(0)
	s_barrier
	buffer_gl0_inv
	ds_bpermute_b32 v42, v56, v40
	s_waitcnt lgkmcnt(0)
	v_dual_max_f32 v43, v40, v40 :: v_dual_max_f32 v42, v42, v42
	s_delay_alu instid0(VALU_DEP_1) | instskip(NEXT) | instid1(VALU_DEP_1)
	v_max_f32_e32 v42, v43, v42
	v_sub_f32_e32 v40, v40, v42
	s_delay_alu instid0(VALU_DEP_1) | instskip(SKIP_1) | instid1(VALU_DEP_2)
	v_mul_f32_e32 v42, 0x3fb8aa3b, v40
	v_cmp_ngt_f32_e32 vcc_lo, 0xc2ce8ed0, v40
	v_fma_f32 v43, 0x3fb8aa3b, v40, -v42
	v_rndne_f32_e32 v45, v42
	s_delay_alu instid0(VALU_DEP_1) | instskip(NEXT) | instid1(VALU_DEP_1)
	v_dual_fmac_f32 v43, 0x32a5705f, v40 :: v_dual_sub_f32 v42, v42, v45
	v_add_f32_e32 v42, v42, v43
	v_cvt_i32_f32_e32 v43, v45
	s_delay_alu instid0(VALU_DEP_2) | instskip(SKIP_2) | instid1(VALU_DEP_1)
	v_exp_f32_e32 v42, v42
	s_waitcnt_depctr 0xfff
	v_ldexp_f32 v42, v42, v43
	v_cndmask_b32_e32 v42, 0, v42, vcc_lo
	v_cmp_nlt_f32_e32 vcc_lo, 0x42b17218, v40
	s_delay_alu instid0(VALU_DEP_2) | instskip(NEXT) | instid1(VALU_DEP_1)
	v_cndmask_b32_e32 v42, 0x7f800000, v42, vcc_lo
	v_mul_f32_e32 v40, v41, v42
	ds_bpermute_b32 v43, v56, v40
	s_waitcnt lgkmcnt(0)
	v_fmac_f32_e32 v43, v41, v42
	ds_store_b64 v44, v[42:43] offset:160
.LBB9_225:                              ;   in Loop: Header=BB9_13 Depth=1
	s_or_b32 exec_lo, exec_lo, s4
	v_cvt_f16_f32_e32 v32, v32
	v_cvt_f16_f32_e32 v24, v24
	;; [unrolled: 1-line block ×28, first 2 shown]
	ds_store_b16 v168, v32
	ds_store_b16 v168, v33 offset:4
	ds_store_b16 v168, v34 offset:8
	ds_store_b16 v168, v35 offset:12
	ds_store_b16 v168, v36 offset:16
	ds_store_b16 v168, v37 offset:20
	ds_store_b16 v168, v38 offset:24
	ds_store_b16 v168, v39 offset:28
	v_cvt_f16_f32_e32 v29, v29
	v_cvt_f16_f32_e32 v30, v30
	v_cvt_f16_f32_e32 v31, v31
	ds_store_b16 v168, v24 offset:32
	ds_store_b16 v168, v25 offset:36
	ds_store_b16 v168, v26 offset:40
	ds_store_b16 v168, v27 offset:44
	ds_store_b16 v168, v28 offset:48
	ds_store_b16 v168, v29 offset:52
	ds_store_b16 v168, v30 offset:56
	ds_store_b16 v168, v31 offset:60
	v_cvt_f16_f32_e32 v21, v21
	v_cvt_f16_f32_e32 v22, v22
	v_cvt_f16_f32_e32 v23, v23
	ds_store_b16 v168, v16 offset:64
	;; [unrolled: 11-line block ×4, first 2 shown]
	ds_store_b16 v168, v1 offset:132
	ds_store_b16 v168, v2 offset:136
	;; [unrolled: 1-line block ×7, first 2 shown]
	s_waitcnt vmcnt(0) lgkmcnt(0)
	s_barrier
	buffer_gl0_inv
	s_and_saveexec_b32 s6, s0
	s_cbranch_execz .LBB9_11
; %bb.226:                              ;   in Loop: Header=BB9_13 Depth=1
	s_clause 0x1
	scratch_load_b32 v0, off, off offset:80
	scratch_load_b64 v[1:2], off, off offset:8
	s_waitcnt vmcnt(1)
	v_add_nc_u32_e32 v0, s74, v0
	s_waitcnt vmcnt(0)
	v_or_b32_e32 v1, s96, v1
	s_delay_alu instid0(VALU_DEP_1) | instskip(SKIP_2) | instid1(VALU_DEP_3)
	v_cmp_gt_i32_e64 s4, s33, v1
	v_mov_b32_e32 v1, 0x47
	v_cmp_gt_i32_e32 vcc_lo, s44, v0
	s_and_b32 s5, vcc_lo, s4
	s_delay_alu instid0(SALU_CYCLE_1)
	s_and_saveexec_b32 s7, s5
	s_cbranch_execz .LBB9_228
; %bb.227:                              ;   in Loop: Header=BB9_13 Depth=1
	scratch_load_b32 v1, off, off offset:132 ; 4-byte Folded Reload
	s_waitcnt vmcnt(0)
	v_add_nc_u32_e32 v5, 0, v1
	scratch_load_b32 v1, off, off offset:136 ; 4-byte Folded Reload
	s_waitcnt vmcnt(0)
	ds_load_2addr_stride64_b32 v[1:2], v1 offset1:11
	ds_load_2addr_b32 v[3:4], v5 offset0:40 offset1:41
	ds_load_b32 v5, v5 offset:2976
	scratch_load_b64 v[13:14], off, off offset:8 ; 8-byte Folded Reload
	s_waitcnt lgkmcnt(1)
	v_fma_mix_f32 v6, v3, v1, 0 op_sel_hi:[0,1,0]
	v_fma_mix_f32 v1, v3, v1, 0 op_sel:[0,1,0] op_sel_hi:[0,1,0]
	s_waitcnt lgkmcnt(0)
	s_delay_alu instid0(VALU_DEP_2) | instskip(NEXT) | instid1(VALU_DEP_2)
	v_fma_mix_f32 v6, v5, v2, v6 op_sel_hi:[0,1,0]
	v_fma_mix_f32 v5, v5, v2, v1 op_sel:[0,1,0] op_sel_hi:[0,1,0]
	s_delay_alu instid0(VALU_DEP_2) | instskip(NEXT) | instid1(VALU_DEP_2)
	v_div_scale_f32 v7, null, v4, v4, v6
	v_div_scale_f32 v8, null, v4, v4, v5
	v_div_scale_f32 v11, vcc_lo, v6, v4, v6
	s_delay_alu instid0(VALU_DEP_3) | instskip(NEXT) | instid1(VALU_DEP_2)
	v_rcp_f32_e32 v9, v7
	v_rcp_f32_e32 v10, v8
	v_div_scale_f32 v12, s5, v5, v4, v5
	s_waitcnt_depctr 0xfff
	v_fma_f32 v1, -v7, v9, 1.0
	v_fma_f32 v2, -v8, v10, 1.0
	s_delay_alu instid0(VALU_DEP_1) | instskip(SKIP_2) | instid1(VALU_DEP_2)
	v_dual_fmac_f32 v9, v1, v9 :: v_dual_fmac_f32 v10, v2, v10
	s_waitcnt vmcnt(0)
	v_mad_u64_u32 v[1:2], null, v0, s45, v[13:14]
	v_dual_mul_f32 v0, v11, v9 :: v_dual_mul_f32 v13, v12, v10
	s_delay_alu instid0(VALU_DEP_1) | instskip(NEXT) | instid1(VALU_DEP_2)
	v_fma_f32 v14, -v7, v0, v11
	v_fma_f32 v15, -v8, v13, v12
	s_delay_alu instid0(VALU_DEP_4) | instskip(NEXT) | instid1(VALU_DEP_2)
	v_mad_u64_u32 v[2:3], null, v1, 40, v[236:237]
	v_dual_fmac_f32 v0, v14, v9 :: v_dual_fmac_f32 v13, v15, v10
	s_delay_alu instid0(VALU_DEP_1) | instskip(NEXT) | instid1(VALU_DEP_3)
	v_fma_f32 v1, -v7, v0, v11
	v_ashrrev_i32_e32 v3, 31, v2
	s_delay_alu instid0(VALU_DEP_3) | instskip(NEXT) | instid1(VALU_DEP_3)
	v_fma_f32 v7, -v8, v13, v12
	v_div_fmas_f32 v8, v1, v9, v0
	s_mov_b32 vcc_lo, s5
	s_delay_alu instid0(VALU_DEP_3) | instskip(NEXT) | instid1(VALU_DEP_3)
	v_lshlrev_b64 v[0:1], 3, v[2:3]
	v_div_fmas_f32 v7, v7, v10, v13
	s_delay_alu instid0(VALU_DEP_3) | instskip(NEXT) | instid1(VALU_DEP_2)
	v_div_fixup_f32 v2, v8, v4, v6
	v_div_fixup_f32 v3, v7, v4, v5
	s_delay_alu instid0(VALU_DEP_4)
	v_add_co_u32 v4, vcc_lo, s47, v0
	v_add_co_ci_u32_e32 v5, vcc_lo, s67, v1, vcc_lo
	v_mov_b32_e32 v1, 0
	global_store_b64 v[4:5], v[2:3], off
.LBB9_228:                              ;   in Loop: Header=BB9_13 Depth=1
	s_or_b32 exec_lo, exec_lo, s7
	s_mov_b32 s5, -1
	s_mov_b32 s7, exec_lo
	v_cmpx_gt_i32_e32 0x47, v1
; %bb.229:                              ;   in Loop: Header=BB9_13 Depth=1
	v_cmp_eq_u32_e32 vcc_lo, 0, v1
	s_or_not1_b32 s5, vcc_lo, exec_lo
; %bb.230:                              ;   in Loop: Header=BB9_13 Depth=1
	s_or_b32 exec_lo, exec_lo, s7
	s_and_saveexec_b32 s7, s5
	s_cbranch_execz .LBB9_303
; %bb.231:                              ;   in Loop: Header=BB9_13 Depth=1
	s_clause 0x1
	scratch_load_b32 v0, off, off offset:152
	scratch_load_b64 v[1:2], off, off offset:112
	s_waitcnt vmcnt(1)
	v_add_nc_u32_e32 v0, s74, v0
	s_waitcnt vmcnt(0)
	v_or_b32_e32 v1, s96, v1
	s_delay_alu instid0(VALU_DEP_1) | instskip(SKIP_2) | instid1(VALU_DEP_3)
	v_cmp_gt_i32_e64 s5, s33, v1
	v_mov_b32_e32 v1, 0x47
	v_cmp_gt_i32_e32 vcc_lo, s44, v0
	s_and_b32 s5, vcc_lo, s5
	s_delay_alu instid0(SALU_CYCLE_1)
	s_and_saveexec_b32 s8, s5
	s_cbranch_execz .LBB9_233
; %bb.232:                              ;   in Loop: Header=BB9_13 Depth=1
	scratch_load_b32 v1, off, off offset:284 ; 4-byte Folded Reload
	s_waitcnt vmcnt(0)
	v_add_nc_u32_e32 v5, 0, v1
	scratch_load_b32 v1, off, off offset:288 ; 4-byte Folded Reload
	s_waitcnt vmcnt(0)
	ds_load_2addr_stride64_b32 v[1:2], v1 offset1:11
	ds_load_2addr_b32 v[3:4], v5 offset0:40 offset1:41
	ds_load_b32 v5, v5 offset:2976
	scratch_load_b64 v[13:14], off, off offset:112 ; 8-byte Folded Reload
	s_waitcnt lgkmcnt(1)
	v_fma_mix_f32 v6, v3, v1, 0 op_sel_hi:[0,1,0]
	v_fma_mix_f32 v1, v3, v1, 0 op_sel:[0,1,0] op_sel_hi:[0,1,0]
	s_waitcnt lgkmcnt(0)
	s_delay_alu instid0(VALU_DEP_2) | instskip(NEXT) | instid1(VALU_DEP_2)
	v_fma_mix_f32 v6, v5, v2, v6 op_sel_hi:[0,1,0]
	v_fma_mix_f32 v5, v5, v2, v1 op_sel:[0,1,0] op_sel_hi:[0,1,0]
	s_delay_alu instid0(VALU_DEP_2) | instskip(NEXT) | instid1(VALU_DEP_2)
	v_div_scale_f32 v7, null, v4, v4, v6
	v_div_scale_f32 v8, null, v4, v4, v5
	v_div_scale_f32 v11, vcc_lo, v6, v4, v6
	s_delay_alu instid0(VALU_DEP_3) | instskip(NEXT) | instid1(VALU_DEP_2)
	v_rcp_f32_e32 v9, v7
	v_rcp_f32_e32 v10, v8
	v_div_scale_f32 v12, s5, v5, v4, v5
	s_waitcnt_depctr 0xfff
	v_fma_f32 v1, -v7, v9, 1.0
	v_fma_f32 v2, -v8, v10, 1.0
	s_delay_alu instid0(VALU_DEP_1) | instskip(SKIP_2) | instid1(VALU_DEP_2)
	v_dual_fmac_f32 v9, v1, v9 :: v_dual_fmac_f32 v10, v2, v10
	s_waitcnt vmcnt(0)
	v_mad_u64_u32 v[1:2], null, v0, s45, v[13:14]
	v_dual_mul_f32 v0, v11, v9 :: v_dual_mul_f32 v13, v12, v10
	s_delay_alu instid0(VALU_DEP_1) | instskip(NEXT) | instid1(VALU_DEP_2)
	v_fma_f32 v14, -v7, v0, v11
	v_fma_f32 v15, -v8, v13, v12
	s_delay_alu instid0(VALU_DEP_4) | instskip(NEXT) | instid1(VALU_DEP_2)
	v_mad_u64_u32 v[2:3], null, v1, 40, v[236:237]
	v_dual_fmac_f32 v0, v14, v9 :: v_dual_fmac_f32 v13, v15, v10
	s_delay_alu instid0(VALU_DEP_1) | instskip(NEXT) | instid1(VALU_DEP_3)
	v_fma_f32 v1, -v7, v0, v11
	v_ashrrev_i32_e32 v3, 31, v2
	s_delay_alu instid0(VALU_DEP_3) | instskip(NEXT) | instid1(VALU_DEP_3)
	v_fma_f32 v7, -v8, v13, v12
	v_div_fmas_f32 v8, v1, v9, v0
	s_mov_b32 vcc_lo, s5
	s_delay_alu instid0(VALU_DEP_3) | instskip(NEXT) | instid1(VALU_DEP_3)
	v_lshlrev_b64 v[0:1], 3, v[2:3]
	v_div_fmas_f32 v7, v7, v10, v13
	s_delay_alu instid0(VALU_DEP_3) | instskip(NEXT) | instid1(VALU_DEP_2)
	v_div_fixup_f32 v2, v8, v4, v6
	v_div_fixup_f32 v3, v7, v4, v5
	s_delay_alu instid0(VALU_DEP_4)
	v_add_co_u32 v4, vcc_lo, s47, v0
	v_add_co_ci_u32_e32 v5, vcc_lo, s67, v1, vcc_lo
	v_mov_b32_e32 v1, 0
	global_store_b64 v[4:5], v[2:3], off
.LBB9_233:                              ;   in Loop: Header=BB9_13 Depth=1
	s_or_b32 exec_lo, exec_lo, s8
	s_mov_b32 s5, -1
	s_mov_b32 s8, exec_lo
	v_cmpx_gt_i32_e32 0x47, v1
; %bb.234:                              ;   in Loop: Header=BB9_13 Depth=1
	v_cmp_eq_u32_e32 vcc_lo, 0, v1
	s_or_not1_b32 s5, vcc_lo, exec_lo
; %bb.235:                              ;   in Loop: Header=BB9_13 Depth=1
	s_or_b32 exec_lo, exec_lo, s8
	s_delay_alu instid0(SALU_CYCLE_1)
	s_and_b32 exec_lo, exec_lo, s5
	s_cbranch_execz .LBB9_303
; %bb.236:                              ;   in Loop: Header=BB9_13 Depth=1
	scratch_load_b32 v0, off, off offset:292 ; 4-byte Folded Reload
	s_waitcnt vmcnt(0)
	v_dual_mov_b32 v1, 0x47 :: v_dual_add_nc_u32 v0, s74, v0
	s_delay_alu instid0(VALU_DEP_1) | instskip(SKIP_1) | instid1(SALU_CYCLE_1)
	v_cmp_gt_i32_e32 vcc_lo, s44, v0
	s_and_b32 s5, vcc_lo, s4
	s_and_saveexec_b32 s8, s5
	s_cbranch_execz .LBB9_238
; %bb.237:                              ;   in Loop: Header=BB9_13 Depth=1
	scratch_load_b32 v1, off, off offset:316 ; 4-byte Folded Reload
	s_waitcnt vmcnt(0)
	v_add_nc_u32_e32 v5, 0, v1
	scratch_load_b32 v1, off, off offset:320 ; 4-byte Folded Reload
	s_waitcnt vmcnt(0)
	ds_load_2addr_stride64_b32 v[1:2], v1 offset1:11
	ds_load_2addr_b32 v[3:4], v5 offset0:40 offset1:41
	ds_load_b32 v5, v5 offset:2976
	scratch_load_b64 v[13:14], off, off offset:8 ; 8-byte Folded Reload
	s_waitcnt lgkmcnt(1)
	v_fma_mix_f32 v6, v3, v1, 0 op_sel_hi:[0,1,0]
	v_fma_mix_f32 v1, v3, v1, 0 op_sel:[0,1,0] op_sel_hi:[0,1,0]
	s_waitcnt lgkmcnt(0)
	s_delay_alu instid0(VALU_DEP_2) | instskip(NEXT) | instid1(VALU_DEP_2)
	v_fma_mix_f32 v6, v5, v2, v6 op_sel_hi:[0,1,0]
	v_fma_mix_f32 v5, v5, v2, v1 op_sel:[0,1,0] op_sel_hi:[0,1,0]
	s_delay_alu instid0(VALU_DEP_2) | instskip(NEXT) | instid1(VALU_DEP_2)
	v_div_scale_f32 v7, null, v4, v4, v6
	v_div_scale_f32 v8, null, v4, v4, v5
	v_div_scale_f32 v11, vcc_lo, v6, v4, v6
	s_delay_alu instid0(VALU_DEP_3) | instskip(NEXT) | instid1(VALU_DEP_2)
	v_rcp_f32_e32 v9, v7
	v_rcp_f32_e32 v10, v8
	v_div_scale_f32 v12, s5, v5, v4, v5
	s_waitcnt_depctr 0xfff
	v_fma_f32 v1, -v7, v9, 1.0
	v_fma_f32 v2, -v8, v10, 1.0
	s_delay_alu instid0(VALU_DEP_1) | instskip(SKIP_2) | instid1(VALU_DEP_2)
	v_dual_fmac_f32 v9, v1, v9 :: v_dual_fmac_f32 v10, v2, v10
	s_waitcnt vmcnt(0)
	v_mad_u64_u32 v[1:2], null, v0, s45, v[13:14]
	v_dual_mul_f32 v0, v11, v9 :: v_dual_mul_f32 v13, v12, v10
	s_delay_alu instid0(VALU_DEP_1) | instskip(NEXT) | instid1(VALU_DEP_2)
	v_fma_f32 v14, -v7, v0, v11
	v_fma_f32 v15, -v8, v13, v12
	s_delay_alu instid0(VALU_DEP_4) | instskip(NEXT) | instid1(VALU_DEP_2)
	v_mad_u64_u32 v[2:3], null, v1, 40, v[236:237]
	v_dual_fmac_f32 v0, v14, v9 :: v_dual_fmac_f32 v13, v15, v10
	s_delay_alu instid0(VALU_DEP_1) | instskip(NEXT) | instid1(VALU_DEP_3)
	v_fma_f32 v1, -v7, v0, v11
	v_ashrrev_i32_e32 v3, 31, v2
	s_delay_alu instid0(VALU_DEP_3) | instskip(NEXT) | instid1(VALU_DEP_3)
	v_fma_f32 v7, -v8, v13, v12
	v_div_fmas_f32 v8, v1, v9, v0
	s_mov_b32 vcc_lo, s5
	s_delay_alu instid0(VALU_DEP_3) | instskip(NEXT) | instid1(VALU_DEP_3)
	v_lshlrev_b64 v[0:1], 3, v[2:3]
	v_div_fmas_f32 v7, v7, v10, v13
	s_delay_alu instid0(VALU_DEP_3) | instskip(NEXT) | instid1(VALU_DEP_2)
	v_div_fixup_f32 v2, v8, v4, v6
	v_div_fixup_f32 v3, v7, v4, v5
	s_delay_alu instid0(VALU_DEP_4)
	v_add_co_u32 v4, vcc_lo, s47, v0
	v_add_co_ci_u32_e32 v5, vcc_lo, s67, v1, vcc_lo
	v_mov_b32_e32 v1, 0
	global_store_b64 v[4:5], v[2:3], off
.LBB9_238:                              ;   in Loop: Header=BB9_13 Depth=1
	s_or_b32 exec_lo, exec_lo, s8
	s_mov_b32 s5, -1
	s_mov_b32 s8, exec_lo
	v_cmpx_gt_i32_e32 0x47, v1
; %bb.239:                              ;   in Loop: Header=BB9_13 Depth=1
	v_cmp_eq_u32_e32 vcc_lo, 0, v1
	s_or_not1_b32 s5, vcc_lo, exec_lo
; %bb.240:                              ;   in Loop: Header=BB9_13 Depth=1
	s_or_b32 exec_lo, exec_lo, s8
	s_delay_alu instid0(SALU_CYCLE_1)
	s_and_b32 exec_lo, exec_lo, s5
	s_cbranch_execz .LBB9_303
; %bb.241:                              ;   in Loop: Header=BB9_13 Depth=1
	s_clause 0x1
	scratch_load_b32 v0, off, off offset:336
	scratch_load_b64 v[1:2], off, off offset:308
	s_waitcnt vmcnt(1)
	v_add_nc_u32_e32 v0, s74, v0
	s_waitcnt vmcnt(0)
	v_or_b32_e32 v1, s96, v1
	s_delay_alu instid0(VALU_DEP_1) | instskip(SKIP_2) | instid1(VALU_DEP_3)
	v_cmp_gt_i32_e64 s5, s33, v1
	v_mov_b32_e32 v1, 0x47
	v_cmp_gt_i32_e32 vcc_lo, s44, v0
	s_and_b32 s5, vcc_lo, s5
	s_delay_alu instid0(SALU_CYCLE_1)
	s_and_saveexec_b32 s8, s5
	s_cbranch_execz .LBB9_243
; %bb.242:                              ;   in Loop: Header=BB9_13 Depth=1
	scratch_load_b32 v1, off, off offset:348 ; 4-byte Folded Reload
	s_waitcnt vmcnt(0)
	v_add_nc_u32_e32 v5, 0, v1
	scratch_load_b32 v1, off, off offset:352 ; 4-byte Folded Reload
	s_waitcnt vmcnt(0)
	ds_load_2addr_stride64_b32 v[1:2], v1 offset1:11
	ds_load_2addr_b32 v[3:4], v5 offset0:40 offset1:41
	ds_load_b32 v5, v5 offset:2976
	scratch_load_b64 v[13:14], off, off offset:308 ; 8-byte Folded Reload
	s_waitcnt lgkmcnt(1)
	v_fma_mix_f32 v6, v3, v1, 0 op_sel_hi:[0,1,0]
	v_fma_mix_f32 v1, v3, v1, 0 op_sel:[0,1,0] op_sel_hi:[0,1,0]
	s_waitcnt lgkmcnt(0)
	s_delay_alu instid0(VALU_DEP_2) | instskip(NEXT) | instid1(VALU_DEP_2)
	v_fma_mix_f32 v6, v5, v2, v6 op_sel_hi:[0,1,0]
	v_fma_mix_f32 v5, v5, v2, v1 op_sel:[0,1,0] op_sel_hi:[0,1,0]
	s_delay_alu instid0(VALU_DEP_2) | instskip(NEXT) | instid1(VALU_DEP_2)
	v_div_scale_f32 v7, null, v4, v4, v6
	v_div_scale_f32 v8, null, v4, v4, v5
	v_div_scale_f32 v11, vcc_lo, v6, v4, v6
	s_delay_alu instid0(VALU_DEP_3) | instskip(NEXT) | instid1(VALU_DEP_2)
	v_rcp_f32_e32 v9, v7
	v_rcp_f32_e32 v10, v8
	v_div_scale_f32 v12, s5, v5, v4, v5
	s_waitcnt_depctr 0xfff
	v_fma_f32 v1, -v7, v9, 1.0
	v_fma_f32 v2, -v8, v10, 1.0
	s_delay_alu instid0(VALU_DEP_1) | instskip(SKIP_2) | instid1(VALU_DEP_2)
	v_dual_fmac_f32 v9, v1, v9 :: v_dual_fmac_f32 v10, v2, v10
	s_waitcnt vmcnt(0)
	v_mad_u64_u32 v[1:2], null, v0, s45, v[13:14]
	v_dual_mul_f32 v0, v11, v9 :: v_dual_mul_f32 v13, v12, v10
	s_delay_alu instid0(VALU_DEP_1) | instskip(NEXT) | instid1(VALU_DEP_2)
	v_fma_f32 v14, -v7, v0, v11
	v_fma_f32 v15, -v8, v13, v12
	s_delay_alu instid0(VALU_DEP_4) | instskip(NEXT) | instid1(VALU_DEP_2)
	v_mad_u64_u32 v[2:3], null, v1, 40, v[236:237]
	v_dual_fmac_f32 v0, v14, v9 :: v_dual_fmac_f32 v13, v15, v10
	s_delay_alu instid0(VALU_DEP_1) | instskip(NEXT) | instid1(VALU_DEP_3)
	v_fma_f32 v1, -v7, v0, v11
	v_ashrrev_i32_e32 v3, 31, v2
	s_delay_alu instid0(VALU_DEP_3) | instskip(NEXT) | instid1(VALU_DEP_3)
	v_fma_f32 v7, -v8, v13, v12
	v_div_fmas_f32 v8, v1, v9, v0
	s_mov_b32 vcc_lo, s5
	s_delay_alu instid0(VALU_DEP_3) | instskip(NEXT) | instid1(VALU_DEP_3)
	v_lshlrev_b64 v[0:1], 3, v[2:3]
	v_div_fmas_f32 v7, v7, v10, v13
	s_delay_alu instid0(VALU_DEP_3) | instskip(NEXT) | instid1(VALU_DEP_2)
	v_div_fixup_f32 v2, v8, v4, v6
	v_div_fixup_f32 v3, v7, v4, v5
	s_delay_alu instid0(VALU_DEP_4)
	v_add_co_u32 v4, vcc_lo, s47, v0
	v_add_co_ci_u32_e32 v5, vcc_lo, s67, v1, vcc_lo
	v_mov_b32_e32 v1, 0
	global_store_b64 v[4:5], v[2:3], off
.LBB9_243:                              ;   in Loop: Header=BB9_13 Depth=1
	s_or_b32 exec_lo, exec_lo, s8
	s_mov_b32 s5, -1
	s_mov_b32 s8, exec_lo
	v_cmpx_gt_i32_e32 0x47, v1
; %bb.244:                              ;   in Loop: Header=BB9_13 Depth=1
	v_cmp_eq_u32_e32 vcc_lo, 0, v1
	s_or_not1_b32 s5, vcc_lo, exec_lo
; %bb.245:                              ;   in Loop: Header=BB9_13 Depth=1
	s_or_b32 exec_lo, exec_lo, s8
	s_delay_alu instid0(SALU_CYCLE_1)
	s_and_b32 exec_lo, exec_lo, s5
	s_cbranch_execz .LBB9_303
; %bb.246:                              ;   in Loop: Header=BB9_13 Depth=1
	scratch_load_b32 v0, off, off offset:356 ; 4-byte Folded Reload
	s_waitcnt vmcnt(0)
	v_dual_mov_b32 v1, 0x47 :: v_dual_add_nc_u32 v0, s74, v0
	s_delay_alu instid0(VALU_DEP_1) | instskip(SKIP_1) | instid1(SALU_CYCLE_1)
	v_cmp_gt_i32_e32 vcc_lo, s44, v0
	s_and_b32 s5, vcc_lo, s4
	s_and_saveexec_b32 s8, s5
	s_cbranch_execz .LBB9_248
; %bb.247:                              ;   in Loop: Header=BB9_13 Depth=1
	scratch_load_b32 v1, off, off offset:400 ; 4-byte Folded Reload
	s_waitcnt vmcnt(0)
	v_add_nc_u32_e32 v5, 0, v1
	scratch_load_b32 v1, off, off offset:404 ; 4-byte Folded Reload
	s_waitcnt vmcnt(0)
	ds_load_2addr_stride64_b32 v[1:2], v1 offset1:11
	ds_load_2addr_b32 v[3:4], v5 offset0:40 offset1:41
	ds_load_b32 v5, v5 offset:2976
	scratch_load_b64 v[13:14], off, off offset:8 ; 8-byte Folded Reload
	s_waitcnt lgkmcnt(1)
	v_fma_mix_f32 v6, v3, v1, 0 op_sel_hi:[0,1,0]
	v_fma_mix_f32 v1, v3, v1, 0 op_sel:[0,1,0] op_sel_hi:[0,1,0]
	s_waitcnt lgkmcnt(0)
	s_delay_alu instid0(VALU_DEP_2) | instskip(NEXT) | instid1(VALU_DEP_2)
	v_fma_mix_f32 v6, v5, v2, v6 op_sel_hi:[0,1,0]
	v_fma_mix_f32 v5, v5, v2, v1 op_sel:[0,1,0] op_sel_hi:[0,1,0]
	s_delay_alu instid0(VALU_DEP_2) | instskip(NEXT) | instid1(VALU_DEP_2)
	v_div_scale_f32 v7, null, v4, v4, v6
	v_div_scale_f32 v8, null, v4, v4, v5
	v_div_scale_f32 v11, vcc_lo, v6, v4, v6
	s_delay_alu instid0(VALU_DEP_3) | instskip(NEXT) | instid1(VALU_DEP_2)
	v_rcp_f32_e32 v9, v7
	v_rcp_f32_e32 v10, v8
	v_div_scale_f32 v12, s5, v5, v4, v5
	s_waitcnt_depctr 0xfff
	v_fma_f32 v1, -v7, v9, 1.0
	v_fma_f32 v2, -v8, v10, 1.0
	s_delay_alu instid0(VALU_DEP_1) | instskip(SKIP_2) | instid1(VALU_DEP_2)
	v_dual_fmac_f32 v9, v1, v9 :: v_dual_fmac_f32 v10, v2, v10
	s_waitcnt vmcnt(0)
	v_mad_u64_u32 v[1:2], null, v0, s45, v[13:14]
	v_dual_mul_f32 v0, v11, v9 :: v_dual_mul_f32 v13, v12, v10
	s_delay_alu instid0(VALU_DEP_1) | instskip(NEXT) | instid1(VALU_DEP_2)
	v_fma_f32 v14, -v7, v0, v11
	v_fma_f32 v15, -v8, v13, v12
	s_delay_alu instid0(VALU_DEP_4) | instskip(NEXT) | instid1(VALU_DEP_2)
	v_mad_u64_u32 v[2:3], null, v1, 40, v[236:237]
	v_dual_fmac_f32 v0, v14, v9 :: v_dual_fmac_f32 v13, v15, v10
	s_delay_alu instid0(VALU_DEP_1) | instskip(NEXT) | instid1(VALU_DEP_3)
	v_fma_f32 v1, -v7, v0, v11
	v_ashrrev_i32_e32 v3, 31, v2
	s_delay_alu instid0(VALU_DEP_3) | instskip(NEXT) | instid1(VALU_DEP_3)
	v_fma_f32 v7, -v8, v13, v12
	v_div_fmas_f32 v8, v1, v9, v0
	s_mov_b32 vcc_lo, s5
	s_delay_alu instid0(VALU_DEP_3) | instskip(NEXT) | instid1(VALU_DEP_3)
	v_lshlrev_b64 v[0:1], 3, v[2:3]
	v_div_fmas_f32 v7, v7, v10, v13
	s_delay_alu instid0(VALU_DEP_3) | instskip(NEXT) | instid1(VALU_DEP_2)
	v_div_fixup_f32 v2, v8, v4, v6
	v_div_fixup_f32 v3, v7, v4, v5
	s_delay_alu instid0(VALU_DEP_4)
	v_add_co_u32 v4, vcc_lo, s47, v0
	v_add_co_ci_u32_e32 v5, vcc_lo, s67, v1, vcc_lo
	v_mov_b32_e32 v1, 0
	global_store_b64 v[4:5], v[2:3], off
.LBB9_248:                              ;   in Loop: Header=BB9_13 Depth=1
	s_or_b32 exec_lo, exec_lo, s8
	s_mov_b32 s5, -1
	s_mov_b32 s8, exec_lo
	v_cmpx_gt_i32_e32 0x47, v1
; %bb.249:                              ;   in Loop: Header=BB9_13 Depth=1
	v_cmp_eq_u32_e32 vcc_lo, 0, v1
	s_or_not1_b32 s5, vcc_lo, exec_lo
; %bb.250:                              ;   in Loop: Header=BB9_13 Depth=1
	s_or_b32 exec_lo, exec_lo, s8
	s_delay_alu instid0(SALU_CYCLE_1)
	s_and_b32 exec_lo, exec_lo, s5
	s_cbranch_execz .LBB9_303
; %bb.251:                              ;   in Loop: Header=BB9_13 Depth=1
	s_clause 0x1
	scratch_load_b32 v0, off, off offset:408
	scratch_load_b64 v[1:2], off, off offset:392
	s_waitcnt vmcnt(1)
	v_add_nc_u32_e32 v0, s74, v0
	s_waitcnt vmcnt(0)
	v_or_b32_e32 v1, s96, v1
	s_delay_alu instid0(VALU_DEP_1) | instskip(SKIP_2) | instid1(VALU_DEP_3)
	v_cmp_gt_i32_e64 s5, s33, v1
	v_mov_b32_e32 v1, 0x47
	v_cmp_gt_i32_e32 vcc_lo, s44, v0
	s_and_b32 s5, vcc_lo, s5
	s_delay_alu instid0(SALU_CYCLE_1)
	s_and_saveexec_b32 s8, s5
	s_cbranch_execz .LBB9_253
; %bb.252:                              ;   in Loop: Header=BB9_13 Depth=1
	scratch_load_b32 v1, off, off offset:412 ; 4-byte Folded Reload
	s_waitcnt vmcnt(0)
	v_add_nc_u32_e32 v5, 0, v1
	scratch_load_b32 v1, off, off offset:416 ; 4-byte Folded Reload
	s_waitcnt vmcnt(0)
	ds_load_2addr_stride64_b32 v[1:2], v1 offset1:11
	ds_load_2addr_b32 v[3:4], v5 offset0:40 offset1:41
	ds_load_b32 v5, v5 offset:2976
	scratch_load_b64 v[13:14], off, off offset:392 ; 8-byte Folded Reload
	s_waitcnt lgkmcnt(1)
	v_fma_mix_f32 v6, v3, v1, 0 op_sel_hi:[0,1,0]
	v_fma_mix_f32 v1, v3, v1, 0 op_sel:[0,1,0] op_sel_hi:[0,1,0]
	s_waitcnt lgkmcnt(0)
	s_delay_alu instid0(VALU_DEP_2) | instskip(NEXT) | instid1(VALU_DEP_2)
	v_fma_mix_f32 v6, v5, v2, v6 op_sel_hi:[0,1,0]
	v_fma_mix_f32 v5, v5, v2, v1 op_sel:[0,1,0] op_sel_hi:[0,1,0]
	s_delay_alu instid0(VALU_DEP_2) | instskip(NEXT) | instid1(VALU_DEP_2)
	v_div_scale_f32 v7, null, v4, v4, v6
	v_div_scale_f32 v8, null, v4, v4, v5
	v_div_scale_f32 v11, vcc_lo, v6, v4, v6
	s_delay_alu instid0(VALU_DEP_3) | instskip(NEXT) | instid1(VALU_DEP_2)
	v_rcp_f32_e32 v9, v7
	v_rcp_f32_e32 v10, v8
	v_div_scale_f32 v12, s5, v5, v4, v5
	s_waitcnt_depctr 0xfff
	v_fma_f32 v1, -v7, v9, 1.0
	v_fma_f32 v2, -v8, v10, 1.0
	s_delay_alu instid0(VALU_DEP_1) | instskip(SKIP_2) | instid1(VALU_DEP_2)
	v_dual_fmac_f32 v9, v1, v9 :: v_dual_fmac_f32 v10, v2, v10
	s_waitcnt vmcnt(0)
	v_mad_u64_u32 v[1:2], null, v0, s45, v[13:14]
	v_dual_mul_f32 v0, v11, v9 :: v_dual_mul_f32 v13, v12, v10
	s_delay_alu instid0(VALU_DEP_1) | instskip(NEXT) | instid1(VALU_DEP_2)
	v_fma_f32 v14, -v7, v0, v11
	v_fma_f32 v15, -v8, v13, v12
	s_delay_alu instid0(VALU_DEP_4) | instskip(NEXT) | instid1(VALU_DEP_2)
	v_mad_u64_u32 v[2:3], null, v1, 40, v[236:237]
	v_dual_fmac_f32 v0, v14, v9 :: v_dual_fmac_f32 v13, v15, v10
	s_delay_alu instid0(VALU_DEP_1) | instskip(NEXT) | instid1(VALU_DEP_3)
	v_fma_f32 v1, -v7, v0, v11
	v_ashrrev_i32_e32 v3, 31, v2
	s_delay_alu instid0(VALU_DEP_3) | instskip(NEXT) | instid1(VALU_DEP_3)
	v_fma_f32 v7, -v8, v13, v12
	v_div_fmas_f32 v8, v1, v9, v0
	s_mov_b32 vcc_lo, s5
	s_delay_alu instid0(VALU_DEP_3) | instskip(NEXT) | instid1(VALU_DEP_3)
	v_lshlrev_b64 v[0:1], 3, v[2:3]
	v_div_fmas_f32 v7, v7, v10, v13
	s_delay_alu instid0(VALU_DEP_3) | instskip(NEXT) | instid1(VALU_DEP_2)
	v_div_fixup_f32 v2, v8, v4, v6
	v_div_fixup_f32 v3, v7, v4, v5
	s_delay_alu instid0(VALU_DEP_4)
	v_add_co_u32 v4, vcc_lo, s47, v0
	v_add_co_ci_u32_e32 v5, vcc_lo, s67, v1, vcc_lo
	v_mov_b32_e32 v1, 0
	global_store_b64 v[4:5], v[2:3], off
.LBB9_253:                              ;   in Loop: Header=BB9_13 Depth=1
	s_or_b32 exec_lo, exec_lo, s8
	s_mov_b32 s5, -1
	s_mov_b32 s8, exec_lo
	v_cmpx_gt_i32_e32 0x47, v1
; %bb.254:                              ;   in Loop: Header=BB9_13 Depth=1
	v_cmp_eq_u32_e32 vcc_lo, 0, v1
	s_or_not1_b32 s5, vcc_lo, exec_lo
; %bb.255:                              ;   in Loop: Header=BB9_13 Depth=1
	s_or_b32 exec_lo, exec_lo, s8
	s_delay_alu instid0(SALU_CYCLE_1)
	s_and_b32 exec_lo, exec_lo, s5
	s_cbranch_execz .LBB9_303
; %bb.256:                              ;   in Loop: Header=BB9_13 Depth=1
	scratch_load_b32 v0, off, off offset:420 ; 4-byte Folded Reload
	s_waitcnt vmcnt(0)
	v_dual_mov_b32 v1, 0x47 :: v_dual_add_nc_u32 v0, s74, v0
	s_delay_alu instid0(VALU_DEP_1) | instskip(SKIP_1) | instid1(SALU_CYCLE_1)
	v_cmp_gt_i32_e32 vcc_lo, s44, v0
	s_and_b32 s5, vcc_lo, s4
	s_and_saveexec_b32 s8, s5
	s_cbranch_execz .LBB9_258
; %bb.257:                              ;   in Loop: Header=BB9_13 Depth=1
	scratch_load_b32 v1, off, off offset:432 ; 4-byte Folded Reload
	s_waitcnt vmcnt(0)
	v_add_nc_u32_e32 v5, 0, v1
	scratch_load_b32 v1, off, off offset:436 ; 4-byte Folded Reload
	s_waitcnt vmcnt(0)
	ds_load_2addr_stride64_b32 v[1:2], v1 offset1:11
	ds_load_2addr_b32 v[3:4], v5 offset0:40 offset1:41
	ds_load_b32 v5, v5 offset:2976
	scratch_load_b64 v[13:14], off, off offset:8 ; 8-byte Folded Reload
	s_waitcnt lgkmcnt(1)
	v_fma_mix_f32 v6, v3, v1, 0 op_sel_hi:[0,1,0]
	v_fma_mix_f32 v1, v3, v1, 0 op_sel:[0,1,0] op_sel_hi:[0,1,0]
	s_waitcnt lgkmcnt(0)
	s_delay_alu instid0(VALU_DEP_2) | instskip(NEXT) | instid1(VALU_DEP_2)
	v_fma_mix_f32 v6, v5, v2, v6 op_sel_hi:[0,1,0]
	v_fma_mix_f32 v5, v5, v2, v1 op_sel:[0,1,0] op_sel_hi:[0,1,0]
	s_delay_alu instid0(VALU_DEP_2) | instskip(NEXT) | instid1(VALU_DEP_2)
	v_div_scale_f32 v7, null, v4, v4, v6
	v_div_scale_f32 v8, null, v4, v4, v5
	v_div_scale_f32 v11, vcc_lo, v6, v4, v6
	s_delay_alu instid0(VALU_DEP_3) | instskip(NEXT) | instid1(VALU_DEP_2)
	v_rcp_f32_e32 v9, v7
	v_rcp_f32_e32 v10, v8
	v_div_scale_f32 v12, s5, v5, v4, v5
	s_waitcnt_depctr 0xfff
	v_fma_f32 v1, -v7, v9, 1.0
	v_fma_f32 v2, -v8, v10, 1.0
	s_delay_alu instid0(VALU_DEP_1) | instskip(SKIP_2) | instid1(VALU_DEP_2)
	v_dual_fmac_f32 v9, v1, v9 :: v_dual_fmac_f32 v10, v2, v10
	s_waitcnt vmcnt(0)
	v_mad_u64_u32 v[1:2], null, v0, s45, v[13:14]
	v_dual_mul_f32 v0, v11, v9 :: v_dual_mul_f32 v13, v12, v10
	s_delay_alu instid0(VALU_DEP_1) | instskip(NEXT) | instid1(VALU_DEP_2)
	v_fma_f32 v14, -v7, v0, v11
	v_fma_f32 v15, -v8, v13, v12
	s_delay_alu instid0(VALU_DEP_4) | instskip(NEXT) | instid1(VALU_DEP_2)
	v_mad_u64_u32 v[2:3], null, v1, 40, v[236:237]
	v_dual_fmac_f32 v0, v14, v9 :: v_dual_fmac_f32 v13, v15, v10
	s_delay_alu instid0(VALU_DEP_1) | instskip(NEXT) | instid1(VALU_DEP_3)
	v_fma_f32 v1, -v7, v0, v11
	v_ashrrev_i32_e32 v3, 31, v2
	s_delay_alu instid0(VALU_DEP_3) | instskip(NEXT) | instid1(VALU_DEP_3)
	v_fma_f32 v7, -v8, v13, v12
	v_div_fmas_f32 v8, v1, v9, v0
	s_mov_b32 vcc_lo, s5
	s_delay_alu instid0(VALU_DEP_3) | instskip(NEXT) | instid1(VALU_DEP_3)
	v_lshlrev_b64 v[0:1], 3, v[2:3]
	v_div_fmas_f32 v7, v7, v10, v13
	s_delay_alu instid0(VALU_DEP_3) | instskip(NEXT) | instid1(VALU_DEP_2)
	v_div_fixup_f32 v2, v8, v4, v6
	v_div_fixup_f32 v3, v7, v4, v5
	s_delay_alu instid0(VALU_DEP_4)
	v_add_co_u32 v4, vcc_lo, s47, v0
	v_add_co_ci_u32_e32 v5, vcc_lo, s67, v1, vcc_lo
	v_mov_b32_e32 v1, 0
	global_store_b64 v[4:5], v[2:3], off
.LBB9_258:                              ;   in Loop: Header=BB9_13 Depth=1
	s_or_b32 exec_lo, exec_lo, s8
	s_mov_b32 s5, -1
	s_mov_b32 s8, exec_lo
	v_cmpx_gt_i32_e32 0x47, v1
; %bb.259:                              ;   in Loop: Header=BB9_13 Depth=1
	v_cmp_eq_u32_e32 vcc_lo, 0, v1
	s_or_not1_b32 s5, vcc_lo, exec_lo
; %bb.260:                              ;   in Loop: Header=BB9_13 Depth=1
	s_or_b32 exec_lo, exec_lo, s8
	s_delay_alu instid0(SALU_CYCLE_1)
	s_and_b32 exec_lo, exec_lo, s5
	s_cbranch_execz .LBB9_303
; %bb.261:                              ;   in Loop: Header=BB9_13 Depth=1
	s_clause 0x1
	scratch_load_b32 v0, off, off offset:440
	scratch_load_b64 v[1:2], off, off offset:424
	s_waitcnt vmcnt(1)
	v_add_nc_u32_e32 v0, s74, v0
	s_waitcnt vmcnt(0)
	v_or_b32_e32 v1, s96, v1
	s_delay_alu instid0(VALU_DEP_1) | instskip(SKIP_2) | instid1(VALU_DEP_3)
	v_cmp_gt_i32_e64 s5, s33, v1
	v_mov_b32_e32 v1, 0x47
	v_cmp_gt_i32_e32 vcc_lo, s44, v0
	s_and_b32 s5, vcc_lo, s5
	s_delay_alu instid0(SALU_CYCLE_1)
	s_and_saveexec_b32 s8, s5
	s_cbranch_execz .LBB9_263
; %bb.262:                              ;   in Loop: Header=BB9_13 Depth=1
	scratch_load_b32 v1, off, off offset:444 ; 4-byte Folded Reload
	s_waitcnt vmcnt(0)
	v_add_nc_u32_e32 v5, 0, v1
	scratch_load_b32 v1, off, off offset:448 ; 4-byte Folded Reload
	s_waitcnt vmcnt(0)
	ds_load_2addr_stride64_b32 v[1:2], v1 offset1:11
	ds_load_2addr_b32 v[3:4], v5 offset0:40 offset1:41
	ds_load_b32 v5, v5 offset:2976
	scratch_load_b64 v[13:14], off, off offset:424 ; 8-byte Folded Reload
	s_waitcnt lgkmcnt(1)
	v_fma_mix_f32 v6, v3, v1, 0 op_sel_hi:[0,1,0]
	v_fma_mix_f32 v1, v3, v1, 0 op_sel:[0,1,0] op_sel_hi:[0,1,0]
	s_waitcnt lgkmcnt(0)
	s_delay_alu instid0(VALU_DEP_2) | instskip(NEXT) | instid1(VALU_DEP_2)
	v_fma_mix_f32 v6, v5, v2, v6 op_sel_hi:[0,1,0]
	v_fma_mix_f32 v5, v5, v2, v1 op_sel:[0,1,0] op_sel_hi:[0,1,0]
	s_delay_alu instid0(VALU_DEP_2) | instskip(NEXT) | instid1(VALU_DEP_2)
	v_div_scale_f32 v7, null, v4, v4, v6
	v_div_scale_f32 v8, null, v4, v4, v5
	v_div_scale_f32 v11, vcc_lo, v6, v4, v6
	s_delay_alu instid0(VALU_DEP_3) | instskip(NEXT) | instid1(VALU_DEP_2)
	v_rcp_f32_e32 v9, v7
	v_rcp_f32_e32 v10, v8
	v_div_scale_f32 v12, s5, v5, v4, v5
	s_waitcnt_depctr 0xfff
	v_fma_f32 v1, -v7, v9, 1.0
	v_fma_f32 v2, -v8, v10, 1.0
	s_delay_alu instid0(VALU_DEP_1) | instskip(SKIP_2) | instid1(VALU_DEP_2)
	v_dual_fmac_f32 v9, v1, v9 :: v_dual_fmac_f32 v10, v2, v10
	s_waitcnt vmcnt(0)
	v_mad_u64_u32 v[1:2], null, v0, s45, v[13:14]
	v_dual_mul_f32 v0, v11, v9 :: v_dual_mul_f32 v13, v12, v10
	s_delay_alu instid0(VALU_DEP_1) | instskip(NEXT) | instid1(VALU_DEP_2)
	v_fma_f32 v14, -v7, v0, v11
	v_fma_f32 v15, -v8, v13, v12
	s_delay_alu instid0(VALU_DEP_4) | instskip(NEXT) | instid1(VALU_DEP_2)
	v_mad_u64_u32 v[2:3], null, v1, 40, v[236:237]
	v_dual_fmac_f32 v0, v14, v9 :: v_dual_fmac_f32 v13, v15, v10
	s_delay_alu instid0(VALU_DEP_1) | instskip(NEXT) | instid1(VALU_DEP_3)
	v_fma_f32 v1, -v7, v0, v11
	v_ashrrev_i32_e32 v3, 31, v2
	s_delay_alu instid0(VALU_DEP_3) | instskip(NEXT) | instid1(VALU_DEP_3)
	v_fma_f32 v7, -v8, v13, v12
	v_div_fmas_f32 v8, v1, v9, v0
	s_mov_b32 vcc_lo, s5
	s_delay_alu instid0(VALU_DEP_3) | instskip(NEXT) | instid1(VALU_DEP_3)
	v_lshlrev_b64 v[0:1], 3, v[2:3]
	v_div_fmas_f32 v7, v7, v10, v13
	s_delay_alu instid0(VALU_DEP_3) | instskip(NEXT) | instid1(VALU_DEP_2)
	v_div_fixup_f32 v2, v8, v4, v6
	v_div_fixup_f32 v3, v7, v4, v5
	s_delay_alu instid0(VALU_DEP_4)
	v_add_co_u32 v4, vcc_lo, s47, v0
	v_add_co_ci_u32_e32 v5, vcc_lo, s67, v1, vcc_lo
	v_mov_b32_e32 v1, 0
	global_store_b64 v[4:5], v[2:3], off
.LBB9_263:                              ;   in Loop: Header=BB9_13 Depth=1
	s_or_b32 exec_lo, exec_lo, s8
	s_mov_b32 s5, -1
	s_mov_b32 s8, exec_lo
	v_cmpx_gt_i32_e32 0x47, v1
; %bb.264:                              ;   in Loop: Header=BB9_13 Depth=1
	v_cmp_eq_u32_e32 vcc_lo, 0, v1
	s_or_not1_b32 s5, vcc_lo, exec_lo
; %bb.265:                              ;   in Loop: Header=BB9_13 Depth=1
	s_or_b32 exec_lo, exec_lo, s8
	s_delay_alu instid0(SALU_CYCLE_1)
	s_and_b32 exec_lo, exec_lo, s5
	s_cbranch_execz .LBB9_303
; %bb.266:                              ;   in Loop: Header=BB9_13 Depth=1
	scratch_load_b32 v0, off, off offset:452 ; 4-byte Folded Reload
	s_waitcnt vmcnt(0)
	v_dual_mov_b32 v1, 0x47 :: v_dual_add_nc_u32 v0, s74, v0
	s_delay_alu instid0(VALU_DEP_1) | instskip(SKIP_1) | instid1(SALU_CYCLE_1)
	v_cmp_gt_i32_e32 vcc_lo, s44, v0
	s_and_b32 s5, vcc_lo, s4
	s_and_saveexec_b32 s8, s5
	s_cbranch_execz .LBB9_268
; %bb.267:                              ;   in Loop: Header=BB9_13 Depth=1
	scratch_load_b32 v1, off, off offset:464 ; 4-byte Folded Reload
	s_waitcnt vmcnt(0)
	v_add_nc_u32_e32 v5, 0, v1
	scratch_load_b32 v1, off, off offset:468 ; 4-byte Folded Reload
	s_waitcnt vmcnt(0)
	ds_load_2addr_stride64_b32 v[1:2], v1 offset1:11
	ds_load_2addr_b32 v[3:4], v5 offset0:40 offset1:41
	ds_load_b32 v5, v5 offset:2976
	scratch_load_b64 v[13:14], off, off offset:8 ; 8-byte Folded Reload
	s_waitcnt lgkmcnt(1)
	v_fma_mix_f32 v6, v3, v1, 0 op_sel_hi:[0,1,0]
	v_fma_mix_f32 v1, v3, v1, 0 op_sel:[0,1,0] op_sel_hi:[0,1,0]
	s_waitcnt lgkmcnt(0)
	s_delay_alu instid0(VALU_DEP_2) | instskip(NEXT) | instid1(VALU_DEP_2)
	v_fma_mix_f32 v6, v5, v2, v6 op_sel_hi:[0,1,0]
	v_fma_mix_f32 v5, v5, v2, v1 op_sel:[0,1,0] op_sel_hi:[0,1,0]
	s_delay_alu instid0(VALU_DEP_2) | instskip(NEXT) | instid1(VALU_DEP_2)
	v_div_scale_f32 v7, null, v4, v4, v6
	v_div_scale_f32 v8, null, v4, v4, v5
	v_div_scale_f32 v11, vcc_lo, v6, v4, v6
	s_delay_alu instid0(VALU_DEP_3) | instskip(NEXT) | instid1(VALU_DEP_2)
	v_rcp_f32_e32 v9, v7
	v_rcp_f32_e32 v10, v8
	v_div_scale_f32 v12, s5, v5, v4, v5
	s_waitcnt_depctr 0xfff
	v_fma_f32 v1, -v7, v9, 1.0
	v_fma_f32 v2, -v8, v10, 1.0
	s_delay_alu instid0(VALU_DEP_1) | instskip(SKIP_2) | instid1(VALU_DEP_2)
	v_dual_fmac_f32 v9, v1, v9 :: v_dual_fmac_f32 v10, v2, v10
	s_waitcnt vmcnt(0)
	v_mad_u64_u32 v[1:2], null, v0, s45, v[13:14]
	v_dual_mul_f32 v0, v11, v9 :: v_dual_mul_f32 v13, v12, v10
	s_delay_alu instid0(VALU_DEP_1) | instskip(NEXT) | instid1(VALU_DEP_2)
	v_fma_f32 v14, -v7, v0, v11
	v_fma_f32 v15, -v8, v13, v12
	s_delay_alu instid0(VALU_DEP_4) | instskip(NEXT) | instid1(VALU_DEP_2)
	v_mad_u64_u32 v[2:3], null, v1, 40, v[236:237]
	v_dual_fmac_f32 v0, v14, v9 :: v_dual_fmac_f32 v13, v15, v10
	s_delay_alu instid0(VALU_DEP_1) | instskip(NEXT) | instid1(VALU_DEP_3)
	v_fma_f32 v1, -v7, v0, v11
	v_ashrrev_i32_e32 v3, 31, v2
	s_delay_alu instid0(VALU_DEP_3) | instskip(NEXT) | instid1(VALU_DEP_3)
	v_fma_f32 v7, -v8, v13, v12
	v_div_fmas_f32 v8, v1, v9, v0
	s_mov_b32 vcc_lo, s5
	s_delay_alu instid0(VALU_DEP_3) | instskip(NEXT) | instid1(VALU_DEP_3)
	v_lshlrev_b64 v[0:1], 3, v[2:3]
	v_div_fmas_f32 v7, v7, v10, v13
	s_delay_alu instid0(VALU_DEP_3) | instskip(NEXT) | instid1(VALU_DEP_2)
	v_div_fixup_f32 v2, v8, v4, v6
	v_div_fixup_f32 v3, v7, v4, v5
	s_delay_alu instid0(VALU_DEP_4)
	v_add_co_u32 v4, vcc_lo, s47, v0
	v_add_co_ci_u32_e32 v5, vcc_lo, s67, v1, vcc_lo
	v_mov_b32_e32 v1, 0
	global_store_b64 v[4:5], v[2:3], off
.LBB9_268:                              ;   in Loop: Header=BB9_13 Depth=1
	s_or_b32 exec_lo, exec_lo, s8
	s_mov_b32 s5, -1
	s_mov_b32 s8, exec_lo
	v_cmpx_gt_i32_e32 0x47, v1
; %bb.269:                              ;   in Loop: Header=BB9_13 Depth=1
	v_cmp_eq_u32_e32 vcc_lo, 0, v1
	s_or_not1_b32 s5, vcc_lo, exec_lo
; %bb.270:                              ;   in Loop: Header=BB9_13 Depth=1
	s_or_b32 exec_lo, exec_lo, s8
	s_delay_alu instid0(SALU_CYCLE_1)
	s_and_b32 exec_lo, exec_lo, s5
	s_cbranch_execz .LBB9_303
; %bb.271:                              ;   in Loop: Header=BB9_13 Depth=1
	s_clause 0x1
	scratch_load_b32 v0, off, off offset:472
	scratch_load_b64 v[1:2], off, off offset:456
	s_waitcnt vmcnt(1)
	v_add_nc_u32_e32 v0, s74, v0
	s_waitcnt vmcnt(0)
	v_or_b32_e32 v1, s96, v1
	s_delay_alu instid0(VALU_DEP_1) | instskip(SKIP_2) | instid1(VALU_DEP_3)
	v_cmp_gt_i32_e64 s5, s33, v1
	v_mov_b32_e32 v1, 0x47
	v_cmp_gt_i32_e32 vcc_lo, s44, v0
	s_and_b32 s5, vcc_lo, s5
	s_delay_alu instid0(SALU_CYCLE_1)
	s_and_saveexec_b32 s8, s5
	s_cbranch_execz .LBB9_273
; %bb.272:                              ;   in Loop: Header=BB9_13 Depth=1
	scratch_load_b32 v1, off, off offset:476 ; 4-byte Folded Reload
	s_waitcnt vmcnt(0)
	v_add_nc_u32_e32 v5, 0, v1
	scratch_load_b32 v1, off, off offset:480 ; 4-byte Folded Reload
	s_waitcnt vmcnt(0)
	ds_load_2addr_stride64_b32 v[1:2], v1 offset1:11
	ds_load_2addr_b32 v[3:4], v5 offset0:40 offset1:41
	ds_load_b32 v5, v5 offset:2976
	scratch_load_b64 v[13:14], off, off offset:456 ; 8-byte Folded Reload
	s_waitcnt lgkmcnt(1)
	v_fma_mix_f32 v6, v3, v1, 0 op_sel_hi:[0,1,0]
	v_fma_mix_f32 v1, v3, v1, 0 op_sel:[0,1,0] op_sel_hi:[0,1,0]
	s_waitcnt lgkmcnt(0)
	s_delay_alu instid0(VALU_DEP_2) | instskip(NEXT) | instid1(VALU_DEP_2)
	v_fma_mix_f32 v6, v5, v2, v6 op_sel_hi:[0,1,0]
	v_fma_mix_f32 v5, v5, v2, v1 op_sel:[0,1,0] op_sel_hi:[0,1,0]
	s_delay_alu instid0(VALU_DEP_2) | instskip(NEXT) | instid1(VALU_DEP_2)
	v_div_scale_f32 v7, null, v4, v4, v6
	v_div_scale_f32 v8, null, v4, v4, v5
	v_div_scale_f32 v11, vcc_lo, v6, v4, v6
	s_delay_alu instid0(VALU_DEP_3) | instskip(NEXT) | instid1(VALU_DEP_2)
	v_rcp_f32_e32 v9, v7
	v_rcp_f32_e32 v10, v8
	v_div_scale_f32 v12, s5, v5, v4, v5
	s_waitcnt_depctr 0xfff
	v_fma_f32 v1, -v7, v9, 1.0
	v_fma_f32 v2, -v8, v10, 1.0
	s_delay_alu instid0(VALU_DEP_1) | instskip(SKIP_2) | instid1(VALU_DEP_2)
	v_dual_fmac_f32 v9, v1, v9 :: v_dual_fmac_f32 v10, v2, v10
	s_waitcnt vmcnt(0)
	v_mad_u64_u32 v[1:2], null, v0, s45, v[13:14]
	v_dual_mul_f32 v0, v11, v9 :: v_dual_mul_f32 v13, v12, v10
	s_delay_alu instid0(VALU_DEP_1) | instskip(NEXT) | instid1(VALU_DEP_2)
	v_fma_f32 v14, -v7, v0, v11
	v_fma_f32 v15, -v8, v13, v12
	s_delay_alu instid0(VALU_DEP_4) | instskip(NEXT) | instid1(VALU_DEP_2)
	v_mad_u64_u32 v[2:3], null, v1, 40, v[236:237]
	v_dual_fmac_f32 v0, v14, v9 :: v_dual_fmac_f32 v13, v15, v10
	s_delay_alu instid0(VALU_DEP_1) | instskip(NEXT) | instid1(VALU_DEP_3)
	v_fma_f32 v1, -v7, v0, v11
	v_ashrrev_i32_e32 v3, 31, v2
	s_delay_alu instid0(VALU_DEP_3) | instskip(NEXT) | instid1(VALU_DEP_3)
	v_fma_f32 v7, -v8, v13, v12
	v_div_fmas_f32 v8, v1, v9, v0
	s_mov_b32 vcc_lo, s5
	s_delay_alu instid0(VALU_DEP_3) | instskip(NEXT) | instid1(VALU_DEP_3)
	v_lshlrev_b64 v[0:1], 3, v[2:3]
	v_div_fmas_f32 v7, v7, v10, v13
	s_delay_alu instid0(VALU_DEP_3) | instskip(NEXT) | instid1(VALU_DEP_2)
	v_div_fixup_f32 v2, v8, v4, v6
	v_div_fixup_f32 v3, v7, v4, v5
	s_delay_alu instid0(VALU_DEP_4)
	v_add_co_u32 v4, vcc_lo, s47, v0
	v_add_co_ci_u32_e32 v5, vcc_lo, s67, v1, vcc_lo
	v_mov_b32_e32 v1, 0
	global_store_b64 v[4:5], v[2:3], off
.LBB9_273:                              ;   in Loop: Header=BB9_13 Depth=1
	s_or_b32 exec_lo, exec_lo, s8
	s_mov_b32 s5, -1
	s_mov_b32 s8, exec_lo
	v_cmpx_gt_i32_e32 0x47, v1
; %bb.274:                              ;   in Loop: Header=BB9_13 Depth=1
	v_cmp_eq_u32_e32 vcc_lo, 0, v1
	s_or_not1_b32 s5, vcc_lo, exec_lo
; %bb.275:                              ;   in Loop: Header=BB9_13 Depth=1
	s_or_b32 exec_lo, exec_lo, s8
	s_delay_alu instid0(SALU_CYCLE_1)
	s_and_b32 exec_lo, exec_lo, s5
	s_cbranch_execz .LBB9_303
; %bb.276:                              ;   in Loop: Header=BB9_13 Depth=1
	scratch_load_b32 v0, off, off offset:484 ; 4-byte Folded Reload
	s_waitcnt vmcnt(0)
	v_dual_mov_b32 v1, 0x47 :: v_dual_add_nc_u32 v0, s74, v0
	s_delay_alu instid0(VALU_DEP_1) | instskip(SKIP_1) | instid1(SALU_CYCLE_1)
	v_cmp_gt_i32_e32 vcc_lo, s44, v0
	s_and_b32 s5, vcc_lo, s4
	s_and_saveexec_b32 s8, s5
	s_cbranch_execz .LBB9_278
; %bb.277:                              ;   in Loop: Header=BB9_13 Depth=1
	scratch_load_b32 v1, off, off offset:496 ; 4-byte Folded Reload
	s_waitcnt vmcnt(0)
	v_add_nc_u32_e32 v5, 0, v1
	scratch_load_b32 v1, off, off offset:500 ; 4-byte Folded Reload
	s_waitcnt vmcnt(0)
	ds_load_2addr_stride64_b32 v[1:2], v1 offset1:11
	ds_load_2addr_b32 v[3:4], v5 offset0:40 offset1:41
	ds_load_b32 v5, v5 offset:2976
	scratch_load_b64 v[13:14], off, off offset:8 ; 8-byte Folded Reload
	s_waitcnt lgkmcnt(1)
	v_fma_mix_f32 v6, v3, v1, 0 op_sel_hi:[0,1,0]
	v_fma_mix_f32 v1, v3, v1, 0 op_sel:[0,1,0] op_sel_hi:[0,1,0]
	s_waitcnt lgkmcnt(0)
	s_delay_alu instid0(VALU_DEP_2) | instskip(NEXT) | instid1(VALU_DEP_2)
	v_fma_mix_f32 v6, v5, v2, v6 op_sel_hi:[0,1,0]
	v_fma_mix_f32 v5, v5, v2, v1 op_sel:[0,1,0] op_sel_hi:[0,1,0]
	s_delay_alu instid0(VALU_DEP_2) | instskip(NEXT) | instid1(VALU_DEP_2)
	v_div_scale_f32 v7, null, v4, v4, v6
	v_div_scale_f32 v8, null, v4, v4, v5
	v_div_scale_f32 v11, vcc_lo, v6, v4, v6
	s_delay_alu instid0(VALU_DEP_3) | instskip(NEXT) | instid1(VALU_DEP_2)
	v_rcp_f32_e32 v9, v7
	v_rcp_f32_e32 v10, v8
	v_div_scale_f32 v12, s5, v5, v4, v5
	s_waitcnt_depctr 0xfff
	v_fma_f32 v1, -v7, v9, 1.0
	v_fma_f32 v2, -v8, v10, 1.0
	s_delay_alu instid0(VALU_DEP_1) | instskip(SKIP_2) | instid1(VALU_DEP_2)
	v_dual_fmac_f32 v9, v1, v9 :: v_dual_fmac_f32 v10, v2, v10
	s_waitcnt vmcnt(0)
	v_mad_u64_u32 v[1:2], null, v0, s45, v[13:14]
	v_dual_mul_f32 v0, v11, v9 :: v_dual_mul_f32 v13, v12, v10
	s_delay_alu instid0(VALU_DEP_1) | instskip(NEXT) | instid1(VALU_DEP_2)
	v_fma_f32 v14, -v7, v0, v11
	v_fma_f32 v15, -v8, v13, v12
	s_delay_alu instid0(VALU_DEP_4) | instskip(NEXT) | instid1(VALU_DEP_2)
	v_mad_u64_u32 v[2:3], null, v1, 40, v[236:237]
	v_dual_fmac_f32 v0, v14, v9 :: v_dual_fmac_f32 v13, v15, v10
	s_delay_alu instid0(VALU_DEP_1) | instskip(NEXT) | instid1(VALU_DEP_3)
	v_fma_f32 v1, -v7, v0, v11
	v_ashrrev_i32_e32 v3, 31, v2
	s_delay_alu instid0(VALU_DEP_3) | instskip(NEXT) | instid1(VALU_DEP_3)
	v_fma_f32 v7, -v8, v13, v12
	v_div_fmas_f32 v8, v1, v9, v0
	s_mov_b32 vcc_lo, s5
	s_delay_alu instid0(VALU_DEP_3) | instskip(NEXT) | instid1(VALU_DEP_3)
	v_lshlrev_b64 v[0:1], 3, v[2:3]
	v_div_fmas_f32 v7, v7, v10, v13
	s_delay_alu instid0(VALU_DEP_3) | instskip(NEXT) | instid1(VALU_DEP_2)
	v_div_fixup_f32 v2, v8, v4, v6
	v_div_fixup_f32 v3, v7, v4, v5
	s_delay_alu instid0(VALU_DEP_4)
	v_add_co_u32 v4, vcc_lo, s47, v0
	v_add_co_ci_u32_e32 v5, vcc_lo, s67, v1, vcc_lo
	v_mov_b32_e32 v1, 0
	global_store_b64 v[4:5], v[2:3], off
.LBB9_278:                              ;   in Loop: Header=BB9_13 Depth=1
	s_or_b32 exec_lo, exec_lo, s8
	s_mov_b32 s5, -1
	s_mov_b32 s8, exec_lo
	v_cmpx_gt_i32_e32 0x47, v1
; %bb.279:                              ;   in Loop: Header=BB9_13 Depth=1
	v_cmp_eq_u32_e32 vcc_lo, 0, v1
	s_or_not1_b32 s5, vcc_lo, exec_lo
; %bb.280:                              ;   in Loop: Header=BB9_13 Depth=1
	s_or_b32 exec_lo, exec_lo, s8
	s_delay_alu instid0(SALU_CYCLE_1)
	s_and_b32 exec_lo, exec_lo, s5
	s_cbranch_execz .LBB9_303
; %bb.281:                              ;   in Loop: Header=BB9_13 Depth=1
	s_clause 0x1
	scratch_load_b32 v0, off, off offset:504
	scratch_load_b64 v[1:2], off, off offset:488
	s_waitcnt vmcnt(1)
	v_add_nc_u32_e32 v0, s74, v0
	s_waitcnt vmcnt(0)
	v_or_b32_e32 v1, s96, v1
	s_delay_alu instid0(VALU_DEP_1) | instskip(SKIP_2) | instid1(VALU_DEP_3)
	v_cmp_gt_i32_e64 s5, s33, v1
	v_mov_b32_e32 v1, 0x47
	v_cmp_gt_i32_e32 vcc_lo, s44, v0
	s_and_b32 s5, vcc_lo, s5
	s_delay_alu instid0(SALU_CYCLE_1)
	s_and_saveexec_b32 s8, s5
	s_cbranch_execz .LBB9_283
; %bb.282:                              ;   in Loop: Header=BB9_13 Depth=1
	scratch_load_b32 v1, off, off offset:508 ; 4-byte Folded Reload
	s_waitcnt vmcnt(0)
	v_add_nc_u32_e32 v5, 0, v1
	scratch_load_b32 v1, off, off offset:512 ; 4-byte Folded Reload
	s_waitcnt vmcnt(0)
	ds_load_2addr_stride64_b32 v[1:2], v1 offset1:11
	ds_load_2addr_b32 v[3:4], v5 offset0:40 offset1:41
	ds_load_b32 v5, v5 offset:2976
	scratch_load_b64 v[13:14], off, off offset:488 ; 8-byte Folded Reload
	s_waitcnt lgkmcnt(1)
	v_fma_mix_f32 v6, v3, v1, 0 op_sel_hi:[0,1,0]
	v_fma_mix_f32 v1, v3, v1, 0 op_sel:[0,1,0] op_sel_hi:[0,1,0]
	s_waitcnt lgkmcnt(0)
	s_delay_alu instid0(VALU_DEP_2) | instskip(NEXT) | instid1(VALU_DEP_2)
	v_fma_mix_f32 v6, v5, v2, v6 op_sel_hi:[0,1,0]
	v_fma_mix_f32 v5, v5, v2, v1 op_sel:[0,1,0] op_sel_hi:[0,1,0]
	s_delay_alu instid0(VALU_DEP_2) | instskip(NEXT) | instid1(VALU_DEP_2)
	v_div_scale_f32 v7, null, v4, v4, v6
	v_div_scale_f32 v8, null, v4, v4, v5
	v_div_scale_f32 v11, vcc_lo, v6, v4, v6
	s_delay_alu instid0(VALU_DEP_3) | instskip(NEXT) | instid1(VALU_DEP_2)
	v_rcp_f32_e32 v9, v7
	v_rcp_f32_e32 v10, v8
	v_div_scale_f32 v12, s5, v5, v4, v5
	s_waitcnt_depctr 0xfff
	v_fma_f32 v1, -v7, v9, 1.0
	v_fma_f32 v2, -v8, v10, 1.0
	s_delay_alu instid0(VALU_DEP_1) | instskip(SKIP_2) | instid1(VALU_DEP_2)
	v_dual_fmac_f32 v9, v1, v9 :: v_dual_fmac_f32 v10, v2, v10
	s_waitcnt vmcnt(0)
	v_mad_u64_u32 v[1:2], null, v0, s45, v[13:14]
	v_dual_mul_f32 v0, v11, v9 :: v_dual_mul_f32 v13, v12, v10
	s_delay_alu instid0(VALU_DEP_1) | instskip(NEXT) | instid1(VALU_DEP_2)
	v_fma_f32 v14, -v7, v0, v11
	v_fma_f32 v15, -v8, v13, v12
	s_delay_alu instid0(VALU_DEP_4) | instskip(NEXT) | instid1(VALU_DEP_2)
	v_mad_u64_u32 v[2:3], null, v1, 40, v[236:237]
	v_dual_fmac_f32 v0, v14, v9 :: v_dual_fmac_f32 v13, v15, v10
	s_delay_alu instid0(VALU_DEP_1) | instskip(NEXT) | instid1(VALU_DEP_3)
	v_fma_f32 v1, -v7, v0, v11
	v_ashrrev_i32_e32 v3, 31, v2
	s_delay_alu instid0(VALU_DEP_3) | instskip(NEXT) | instid1(VALU_DEP_3)
	v_fma_f32 v7, -v8, v13, v12
	v_div_fmas_f32 v8, v1, v9, v0
	s_mov_b32 vcc_lo, s5
	s_delay_alu instid0(VALU_DEP_3) | instskip(NEXT) | instid1(VALU_DEP_3)
	v_lshlrev_b64 v[0:1], 3, v[2:3]
	v_div_fmas_f32 v7, v7, v10, v13
	s_delay_alu instid0(VALU_DEP_3) | instskip(NEXT) | instid1(VALU_DEP_2)
	v_div_fixup_f32 v2, v8, v4, v6
	v_div_fixup_f32 v3, v7, v4, v5
	s_delay_alu instid0(VALU_DEP_4)
	v_add_co_u32 v4, vcc_lo, s47, v0
	v_add_co_ci_u32_e32 v5, vcc_lo, s67, v1, vcc_lo
	v_mov_b32_e32 v1, 0
	global_store_b64 v[4:5], v[2:3], off
.LBB9_283:                              ;   in Loop: Header=BB9_13 Depth=1
	s_or_b32 exec_lo, exec_lo, s8
	s_mov_b32 s5, -1
	s_mov_b32 s8, exec_lo
	v_cmpx_gt_i32_e32 0x47, v1
; %bb.284:                              ;   in Loop: Header=BB9_13 Depth=1
	v_cmp_eq_u32_e32 vcc_lo, 0, v1
	s_or_not1_b32 s5, vcc_lo, exec_lo
; %bb.285:                              ;   in Loop: Header=BB9_13 Depth=1
	s_or_b32 exec_lo, exec_lo, s8
	s_delay_alu instid0(SALU_CYCLE_1)
	s_and_b32 exec_lo, exec_lo, s5
	s_cbranch_execz .LBB9_303
; %bb.286:                              ;   in Loop: Header=BB9_13 Depth=1
	scratch_load_b32 v0, off, off offset:516 ; 4-byte Folded Reload
	s_waitcnt vmcnt(0)
	v_dual_mov_b32 v1, 0x47 :: v_dual_add_nc_u32 v0, s74, v0
	s_delay_alu instid0(VALU_DEP_1) | instskip(SKIP_1) | instid1(SALU_CYCLE_1)
	v_cmp_gt_i32_e32 vcc_lo, s44, v0
	s_and_b32 s5, vcc_lo, s4
	s_and_saveexec_b32 s8, s5
	s_cbranch_execz .LBB9_288
; %bb.287:                              ;   in Loop: Header=BB9_13 Depth=1
	scratch_load_b32 v1, off, off offset:528 ; 4-byte Folded Reload
	s_waitcnt vmcnt(0)
	v_add_nc_u32_e32 v5, 0, v1
	scratch_load_b32 v1, off, off offset:532 ; 4-byte Folded Reload
	s_waitcnt vmcnt(0)
	ds_load_2addr_stride64_b32 v[1:2], v1 offset1:11
	ds_load_2addr_b32 v[3:4], v5 offset0:40 offset1:41
	ds_load_b32 v5, v5 offset:2976
	scratch_load_b64 v[13:14], off, off offset:8 ; 8-byte Folded Reload
	s_waitcnt lgkmcnt(1)
	v_fma_mix_f32 v6, v3, v1, 0 op_sel_hi:[0,1,0]
	v_fma_mix_f32 v1, v3, v1, 0 op_sel:[0,1,0] op_sel_hi:[0,1,0]
	s_waitcnt lgkmcnt(0)
	s_delay_alu instid0(VALU_DEP_2) | instskip(NEXT) | instid1(VALU_DEP_2)
	v_fma_mix_f32 v6, v5, v2, v6 op_sel_hi:[0,1,0]
	v_fma_mix_f32 v5, v5, v2, v1 op_sel:[0,1,0] op_sel_hi:[0,1,0]
	s_delay_alu instid0(VALU_DEP_2) | instskip(NEXT) | instid1(VALU_DEP_2)
	v_div_scale_f32 v7, null, v4, v4, v6
	v_div_scale_f32 v8, null, v4, v4, v5
	v_div_scale_f32 v11, vcc_lo, v6, v4, v6
	s_delay_alu instid0(VALU_DEP_3) | instskip(NEXT) | instid1(VALU_DEP_2)
	v_rcp_f32_e32 v9, v7
	v_rcp_f32_e32 v10, v8
	v_div_scale_f32 v12, s5, v5, v4, v5
	s_waitcnt_depctr 0xfff
	v_fma_f32 v1, -v7, v9, 1.0
	v_fma_f32 v2, -v8, v10, 1.0
	s_delay_alu instid0(VALU_DEP_1) | instskip(SKIP_2) | instid1(VALU_DEP_2)
	v_dual_fmac_f32 v9, v1, v9 :: v_dual_fmac_f32 v10, v2, v10
	s_waitcnt vmcnt(0)
	v_mad_u64_u32 v[1:2], null, v0, s45, v[13:14]
	v_dual_mul_f32 v0, v11, v9 :: v_dual_mul_f32 v13, v12, v10
	s_delay_alu instid0(VALU_DEP_1) | instskip(NEXT) | instid1(VALU_DEP_2)
	v_fma_f32 v14, -v7, v0, v11
	v_fma_f32 v15, -v8, v13, v12
	s_delay_alu instid0(VALU_DEP_4) | instskip(NEXT) | instid1(VALU_DEP_2)
	v_mad_u64_u32 v[2:3], null, v1, 40, v[236:237]
	v_dual_fmac_f32 v0, v14, v9 :: v_dual_fmac_f32 v13, v15, v10
	s_delay_alu instid0(VALU_DEP_1) | instskip(NEXT) | instid1(VALU_DEP_3)
	v_fma_f32 v1, -v7, v0, v11
	v_ashrrev_i32_e32 v3, 31, v2
	s_delay_alu instid0(VALU_DEP_3) | instskip(NEXT) | instid1(VALU_DEP_3)
	v_fma_f32 v7, -v8, v13, v12
	v_div_fmas_f32 v8, v1, v9, v0
	s_mov_b32 vcc_lo, s5
	s_delay_alu instid0(VALU_DEP_3) | instskip(NEXT) | instid1(VALU_DEP_3)
	v_lshlrev_b64 v[0:1], 3, v[2:3]
	v_div_fmas_f32 v7, v7, v10, v13
	s_delay_alu instid0(VALU_DEP_3) | instskip(NEXT) | instid1(VALU_DEP_2)
	v_div_fixup_f32 v2, v8, v4, v6
	v_div_fixup_f32 v3, v7, v4, v5
	s_delay_alu instid0(VALU_DEP_4)
	v_add_co_u32 v4, vcc_lo, s47, v0
	v_add_co_ci_u32_e32 v5, vcc_lo, s67, v1, vcc_lo
	v_mov_b32_e32 v1, 0
	global_store_b64 v[4:5], v[2:3], off
.LBB9_288:                              ;   in Loop: Header=BB9_13 Depth=1
	s_or_b32 exec_lo, exec_lo, s8
	s_mov_b32 s5, -1
	s_mov_b32 s8, exec_lo
	v_cmpx_gt_i32_e32 0x47, v1
; %bb.289:                              ;   in Loop: Header=BB9_13 Depth=1
	v_cmp_eq_u32_e32 vcc_lo, 0, v1
	s_or_not1_b32 s5, vcc_lo, exec_lo
; %bb.290:                              ;   in Loop: Header=BB9_13 Depth=1
	s_or_b32 exec_lo, exec_lo, s8
	s_delay_alu instid0(SALU_CYCLE_1)
	s_and_b32 exec_lo, exec_lo, s5
	s_cbranch_execz .LBB9_303
; %bb.291:                              ;   in Loop: Header=BB9_13 Depth=1
	s_clause 0x1
	scratch_load_b32 v0, off, off offset:536
	scratch_load_b64 v[1:2], off, off offset:520
	s_waitcnt vmcnt(1)
	v_add_nc_u32_e32 v0, s74, v0
	s_waitcnt vmcnt(0)
	v_or_b32_e32 v1, s96, v1
	s_delay_alu instid0(VALU_DEP_1) | instskip(SKIP_2) | instid1(VALU_DEP_3)
	v_cmp_gt_i32_e64 s5, s33, v1
	v_mov_b32_e32 v1, 0x47
	v_cmp_gt_i32_e32 vcc_lo, s44, v0
	s_and_b32 s5, vcc_lo, s5
	s_delay_alu instid0(SALU_CYCLE_1)
	s_and_saveexec_b32 s8, s5
	s_cbranch_execz .LBB9_293
; %bb.292:                              ;   in Loop: Header=BB9_13 Depth=1
	scratch_load_b32 v1, off, off offset:540 ; 4-byte Folded Reload
	s_waitcnt vmcnt(0)
	v_add_nc_u32_e32 v5, 0, v1
	scratch_load_b32 v1, off, off offset:544 ; 4-byte Folded Reload
	s_waitcnt vmcnt(0)
	ds_load_2addr_stride64_b32 v[1:2], v1 offset1:11
	ds_load_2addr_b32 v[3:4], v5 offset0:40 offset1:41
	ds_load_b32 v5, v5 offset:2976
	scratch_load_b64 v[13:14], off, off offset:520 ; 8-byte Folded Reload
	s_waitcnt lgkmcnt(1)
	v_fma_mix_f32 v6, v3, v1, 0 op_sel_hi:[0,1,0]
	v_fma_mix_f32 v1, v3, v1, 0 op_sel:[0,1,0] op_sel_hi:[0,1,0]
	s_waitcnt lgkmcnt(0)
	s_delay_alu instid0(VALU_DEP_2) | instskip(NEXT) | instid1(VALU_DEP_2)
	v_fma_mix_f32 v6, v5, v2, v6 op_sel_hi:[0,1,0]
	v_fma_mix_f32 v5, v5, v2, v1 op_sel:[0,1,0] op_sel_hi:[0,1,0]
	s_delay_alu instid0(VALU_DEP_2) | instskip(NEXT) | instid1(VALU_DEP_2)
	v_div_scale_f32 v7, null, v4, v4, v6
	v_div_scale_f32 v8, null, v4, v4, v5
	v_div_scale_f32 v11, vcc_lo, v6, v4, v6
	s_delay_alu instid0(VALU_DEP_3) | instskip(NEXT) | instid1(VALU_DEP_2)
	v_rcp_f32_e32 v9, v7
	v_rcp_f32_e32 v10, v8
	v_div_scale_f32 v12, s5, v5, v4, v5
	s_waitcnt_depctr 0xfff
	v_fma_f32 v1, -v7, v9, 1.0
	v_fma_f32 v2, -v8, v10, 1.0
	s_delay_alu instid0(VALU_DEP_1) | instskip(SKIP_2) | instid1(VALU_DEP_2)
	v_dual_fmac_f32 v9, v1, v9 :: v_dual_fmac_f32 v10, v2, v10
	s_waitcnt vmcnt(0)
	v_mad_u64_u32 v[1:2], null, v0, s45, v[13:14]
	v_dual_mul_f32 v0, v11, v9 :: v_dual_mul_f32 v13, v12, v10
	s_delay_alu instid0(VALU_DEP_1) | instskip(NEXT) | instid1(VALU_DEP_2)
	v_fma_f32 v14, -v7, v0, v11
	v_fma_f32 v15, -v8, v13, v12
	s_delay_alu instid0(VALU_DEP_4) | instskip(NEXT) | instid1(VALU_DEP_2)
	v_mad_u64_u32 v[2:3], null, v1, 40, v[236:237]
	v_dual_fmac_f32 v0, v14, v9 :: v_dual_fmac_f32 v13, v15, v10
	s_delay_alu instid0(VALU_DEP_1) | instskip(NEXT) | instid1(VALU_DEP_3)
	v_fma_f32 v1, -v7, v0, v11
	v_ashrrev_i32_e32 v3, 31, v2
	s_delay_alu instid0(VALU_DEP_3) | instskip(NEXT) | instid1(VALU_DEP_3)
	v_fma_f32 v7, -v8, v13, v12
	v_div_fmas_f32 v8, v1, v9, v0
	s_mov_b32 vcc_lo, s5
	s_delay_alu instid0(VALU_DEP_3) | instskip(NEXT) | instid1(VALU_DEP_3)
	v_lshlrev_b64 v[0:1], 3, v[2:3]
	v_div_fmas_f32 v7, v7, v10, v13
	s_delay_alu instid0(VALU_DEP_3) | instskip(NEXT) | instid1(VALU_DEP_2)
	v_div_fixup_f32 v2, v8, v4, v6
	v_div_fixup_f32 v3, v7, v4, v5
	s_delay_alu instid0(VALU_DEP_4)
	v_add_co_u32 v4, vcc_lo, s47, v0
	v_add_co_ci_u32_e32 v5, vcc_lo, s67, v1, vcc_lo
	v_mov_b32_e32 v1, 0
	global_store_b64 v[4:5], v[2:3], off
.LBB9_293:                              ;   in Loop: Header=BB9_13 Depth=1
	s_or_b32 exec_lo, exec_lo, s8
	s_mov_b32 s5, -1
	s_mov_b32 s8, exec_lo
	v_cmpx_gt_i32_e32 0x47, v1
; %bb.294:                              ;   in Loop: Header=BB9_13 Depth=1
	v_cmp_eq_u32_e32 vcc_lo, 0, v1
	s_or_not1_b32 s5, vcc_lo, exec_lo
; %bb.295:                              ;   in Loop: Header=BB9_13 Depth=1
	s_or_b32 exec_lo, exec_lo, s8
	s_delay_alu instid0(SALU_CYCLE_1)
	s_and_b32 exec_lo, exec_lo, s5
	s_cbranch_execz .LBB9_303
; %bb.296:                              ;   in Loop: Header=BB9_13 Depth=1
	scratch_load_b32 v0, off, off offset:548 ; 4-byte Folded Reload
	s_waitcnt vmcnt(0)
	v_dual_mov_b32 v1, 0x47 :: v_dual_add_nc_u32 v0, s74, v0
	s_delay_alu instid0(VALU_DEP_1) | instskip(SKIP_1) | instid1(SALU_CYCLE_1)
	v_cmp_gt_i32_e32 vcc_lo, s44, v0
	s_and_b32 s4, vcc_lo, s4
	s_and_saveexec_b32 s5, s4
	s_cbranch_execz .LBB9_298
; %bb.297:                              ;   in Loop: Header=BB9_13 Depth=1
	scratch_load_b32 v1, off, off offset:560 ; 4-byte Folded Reload
	s_waitcnt vmcnt(0)
	v_add_nc_u32_e32 v5, 0, v1
	scratch_load_b32 v1, off, off offset:564 ; 4-byte Folded Reload
	s_waitcnt vmcnt(0)
	ds_load_2addr_stride64_b32 v[1:2], v1 offset1:11
	ds_load_2addr_b32 v[3:4], v5 offset0:40 offset1:41
	ds_load_b32 v5, v5 offset:2976
	scratch_load_b64 v[13:14], off, off offset:8 ; 8-byte Folded Reload
	s_waitcnt lgkmcnt(1)
	v_fma_mix_f32 v6, v3, v1, 0 op_sel_hi:[0,1,0]
	v_fma_mix_f32 v1, v3, v1, 0 op_sel:[0,1,0] op_sel_hi:[0,1,0]
	s_waitcnt lgkmcnt(0)
	s_delay_alu instid0(VALU_DEP_2) | instskip(NEXT) | instid1(VALU_DEP_2)
	v_fma_mix_f32 v6, v5, v2, v6 op_sel_hi:[0,1,0]
	v_fma_mix_f32 v5, v5, v2, v1 op_sel:[0,1,0] op_sel_hi:[0,1,0]
	s_delay_alu instid0(VALU_DEP_2) | instskip(NEXT) | instid1(VALU_DEP_2)
	v_div_scale_f32 v7, null, v4, v4, v6
	v_div_scale_f32 v8, null, v4, v4, v5
	v_div_scale_f32 v11, vcc_lo, v6, v4, v6
	s_delay_alu instid0(VALU_DEP_3) | instskip(NEXT) | instid1(VALU_DEP_2)
	v_rcp_f32_e32 v9, v7
	v_rcp_f32_e32 v10, v8
	v_div_scale_f32 v12, s4, v5, v4, v5
	s_waitcnt_depctr 0xfff
	v_fma_f32 v1, -v7, v9, 1.0
	v_fma_f32 v2, -v8, v10, 1.0
	s_delay_alu instid0(VALU_DEP_1) | instskip(SKIP_2) | instid1(VALU_DEP_2)
	v_dual_fmac_f32 v9, v1, v9 :: v_dual_fmac_f32 v10, v2, v10
	s_waitcnt vmcnt(0)
	v_mad_u64_u32 v[1:2], null, v0, s45, v[13:14]
	v_dual_mul_f32 v0, v11, v9 :: v_dual_mul_f32 v13, v12, v10
	s_delay_alu instid0(VALU_DEP_1) | instskip(NEXT) | instid1(VALU_DEP_2)
	v_fma_f32 v14, -v7, v0, v11
	v_fma_f32 v15, -v8, v13, v12
	s_delay_alu instid0(VALU_DEP_4) | instskip(NEXT) | instid1(VALU_DEP_2)
	v_mad_u64_u32 v[2:3], null, v1, 40, v[236:237]
	v_dual_fmac_f32 v0, v14, v9 :: v_dual_fmac_f32 v13, v15, v10
	s_delay_alu instid0(VALU_DEP_1) | instskip(NEXT) | instid1(VALU_DEP_3)
	v_fma_f32 v1, -v7, v0, v11
	v_ashrrev_i32_e32 v3, 31, v2
	s_delay_alu instid0(VALU_DEP_3) | instskip(NEXT) | instid1(VALU_DEP_3)
	v_fma_f32 v7, -v8, v13, v12
	v_div_fmas_f32 v8, v1, v9, v0
	s_mov_b32 vcc_lo, s4
	s_delay_alu instid0(VALU_DEP_3) | instskip(NEXT) | instid1(VALU_DEP_3)
	v_lshlrev_b64 v[0:1], 3, v[2:3]
	v_div_fmas_f32 v7, v7, v10, v13
	s_delay_alu instid0(VALU_DEP_3) | instskip(NEXT) | instid1(VALU_DEP_2)
	v_div_fixup_f32 v2, v8, v4, v6
	v_div_fixup_f32 v3, v7, v4, v5
	s_delay_alu instid0(VALU_DEP_4)
	v_add_co_u32 v4, vcc_lo, s47, v0
	v_add_co_ci_u32_e32 v5, vcc_lo, s67, v1, vcc_lo
	v_mov_b32_e32 v1, 0
	global_store_b64 v[4:5], v[2:3], off
.LBB9_298:                              ;   in Loop: Header=BB9_13 Depth=1
	s_or_b32 exec_lo, exec_lo, s5
	s_mov_b32 s4, -1
	s_mov_b32 s5, exec_lo
	v_cmpx_gt_i32_e32 0x47, v1
; %bb.299:                              ;   in Loop: Header=BB9_13 Depth=1
	v_cmp_eq_u32_e32 vcc_lo, 0, v1
	s_or_not1_b32 s4, vcc_lo, exec_lo
; %bb.300:                              ;   in Loop: Header=BB9_13 Depth=1
	s_or_b32 exec_lo, exec_lo, s5
	s_delay_alu instid0(SALU_CYCLE_1)
	s_and_b32 exec_lo, exec_lo, s4
	s_cbranch_execz .LBB9_303
; %bb.301:                              ;   in Loop: Header=BB9_13 Depth=1
	s_clause 0x1
	scratch_load_b32 v0, off, off offset:568
	scratch_load_b64 v[1:2], off, off offset:552
	s_waitcnt vmcnt(1)
	v_add_nc_u32_e32 v0, s74, v0
	s_waitcnt vmcnt(0)
	v_or_b32_e32 v1, s96, v1
	s_delay_alu instid0(VALU_DEP_2) | instskip(NEXT) | instid1(VALU_DEP_2)
	v_cmp_gt_i32_e32 vcc_lo, s44, v0
	v_cmp_gt_i32_e64 s4, s33, v1
	s_delay_alu instid0(VALU_DEP_1) | instskip(NEXT) | instid1(SALU_CYCLE_1)
	s_and_b32 s4, vcc_lo, s4
	s_and_b32 exec_lo, exec_lo, s4
	s_cbranch_execz .LBB9_303
; %bb.302:                              ;   in Loop: Header=BB9_13 Depth=1
	scratch_load_b32 v1, off, off offset:572 ; 4-byte Folded Reload
	s_waitcnt vmcnt(0)
	v_add_nc_u32_e32 v5, 0, v1
	scratch_load_b32 v1, off, off offset:576 ; 4-byte Folded Reload
	s_waitcnt vmcnt(0)
	ds_load_2addr_stride64_b32 v[1:2], v1 offset1:11
	ds_load_2addr_b32 v[3:4], v5 offset0:40 offset1:41
	ds_load_b32 v5, v5 offset:2976
	scratch_load_b64 v[13:14], off, off offset:552 ; 8-byte Folded Reload
	s_waitcnt lgkmcnt(1)
	v_fma_mix_f32 v6, v3, v1, 0 op_sel_hi:[0,1,0]
	v_fma_mix_f32 v1, v3, v1, 0 op_sel:[0,1,0] op_sel_hi:[0,1,0]
	s_waitcnt lgkmcnt(0)
	s_delay_alu instid0(VALU_DEP_2) | instskip(NEXT) | instid1(VALU_DEP_2)
	v_fma_mix_f32 v6, v5, v2, v6 op_sel_hi:[0,1,0]
	v_fma_mix_f32 v5, v5, v2, v1 op_sel:[0,1,0] op_sel_hi:[0,1,0]
	s_delay_alu instid0(VALU_DEP_2) | instskip(NEXT) | instid1(VALU_DEP_2)
	v_div_scale_f32 v7, null, v4, v4, v6
	v_div_scale_f32 v8, null, v4, v4, v5
	v_div_scale_f32 v11, vcc_lo, v6, v4, v6
	s_delay_alu instid0(VALU_DEP_3) | instskip(NEXT) | instid1(VALU_DEP_2)
	v_rcp_f32_e32 v9, v7
	v_rcp_f32_e32 v10, v8
	v_div_scale_f32 v12, s4, v5, v4, v5
	s_waitcnt_depctr 0xfff
	v_fma_f32 v1, -v7, v9, 1.0
	v_fma_f32 v2, -v8, v10, 1.0
	s_delay_alu instid0(VALU_DEP_1) | instskip(SKIP_2) | instid1(VALU_DEP_2)
	v_dual_fmac_f32 v9, v1, v9 :: v_dual_fmac_f32 v10, v2, v10
	s_waitcnt vmcnt(0)
	v_mad_u64_u32 v[1:2], null, v0, s45, v[13:14]
	v_dual_mul_f32 v0, v11, v9 :: v_dual_mul_f32 v13, v12, v10
	s_delay_alu instid0(VALU_DEP_1) | instskip(NEXT) | instid1(VALU_DEP_3)
	v_fma_f32 v14, -v7, v0, v11
	v_mad_u64_u32 v[2:3], null, v1, 40, v[236:237]
	s_delay_alu instid0(VALU_DEP_3) | instskip(NEXT) | instid1(VALU_DEP_1)
	v_fma_f32 v15, -v8, v13, v12
	v_dual_fmac_f32 v0, v14, v9 :: v_dual_fmac_f32 v13, v15, v10
	s_delay_alu instid0(VALU_DEP_3) | instskip(NEXT) | instid1(VALU_DEP_2)
	v_ashrrev_i32_e32 v3, 31, v2
	v_fma_f32 v1, -v7, v0, v11
	s_delay_alu instid0(VALU_DEP_3) | instskip(NEXT) | instid1(VALU_DEP_2)
	v_fma_f32 v7, -v8, v13, v12
	v_div_fmas_f32 v8, v1, v9, v0
	s_delay_alu instid0(VALU_DEP_4) | instskip(SKIP_1) | instid1(VALU_DEP_3)
	v_lshlrev_b64 v[0:1], 3, v[2:3]
	s_mov_b32 vcc_lo, s4
	v_div_fmas_f32 v7, v7, v10, v13
	s_delay_alu instid0(VALU_DEP_3) | instskip(NEXT) | instid1(VALU_DEP_3)
	v_div_fixup_f32 v2, v8, v4, v6
	v_add_co_u32 v0, vcc_lo, s47, v0
	s_delay_alu instid0(VALU_DEP_3)
	v_div_fixup_f32 v3, v7, v4, v5
	v_add_co_ci_u32_e32 v1, vcc_lo, s67, v1, vcc_lo
	global_store_b64 v[0:1], v[2:3], off
.LBB9_303:                              ;   in Loop: Header=BB9_13 Depth=1
	s_or_b32 exec_lo, exec_lo, s7
	scratch_load_b32 v0, off, off offset:24 ; 4-byte Folded Reload
	s_waitcnt vmcnt(0)
	v_dual_mov_b32 v1, 0x47 :: v_dual_add_nc_u32 v0, s74, v0
	s_delay_alu instid0(VALU_DEP_1) | instskip(SKIP_1) | instid1(SALU_CYCLE_1)
	v_cmp_gt_i32_e32 vcc_lo, s44, v0
	s_and_b32 s4, vcc_lo, s3
	s_and_saveexec_b32 s5, s4
	s_cbranch_execz .LBB9_305
; %bb.304:                              ;   in Loop: Header=BB9_13 Depth=1
	s_clause 0x1
	scratch_load_b32 v1, off, off offset:144
	scratch_load_b32 v2, off, off offset:140
	s_waitcnt vmcnt(1)
	v_add_nc_u32_e32 v1, 0x80, v1
	s_waitcnt vmcnt(0)
	v_add_nc_u32_e32 v5, 0, v2
	ds_load_2addr_stride64_b32 v[1:2], v1 offset1:11
	ds_load_2addr_b32 v[3:4], v5 offset0:40 offset1:41
	ds_load_b32 v5, v5 offset:2976
	s_waitcnt lgkmcnt(1)
	v_fma_mix_f32 v6, v3, v1, 0 op_sel_hi:[0,1,0]
	v_fma_mix_f32 v1, v3, v1, 0 op_sel:[0,1,0] op_sel_hi:[0,1,0]
	s_waitcnt lgkmcnt(0)
	s_delay_alu instid0(VALU_DEP_2) | instskip(NEXT) | instid1(VALU_DEP_2)
	v_fma_mix_f32 v3, v5, v2, v6 op_sel_hi:[0,1,0]
	v_fma_mix_f32 v5, v5, v2, v1 op_sel:[0,1,0] op_sel_hi:[0,1,0]
	v_mad_u64_u32 v[1:2], null, v0, s45, v[115:116]
	s_delay_alu instid0(VALU_DEP_3) | instskip(NEXT) | instid1(VALU_DEP_3)
	v_div_scale_f32 v6, null, v4, v4, v3
	v_div_scale_f32 v7, null, v4, v4, v5
	v_div_scale_f32 v2, vcc_lo, v3, v4, v3
	s_delay_alu instid0(VALU_DEP_3) | instskip(NEXT) | instid1(VALU_DEP_2)
	v_rcp_f32_e32 v8, v6
	v_rcp_f32_e32 v9, v7
	s_waitcnt_depctr 0xfff
	v_fma_f32 v10, -v6, v8, 1.0
	v_fma_f32 v0, -v7, v9, 1.0
	s_delay_alu instid0(VALU_DEP_2) | instskip(SKIP_1) | instid1(VALU_DEP_3)
	v_fmac_f32_e32 v8, v10, v8
	v_div_scale_f32 v10, s4, v5, v4, v5
	v_fmac_f32_e32 v9, v0, v9
	v_mul_lo_u32 v0, v1, 40
	s_delay_alu instid0(VALU_DEP_2) | instskip(NEXT) | instid1(VALU_DEP_1)
	v_mul_f32_e32 v12, v10, v9
	v_fma_f32 v13, -v7, v12, v10
	s_delay_alu instid0(VALU_DEP_1) | instskip(NEXT) | instid1(VALU_DEP_1)
	v_dual_mul_f32 v11, v2, v8 :: v_dual_fmac_f32 v12, v13, v9
	v_fma_f32 v1, -v6, v11, v2
	s_delay_alu instid0(VALU_DEP_1) | instskip(SKIP_2) | instid1(VALU_DEP_3)
	v_fmac_f32_e32 v11, v1, v8
	v_ashrrev_i32_e32 v1, 31, v0
	v_or_b32_e32 v0, v0, v193
	v_fma_f32 v2, -v6, v11, v2
	s_delay_alu instid0(VALU_DEP_3) | instskip(SKIP_1) | instid1(VALU_DEP_3)
	v_or_b32_e32 v1, 0, v1
	v_fma_f32 v6, -v7, v12, v10
	v_div_fmas_f32 v2, v2, v8, v11
	s_mov_b32 vcc_lo, s4
	s_delay_alu instid0(VALU_DEP_3) | instskip(NEXT) | instid1(VALU_DEP_3)
	v_lshlrev_b64 v[0:1], 3, v[0:1]
	v_div_fmas_f32 v6, v6, v9, v12
	s_delay_alu instid0(VALU_DEP_3) | instskip(NEXT) | instid1(VALU_DEP_2)
	v_div_fixup_f32 v2, v2, v4, v3
	v_div_fixup_f32 v3, v6, v4, v5
	s_delay_alu instid0(VALU_DEP_4)
	v_add_co_u32 v4, vcc_lo, s47, v0
	v_add_co_ci_u32_e32 v5, vcc_lo, s67, v1, vcc_lo
	v_mov_b32_e32 v1, 0
	global_store_b64 v[4:5], v[2:3], off offset:256
.LBB9_305:                              ;   in Loop: Header=BB9_13 Depth=1
	s_or_b32 exec_lo, exec_lo, s5
	s_mov_b32 s4, -1
	s_mov_b32 s5, exec_lo
	v_cmpx_gt_i32_e32 0x47, v1
; %bb.306:                              ;   in Loop: Header=BB9_13 Depth=1
	v_cmp_eq_u32_e32 vcc_lo, 0, v1
	s_or_not1_b32 s4, vcc_lo, exec_lo
; %bb.307:                              ;   in Loop: Header=BB9_13 Depth=1
	s_or_b32 exec_lo, exec_lo, s5
	s_delay_alu instid0(SALU_CYCLE_1)
	s_and_b32 exec_lo, exec_lo, s4
	s_cbranch_execz .LBB9_11
; %bb.308:                              ;   in Loop: Header=BB9_13 Depth=1
	scratch_load_b32 v0, off, off offset:148 ; 4-byte Folded Reload
	s_waitcnt vmcnt(0)
	v_dual_mov_b32 v1, 0x47 :: v_dual_add_nc_u32 v0, s74, v0
	s_delay_alu instid0(VALU_DEP_1) | instskip(SKIP_1) | instid1(SALU_CYCLE_1)
	v_cmp_gt_i32_e32 vcc_lo, s44, v0
	s_and_b32 s4, vcc_lo, s3
	s_and_saveexec_b32 s5, s4
	s_cbranch_execz .LBB9_310
; %bb.309:                              ;   in Loop: Header=BB9_13 Depth=1
	s_clause 0x1
	scratch_load_b32 v1, off, off offset:300
	scratch_load_b32 v2, off, off offset:296
	s_waitcnt vmcnt(1)
	v_add_nc_u32_e32 v1, 0x80, v1
	s_waitcnt vmcnt(0)
	v_add_nc_u32_e32 v5, 0, v2
	ds_load_2addr_stride64_b32 v[1:2], v1 offset1:11
	ds_load_2addr_b32 v[3:4], v5 offset0:40 offset1:41
	ds_load_b32 v5, v5 offset:2976
	s_waitcnt lgkmcnt(1)
	v_fma_mix_f32 v6, v3, v1, 0 op_sel_hi:[0,1,0]
	v_fma_mix_f32 v1, v3, v1, 0 op_sel:[0,1,0] op_sel_hi:[0,1,0]
	s_waitcnt lgkmcnt(0)
	s_delay_alu instid0(VALU_DEP_2) | instskip(NEXT) | instid1(VALU_DEP_2)
	v_fma_mix_f32 v3, v5, v2, v6 op_sel_hi:[0,1,0]
	v_fma_mix_f32 v5, v5, v2, v1 op_sel:[0,1,0] op_sel_hi:[0,1,0]
	v_mad_u64_u32 v[1:2], null, v0, s45, v[115:116]
	s_delay_alu instid0(VALU_DEP_3) | instskip(NEXT) | instid1(VALU_DEP_3)
	v_div_scale_f32 v6, null, v4, v4, v3
	v_div_scale_f32 v7, null, v4, v4, v5
	v_div_scale_f32 v2, vcc_lo, v3, v4, v3
	s_delay_alu instid0(VALU_DEP_3) | instskip(NEXT) | instid1(VALU_DEP_2)
	v_rcp_f32_e32 v8, v6
	v_rcp_f32_e32 v9, v7
	s_waitcnt_depctr 0xfff
	v_fma_f32 v10, -v6, v8, 1.0
	v_fma_f32 v0, -v7, v9, 1.0
	s_delay_alu instid0(VALU_DEP_2) | instskip(SKIP_1) | instid1(VALU_DEP_3)
	v_fmac_f32_e32 v8, v10, v8
	v_div_scale_f32 v10, s4, v5, v4, v5
	v_fmac_f32_e32 v9, v0, v9
	v_mul_lo_u32 v0, v1, 40
	s_delay_alu instid0(VALU_DEP_2) | instskip(NEXT) | instid1(VALU_DEP_1)
	v_mul_f32_e32 v12, v10, v9
	v_fma_f32 v13, -v7, v12, v10
	s_delay_alu instid0(VALU_DEP_1) | instskip(NEXT) | instid1(VALU_DEP_1)
	v_dual_mul_f32 v11, v2, v8 :: v_dual_fmac_f32 v12, v13, v9
	v_fma_f32 v1, -v6, v11, v2
	s_delay_alu instid0(VALU_DEP_1) | instskip(SKIP_2) | instid1(VALU_DEP_3)
	v_fmac_f32_e32 v11, v1, v8
	v_ashrrev_i32_e32 v1, 31, v0
	v_or_b32_e32 v0, v0, v193
	v_fma_f32 v2, -v6, v11, v2
	s_delay_alu instid0(VALU_DEP_3) | instskip(SKIP_1) | instid1(VALU_DEP_3)
	v_or_b32_e32 v1, 0, v1
	v_fma_f32 v6, -v7, v12, v10
	v_div_fmas_f32 v2, v2, v8, v11
	s_mov_b32 vcc_lo, s4
	s_delay_alu instid0(VALU_DEP_3) | instskip(NEXT) | instid1(VALU_DEP_3)
	v_lshlrev_b64 v[0:1], 3, v[0:1]
	v_div_fmas_f32 v6, v6, v9, v12
	s_delay_alu instid0(VALU_DEP_3) | instskip(NEXT) | instid1(VALU_DEP_2)
	v_div_fixup_f32 v2, v2, v4, v3
	v_div_fixup_f32 v3, v6, v4, v5
	s_delay_alu instid0(VALU_DEP_4)
	v_add_co_u32 v4, vcc_lo, s47, v0
	v_add_co_ci_u32_e32 v5, vcc_lo, s67, v1, vcc_lo
	v_mov_b32_e32 v1, 0
	global_store_b64 v[4:5], v[2:3], off offset:256
.LBB9_310:                              ;   in Loop: Header=BB9_13 Depth=1
	s_or_b32 exec_lo, exec_lo, s5
	s_mov_b32 s4, -1
	s_mov_b32 s5, exec_lo
	v_cmpx_gt_i32_e32 0x47, v1
; %bb.311:                              ;   in Loop: Header=BB9_13 Depth=1
	v_cmp_eq_u32_e32 vcc_lo, 0, v1
	s_or_not1_b32 s4, vcc_lo, exec_lo
; %bb.312:                              ;   in Loop: Header=BB9_13 Depth=1
	s_or_b32 exec_lo, exec_lo, s5
	s_delay_alu instid0(SALU_CYCLE_1)
	s_and_b32 exec_lo, exec_lo, s4
	s_cbranch_execz .LBB9_11
; %bb.313:                              ;   in Loop: Header=BB9_13 Depth=1
	scratch_load_b32 v0, off, off offset:304 ; 4-byte Folded Reload
	s_waitcnt vmcnt(0)
	v_dual_mov_b32 v1, 0x47 :: v_dual_add_nc_u32 v0, s74, v0
	s_delay_alu instid0(VALU_DEP_1) | instskip(SKIP_1) | instid1(SALU_CYCLE_1)
	v_cmp_gt_i32_e32 vcc_lo, s44, v0
	s_and_b32 s4, vcc_lo, s3
	s_and_saveexec_b32 s5, s4
	s_cbranch_execz .LBB9_315
; %bb.314:                              ;   in Loop: Header=BB9_13 Depth=1
	s_clause 0x1
	scratch_load_b32 v1, off, off offset:328
	scratch_load_b32 v2, off, off offset:324
	s_waitcnt vmcnt(1)
	v_add_nc_u32_e32 v1, 0x80, v1
	s_waitcnt vmcnt(0)
	v_add_nc_u32_e32 v5, 0, v2
	ds_load_2addr_stride64_b32 v[1:2], v1 offset1:11
	ds_load_2addr_b32 v[3:4], v5 offset0:40 offset1:41
	ds_load_b32 v5, v5 offset:2976
	s_waitcnt lgkmcnt(1)
	v_fma_mix_f32 v6, v3, v1, 0 op_sel_hi:[0,1,0]
	v_fma_mix_f32 v1, v3, v1, 0 op_sel:[0,1,0] op_sel_hi:[0,1,0]
	s_waitcnt lgkmcnt(0)
	s_delay_alu instid0(VALU_DEP_2) | instskip(NEXT) | instid1(VALU_DEP_2)
	v_fma_mix_f32 v3, v5, v2, v6 op_sel_hi:[0,1,0]
	v_fma_mix_f32 v5, v5, v2, v1 op_sel:[0,1,0] op_sel_hi:[0,1,0]
	v_mad_u64_u32 v[1:2], null, v0, s45, v[115:116]
	s_delay_alu instid0(VALU_DEP_3) | instskip(NEXT) | instid1(VALU_DEP_3)
	v_div_scale_f32 v6, null, v4, v4, v3
	v_div_scale_f32 v7, null, v4, v4, v5
	v_div_scale_f32 v2, vcc_lo, v3, v4, v3
	s_delay_alu instid0(VALU_DEP_3) | instskip(NEXT) | instid1(VALU_DEP_2)
	v_rcp_f32_e32 v8, v6
	v_rcp_f32_e32 v9, v7
	s_waitcnt_depctr 0xfff
	v_fma_f32 v10, -v6, v8, 1.0
	v_fma_f32 v0, -v7, v9, 1.0
	s_delay_alu instid0(VALU_DEP_2) | instskip(SKIP_1) | instid1(VALU_DEP_3)
	v_fmac_f32_e32 v8, v10, v8
	v_div_scale_f32 v10, s4, v5, v4, v5
	v_fmac_f32_e32 v9, v0, v9
	v_mul_lo_u32 v0, v1, 40
	s_delay_alu instid0(VALU_DEP_2) | instskip(NEXT) | instid1(VALU_DEP_1)
	v_mul_f32_e32 v12, v10, v9
	v_fma_f32 v13, -v7, v12, v10
	s_delay_alu instid0(VALU_DEP_1) | instskip(NEXT) | instid1(VALU_DEP_1)
	v_dual_mul_f32 v11, v2, v8 :: v_dual_fmac_f32 v12, v13, v9
	v_fma_f32 v1, -v6, v11, v2
	s_delay_alu instid0(VALU_DEP_1) | instskip(SKIP_2) | instid1(VALU_DEP_3)
	v_fmac_f32_e32 v11, v1, v8
	v_ashrrev_i32_e32 v1, 31, v0
	v_or_b32_e32 v0, v0, v193
	v_fma_f32 v2, -v6, v11, v2
	s_delay_alu instid0(VALU_DEP_3) | instskip(SKIP_1) | instid1(VALU_DEP_3)
	v_or_b32_e32 v1, 0, v1
	v_fma_f32 v6, -v7, v12, v10
	v_div_fmas_f32 v2, v2, v8, v11
	s_mov_b32 vcc_lo, s4
	s_delay_alu instid0(VALU_DEP_3) | instskip(NEXT) | instid1(VALU_DEP_3)
	v_lshlrev_b64 v[0:1], 3, v[0:1]
	v_div_fmas_f32 v6, v6, v9, v12
	s_delay_alu instid0(VALU_DEP_3) | instskip(NEXT) | instid1(VALU_DEP_2)
	v_div_fixup_f32 v2, v2, v4, v3
	v_div_fixup_f32 v3, v6, v4, v5
	s_delay_alu instid0(VALU_DEP_4)
	v_add_co_u32 v4, vcc_lo, s47, v0
	v_add_co_ci_u32_e32 v5, vcc_lo, s67, v1, vcc_lo
	v_mov_b32_e32 v1, 0
	global_store_b64 v[4:5], v[2:3], off offset:256
.LBB9_315:                              ;   in Loop: Header=BB9_13 Depth=1
	s_or_b32 exec_lo, exec_lo, s5
	s_mov_b32 s4, -1
	s_mov_b32 s5, exec_lo
	v_cmpx_gt_i32_e32 0x47, v1
; %bb.316:                              ;   in Loop: Header=BB9_13 Depth=1
	v_cmp_eq_u32_e32 vcc_lo, 0, v1
	s_or_not1_b32 s4, vcc_lo, exec_lo
; %bb.317:                              ;   in Loop: Header=BB9_13 Depth=1
	s_or_b32 exec_lo, exec_lo, s5
	s_delay_alu instid0(SALU_CYCLE_1)
	s_and_b32 exec_lo, exec_lo, s4
	s_cbranch_execz .LBB9_11
; %bb.318:                              ;   in Loop: Header=BB9_13 Depth=1
	scratch_load_b32 v0, off, off offset:332 ; 4-byte Folded Reload
	s_waitcnt vmcnt(0)
	v_add_nc_u32_e32 v0, s74, v0
	s_delay_alu instid0(VALU_DEP_1) | instskip(SKIP_1) | instid1(SALU_CYCLE_1)
	v_cmp_gt_i32_e32 vcc_lo, s44, v0
	s_and_b32 s3, vcc_lo, s3
	s_and_b32 exec_lo, exec_lo, s3
	s_cbranch_execz .LBB9_11
; %bb.319:                              ;   in Loop: Header=BB9_13 Depth=1
	s_clause 0x1
	scratch_load_b32 v1, off, off offset:364
	scratch_load_b32 v2, off, off offset:360
	s_waitcnt vmcnt(1)
	v_add_nc_u32_e32 v1, 0x80, v1
	s_waitcnt vmcnt(0)
	v_add_nc_u32_e32 v5, 0, v2
	ds_load_2addr_stride64_b32 v[1:2], v1 offset1:11
	ds_load_2addr_b32 v[3:4], v5 offset0:40 offset1:41
	ds_load_b32 v5, v5 offset:2976
	s_waitcnt lgkmcnt(1)
	v_fma_mix_f32 v6, v3, v1, 0 op_sel_hi:[0,1,0]
	v_fma_mix_f32 v1, v3, v1, 0 op_sel:[0,1,0] op_sel_hi:[0,1,0]
	s_waitcnt lgkmcnt(0)
	s_delay_alu instid0(VALU_DEP_2) | instskip(NEXT) | instid1(VALU_DEP_2)
	v_fma_mix_f32 v3, v5, v2, v6 op_sel_hi:[0,1,0]
	v_fma_mix_f32 v5, v5, v2, v1 op_sel:[0,1,0] op_sel_hi:[0,1,0]
	v_mad_u64_u32 v[1:2], null, v0, s45, v[115:116]
	s_delay_alu instid0(VALU_DEP_3) | instskip(NEXT) | instid1(VALU_DEP_3)
	v_div_scale_f32 v6, null, v4, v4, v3
	v_div_scale_f32 v7, null, v4, v4, v5
	v_div_scale_f32 v2, vcc_lo, v3, v4, v3
	s_delay_alu instid0(VALU_DEP_3) | instskip(NEXT) | instid1(VALU_DEP_2)
	v_rcp_f32_e32 v8, v6
	v_rcp_f32_e32 v9, v7
	s_waitcnt_depctr 0xfff
	v_fma_f32 v10, -v6, v8, 1.0
	v_fma_f32 v0, -v7, v9, 1.0
	s_delay_alu instid0(VALU_DEP_2) | instskip(SKIP_1) | instid1(VALU_DEP_3)
	v_fmac_f32_e32 v8, v10, v8
	v_div_scale_f32 v10, s3, v5, v4, v5
	v_fmac_f32_e32 v9, v0, v9
	v_mul_lo_u32 v0, v1, 40
	s_delay_alu instid0(VALU_DEP_2) | instskip(NEXT) | instid1(VALU_DEP_1)
	v_mul_f32_e32 v12, v10, v9
	v_fma_f32 v13, -v7, v12, v10
	s_delay_alu instid0(VALU_DEP_1) | instskip(NEXT) | instid1(VALU_DEP_1)
	v_dual_mul_f32 v11, v2, v8 :: v_dual_fmac_f32 v12, v13, v9
	v_fma_f32 v1, -v6, v11, v2
	s_delay_alu instid0(VALU_DEP_1) | instskip(SKIP_2) | instid1(VALU_DEP_3)
	v_fmac_f32_e32 v11, v1, v8
	v_ashrrev_i32_e32 v1, 31, v0
	v_or_b32_e32 v0, v0, v193
	v_fma_f32 v2, -v6, v11, v2
	s_delay_alu instid0(VALU_DEP_3) | instskip(SKIP_1) | instid1(VALU_DEP_3)
	v_or_b32_e32 v1, 0, v1
	v_fma_f32 v6, -v7, v12, v10
	v_div_fmas_f32 v2, v2, v8, v11
	s_delay_alu instid0(VALU_DEP_3) | instskip(SKIP_1) | instid1(VALU_DEP_3)
	v_lshlrev_b64 v[0:1], 3, v[0:1]
	s_mov_b32 vcc_lo, s3
	v_div_fmas_f32 v6, v6, v9, v12
	s_delay_alu instid0(VALU_DEP_3) | instskip(NEXT) | instid1(VALU_DEP_3)
	v_div_fixup_f32 v2, v2, v4, v3
	v_add_co_u32 v0, vcc_lo, s47, v0
	s_delay_alu instid0(VALU_DEP_3)
	v_div_fixup_f32 v3, v6, v4, v5
	v_add_co_ci_u32_e32 v1, vcc_lo, s67, v1, vcc_lo
	global_store_b64 v[0:1], v[2:3], off offset:256
	s_branch .LBB9_11
.LBB9_320:
	v_readlane_b32 s90, v255, 2
	s_and_not1_b32 vcc_lo, exec_lo, s3
	s_cbranch_vccz .LBB9_323
.LBB9_321:
	s_endpgm
.LBB9_322:
	s_clause 0x7
	scratch_load_b32 v222, off, off offset:340
	scratch_load_b32 v223, off, off offset:344
	;; [unrolled: 1-line block ×8, first 2 shown]
	v_readlane_b32 s36, v255, 3
	v_readlane_b32 s15, v255, 6
	;; [unrolled: 1-line block ×5, first 2 shown]
	s_and_not1_b32 vcc_lo, exec_lo, s3
	s_cbranch_vccnz .LBB9_321
.LBB9_323:
	v_readlane_b32 s6, v255, 1
	s_abs_i32 s3, s58
	v_readlane_b32 s8, v255, 0
	v_mov_b32_e32 v40, s103
	s_delay_alu instid0(VALU_DEP_3) | instskip(NEXT) | instid1(SALU_CYCLE_1)
	s_abs_i32 s0, s6
	v_cvt_f32_u32_e32 v0, s0
	s_sub_i32 s2, 0, s0
	s_delay_alu instid0(VALU_DEP_1) | instskip(SKIP_2) | instid1(VALU_DEP_1)
	v_rcp_iflag_f32_e32 v0, v0
	s_waitcnt_depctr 0xfff
	v_mul_f32_e32 v0, 0x4f7ffffe, v0
	v_cvt_u32_f32_e32 v0, v0
	s_delay_alu instid0(VALU_DEP_1) | instskip(NEXT) | instid1(VALU_DEP_1)
	v_readfirstlane_b32 s1, v0
	s_mul_i32 s2, s2, s1
	s_delay_alu instid0(SALU_CYCLE_1) | instskip(NEXT) | instid1(SALU_CYCLE_1)
	s_mul_hi_u32 s2, s1, s2
	s_add_i32 s1, s1, s2
	s_xor_b32 s2, s58, s6
	s_mul_hi_u32 s1, s3, s1
	s_ashr_i32 s2, s2, 31
	s_mul_i32 s4, s1, s0
	s_delay_alu instid0(SALU_CYCLE_1)
	s_sub_i32 s3, s3, s4
	s_add_i32 s4, s1, 1
	s_sub_i32 s5, s3, s0
	s_cmp_ge_u32 s3, s0
	s_cselect_b32 s1, s4, s1
	s_cselect_b32 s3, s5, s3
	s_add_i32 s4, s1, 1
	s_cmp_ge_u32 s3, s0
	s_cselect_b32 s0, s4, s1
	s_abs_i32 s1, s8
	s_xor_b32 s0, s0, s2
	v_cvt_f32_u32_e32 v0, s1
	s_sub_i32 s2, s0, s2
	s_sub_i32 s0, 0, s1
	s_mul_i32 s4, s2, s6
	s_delay_alu instid0(VALU_DEP_1) | instskip(SKIP_1) | instid1(SALU_CYCLE_1)
	v_rcp_iflag_f32_e32 v0, v0
	s_sub_i32 s4, s58, s4
	s_abs_i32 s5, s4
	s_waitcnt_depctr 0xfff
	v_mul_f32_e32 v0, 0x4f7ffffe, v0
	s_delay_alu instid0(VALU_DEP_1) | instskip(NEXT) | instid1(VALU_DEP_1)
	v_cvt_u32_f32_e32 v0, v0
	v_readfirstlane_b32 s3, v0
	s_delay_alu instid0(VALU_DEP_1) | instskip(NEXT) | instid1(SALU_CYCLE_1)
	s_mul_i32 s0, s0, s3
	s_mul_hi_u32 s0, s3, s0
	s_delay_alu instid0(SALU_CYCLE_1) | instskip(NEXT) | instid1(SALU_CYCLE_1)
	s_add_i32 s3, s3, s0
	s_mul_hi_u32 s0, s5, s3
	s_xor_b32 s3, s4, s8
	s_mul_i32 s6, s0, s1
	s_ashr_i32 s3, s3, 31
	s_sub_i32 s5, s5, s6
	s_add_i32 s6, s0, 1
	s_sub_i32 s7, s5, s1
	s_cmp_ge_u32 s5, s1
	s_cselect_b32 s0, s6, s0
	s_cselect_b32 s5, s7, s5
	s_add_i32 s6, s0, 1
	s_cmp_ge_u32 s5, s1
	s_cselect_b32 s0, s6, s0
	s_abs_i32 s1, s90
	s_xor_b32 s0, s0, s3
	v_cvt_f32_u32_e32 v0, s1
	s_sub_i32 s3, s0, s3
	s_sub_i32 s0, 0, s1
	s_mul_i32 s6, s3, s8
	s_delay_alu instid0(VALU_DEP_1) | instskip(SKIP_1) | instid1(SALU_CYCLE_1)
	v_rcp_iflag_f32_e32 v0, v0
	s_sub_i32 s4, s4, s6
	s_abs_i32 s6, s4
	s_waitcnt_depctr 0xfff
	v_mul_f32_e32 v0, 0x4f7ffffe, v0
	s_delay_alu instid0(VALU_DEP_1) | instskip(NEXT) | instid1(VALU_DEP_1)
	v_cvt_u32_f32_e32 v0, v0
	v_readfirstlane_b32 s5, v0
	s_delay_alu instid0(VALU_DEP_1) | instskip(NEXT) | instid1(SALU_CYCLE_1)
	s_mul_i32 s0, s0, s5
	s_mul_hi_u32 s0, s5, s0
	s_delay_alu instid0(SALU_CYCLE_1) | instskip(NEXT) | instid1(SALU_CYCLE_1)
	s_add_i32 s5, s5, s0
	s_mul_hi_u32 s0, s6, s5
	s_xor_b32 s5, s4, s90
	s_mul_i32 s7, s0, s1
	s_ashr_i32 s5, s5, 31
	s_sub_i32 s6, s6, s7
	s_add_i32 s7, s0, 1
	s_sub_i32 s8, s6, s1
	s_cmp_ge_u32 s6, s1
	s_cselect_b32 s0, s7, s0
	s_cselect_b32 s6, s8, s6
	s_add_i32 s7, s0, 1
	s_cmp_ge_u32 s6, s1
	s_cselect_b32 s0, s7, s0
	s_delay_alu instid0(SALU_CYCLE_1) | instskip(NEXT) | instid1(SALU_CYCLE_1)
	s_xor_b32 s0, s0, s5
	s_sub_i32 s0, s0, s5
	s_delay_alu instid0(SALU_CYCLE_1) | instskip(NEXT) | instid1(SALU_CYCLE_1)
	s_mul_i32 s1, s0, s90
	s_sub_i32 s1, s4, s1
	s_delay_alu instid0(SALU_CYCLE_1) | instskip(SKIP_4) | instid1(SALU_CYCLE_1)
	s_abs_i32 s4, s1
	s_ashr_i32 s1, s1, 31
	s_mul_hi_u32 s5, s4, s83
	s_xor_b32 s1, s1, s82
	s_mul_i32 s6, s5, s81
	s_sub_i32 s4, s4, s6
	s_add_i32 s6, s5, 1
	s_sub_i32 s7, s4, s81
	s_cmp_ge_u32 s4, s81
	s_cselect_b32 s5, s6, s5
	s_cselect_b32 s4, s7, s4
	s_add_i32 s6, s5, 1
	s_cmp_ge_u32 s4, s81
	s_cselect_b32 s5, s6, s5
	s_abs_i32 s4, s38
	s_xor_b32 s5, s5, s1
	v_cvt_f32_u32_e32 v0, s4
	s_sub_i32 s1, s5, s1
	s_cmp_eq_u64 s[26:27], 0
	s_delay_alu instid0(VALU_DEP_1) | instskip(SKIP_2) | instid1(VALU_DEP_1)
	v_rcp_iflag_f32_e32 v0, v0
	s_waitcnt_depctr 0xfff
	v_mul_f32_e32 v0, 0x4f7ffffe, v0
	v_cvt_u32_f32_e32 v0, v0
	s_delay_alu instid0(VALU_DEP_1)
	v_readfirstlane_b32 s7, v0
	s_cbranch_scc1 .LBB9_325
; %bb.324:
	s_mul_i32 s5, s2, s75
	v_mov_b32_e32 v0, 0
	s_add_i32 s8, s1, s5
	s_delay_alu instid0(SALU_CYCLE_1) | instskip(NEXT) | instid1(SALU_CYCLE_1)
	s_ashr_i32 s9, s8, 31
	s_lshl_b64 s[8:9], s[8:9], 2
	s_delay_alu instid0(SALU_CYCLE_1) | instskip(SKIP_4) | instid1(VALU_DEP_1)
	s_add_u32 s8, s26, s8
	s_addc_u32 s9, s27, s9
	global_load_b32 v0, v0, s[8:9]
	s_waitcnt vmcnt(0)
	v_ashrrev_i32_e32 v1, 31, v0
	v_lshrrev_b32_e32 v1, 26, v1
	s_delay_alu instid0(VALU_DEP_1) | instskip(NEXT) | instid1(VALU_DEP_1)
	v_add_nc_u32_e32 v0, v0, v1
	v_ashrrev_i32_e32 v0, 6, v0
	s_delay_alu instid0(VALU_DEP_1)
	v_min_i32_e32 v40, s103, v0
.LBB9_325:
	s_mul_i32 s5, s3, s33
	s_lshl_b32 s8, s0, 2
	s_mul_i32 s0, s2, s57
	s_add_i32 s5, s8, s5
	s_ashr_i32 s6, s0, 31
	s_mul_i32 s5, s5, s56
	s_add_u32 s0, s16, s0
	s_addc_u32 s6, s17, s6
	s_ashr_i32 s9, s5, 31
	s_add_u32 s5, s0, s5
	s_addc_u32 s6, s6, s9
	s_lshl_b32 s1, s1, 3
	v_or_b32_e32 v1, s8, v179
	v_add_nc_u32_e32 v0, s1, v188
	s_delay_alu instid0(VALU_DEP_2) | instskip(NEXT) | instid1(VALU_DEP_2)
	v_cmp_gt_i32_e32 vcc_lo, s33, v1
	v_cmp_le_i32_e64 s0, s44, v0
	s_xor_b32 s9, vcc_lo, -1
	s_delay_alu instid0(VALU_DEP_1) | instid1(SALU_CYCLE_1)
	s_or_b32 s0, s0, s9
	s_delay_alu instid0(SALU_CYCLE_1) | instskip(NEXT) | instid1(SALU_CYCLE_1)
	s_and_saveexec_b32 s11, s0
	s_xor_b32 s0, exec_lo, s11
	s_cbranch_execz .LBB9_327
; %bb.326:
	v_mad_u32_u24 v0, v235, 44, v236
	v_mov_b32_e32 v1, 0
	s_delay_alu instid0(VALU_DEP_2)
	v_lshl_add_u32 v0, v0, 2, 0
	ds_store_b32 v0, v1
                                        ; implicit-def: $vgpr0
.LBB9_327:
	s_and_not1_saveexec_b32 s0, s0
	s_cbranch_execz .LBB9_329
; %bb.328:
	v_mul_lo_u32 v0, v0, s59
	v_mul_lo_u32 v1, v179, s14
	s_delay_alu instid0(VALU_DEP_1) | instskip(NEXT) | instid1(VALU_DEP_1)
	v_add3_u32 v0, v1, v236, v0
	v_ashrrev_i32_e32 v1, 31, v0
	s_delay_alu instid0(VALU_DEP_1) | instskip(NEXT) | instid1(VALU_DEP_1)
	v_lshlrev_b64 v[0:1], 3, v[0:1]
	v_add_co_u32 v0, vcc_lo, s5, v0
	s_delay_alu instid0(VALU_DEP_2) | instskip(SKIP_4) | instid1(VALU_DEP_1)
	v_add_co_ci_u32_e32 v1, vcc_lo, s6, v1, vcc_lo
	global_load_b64 v[0:1], v[0:1], off
	s_waitcnt vmcnt(0)
	v_cvt_f16_f32_e32 v0, v0
	v_cvt_f16_f32_e32 v1, v1
	v_pack_b32_f16 v0, v0, v1
	v_mad_u32_u24 v1, v235, 44, v236
	s_delay_alu instid0(VALU_DEP_2) | instskip(NEXT) | instid1(VALU_DEP_2)
	v_pk_mul_f16 v0, v147, v0
	v_lshl_add_u32 v1, v1, 2, 0
	ds_store_b32 v1, v0
.LBB9_329:
	s_or_b32 exec_lo, exec_lo, s0
	v_lshrrev_b32_e32 v0, 2, v129
	s_delay_alu instid0(VALU_DEP_1) | instskip(NEXT) | instid1(VALU_DEP_1)
	v_add_nc_u32_e32 v0, s1, v0
	v_cmp_le_i32_e32 vcc_lo, s44, v0
	s_or_b32 s0, vcc_lo, s9
	s_delay_alu instid0(SALU_CYCLE_1) | instskip(NEXT) | instid1(SALU_CYCLE_1)
	s_and_saveexec_b32 s11, s0
	s_xor_b32 s0, exec_lo, s11
	s_cbranch_execz .LBB9_331
; %bb.330:
	v_mad_u32_u24 v0, v129, 44, v236
	v_mov_b32_e32 v1, 0
	s_delay_alu instid0(VALU_DEP_2)
	v_lshl_add_u32 v0, v0, 2, 0
	ds_store_b32 v0, v1
                                        ; implicit-def: $vgpr0
.LBB9_331:
	s_and_not1_saveexec_b32 s0, s0
	s_cbranch_execz .LBB9_333
; %bb.332:
	v_mul_lo_u32 v0, v0, s59
	v_mul_lo_u32 v1, v179, s14
	s_delay_alu instid0(VALU_DEP_1) | instskip(NEXT) | instid1(VALU_DEP_1)
	v_add3_u32 v0, v1, v236, v0
	v_ashrrev_i32_e32 v1, 31, v0
	s_delay_alu instid0(VALU_DEP_1) | instskip(NEXT) | instid1(VALU_DEP_1)
	v_lshlrev_b64 v[0:1], 3, v[0:1]
	v_add_co_u32 v0, vcc_lo, s5, v0
	s_delay_alu instid0(VALU_DEP_2) | instskip(SKIP_4) | instid1(VALU_DEP_1)
	v_add_co_ci_u32_e32 v1, vcc_lo, s6, v1, vcc_lo
	global_load_b64 v[0:1], v[0:1], off
	s_waitcnt vmcnt(0)
	v_cvt_f16_f32_e32 v0, v0
	v_cvt_f16_f32_e32 v1, v1
	v_pack_b32_f16 v0, v0, v1
	v_mad_u32_u24 v1, v129, 44, v236
	s_delay_alu instid0(VALU_DEP_2) | instskip(NEXT) | instid1(VALU_DEP_2)
	v_pk_mul_f16 v0, v147, v0
	v_lshl_add_u32 v1, v1, 2, 0
	ds_store_b32 v1, v0
.LBB9_333:
	s_or_b32 exec_lo, exec_lo, s0
	s_waitcnt vmcnt(0)
	v_lshrrev_b32_e32 v0, 2, v71
	s_delay_alu instid0(VALU_DEP_1) | instskip(NEXT) | instid1(VALU_DEP_1)
	v_add_nc_u32_e32 v0, s1, v0
	v_cmp_le_i32_e32 vcc_lo, s44, v0
	s_or_b32 s0, vcc_lo, s9
	s_delay_alu instid0(SALU_CYCLE_1) | instskip(NEXT) | instid1(SALU_CYCLE_1)
	s_and_saveexec_b32 s11, s0
	s_xor_b32 s0, exec_lo, s11
	s_cbranch_execz .LBB9_335
; %bb.334:
	v_mad_u32_u24 v0, v71, 44, v236
	v_mov_b32_e32 v1, 0
                                        ; implicit-def: $vgpr71
	s_delay_alu instid0(VALU_DEP_2)
	v_lshl_add_u32 v0, v0, 2, 0
	ds_store_b32 v0, v1
                                        ; implicit-def: $vgpr0
.LBB9_335:
	s_and_not1_saveexec_b32 s0, s0
	s_cbranch_execz .LBB9_337
; %bb.336:
	v_mul_lo_u32 v0, v0, s59
	v_mul_lo_u32 v1, v179, s14
	s_delay_alu instid0(VALU_DEP_1) | instskip(NEXT) | instid1(VALU_DEP_1)
	v_add3_u32 v0, v1, v236, v0
	v_ashrrev_i32_e32 v1, 31, v0
	s_delay_alu instid0(VALU_DEP_1) | instskip(NEXT) | instid1(VALU_DEP_1)
	v_lshlrev_b64 v[0:1], 3, v[0:1]
	v_add_co_u32 v0, vcc_lo, s5, v0
	s_delay_alu instid0(VALU_DEP_2) | instskip(SKIP_4) | instid1(VALU_DEP_1)
	v_add_co_ci_u32_e32 v1, vcc_lo, s6, v1, vcc_lo
	global_load_b64 v[0:1], v[0:1], off
	s_waitcnt vmcnt(0)
	v_cvt_f16_f32_e32 v0, v0
	v_cvt_f16_f32_e32 v1, v1
	v_pack_b32_f16 v0, v0, v1
	v_mad_u32_u24 v1, v71, 44, v236
	s_delay_alu instid0(VALU_DEP_2) | instskip(NEXT) | instid1(VALU_DEP_2)
	v_pk_mul_f16 v0, v147, v0
	v_lshl_add_u32 v1, v1, 2, 0
	ds_store_b32 v1, v0
.LBB9_337:
	s_or_b32 exec_lo, exec_lo, s0
	v_lshrrev_b32_e32 v0, 2, v70
	s_delay_alu instid0(VALU_DEP_1) | instskip(NEXT) | instid1(VALU_DEP_1)
	v_add_nc_u32_e32 v0, s1, v0
	v_cmp_le_i32_e32 vcc_lo, s44, v0
	s_or_b32 s0, vcc_lo, s9
	s_delay_alu instid0(SALU_CYCLE_1) | instskip(NEXT) | instid1(SALU_CYCLE_1)
	s_and_saveexec_b32 s11, s0
	s_xor_b32 s0, exec_lo, s11
	s_cbranch_execz .LBB9_339
; %bb.338:
	v_mad_u32_u24 v0, v70, 44, v236
	v_mov_b32_e32 v1, 0
                                        ; implicit-def: $vgpr70
	s_delay_alu instid0(VALU_DEP_2)
	v_lshl_add_u32 v0, v0, 2, 0
	ds_store_b32 v0, v1
                                        ; implicit-def: $vgpr0
.LBB9_339:
	s_and_not1_saveexec_b32 s0, s0
	s_cbranch_execz .LBB9_341
; %bb.340:
	v_mul_lo_u32 v0, v0, s59
	v_mul_lo_u32 v1, v179, s14
	s_delay_alu instid0(VALU_DEP_1) | instskip(NEXT) | instid1(VALU_DEP_1)
	v_add3_u32 v0, v1, v236, v0
	v_ashrrev_i32_e32 v1, 31, v0
	s_delay_alu instid0(VALU_DEP_1) | instskip(NEXT) | instid1(VALU_DEP_1)
	v_lshlrev_b64 v[0:1], 3, v[0:1]
	v_add_co_u32 v0, vcc_lo, s5, v0
	s_delay_alu instid0(VALU_DEP_2) | instskip(SKIP_4) | instid1(VALU_DEP_1)
	v_add_co_ci_u32_e32 v1, vcc_lo, s6, v1, vcc_lo
	global_load_b64 v[0:1], v[0:1], off
	s_waitcnt vmcnt(0)
	v_cvt_f16_f32_e32 v0, v0
	v_cvt_f16_f32_e32 v1, v1
	v_pack_b32_f16 v0, v0, v1
	v_mad_u32_u24 v1, v70, 44, v236
	s_delay_alu instid0(VALU_DEP_2) | instskip(NEXT) | instid1(VALU_DEP_2)
	v_pk_mul_f16 v0, v147, v0
	v_lshl_add_u32 v1, v1, 2, 0
	ds_store_b32 v1, v0
.LBB9_341:
	s_or_b32 exec_lo, exec_lo, s0
	v_lshrrev_b32_e32 v0, 2, v69
	s_delay_alu instid0(VALU_DEP_1) | instskip(NEXT) | instid1(VALU_DEP_1)
	v_add_nc_u32_e32 v0, s1, v0
	v_cmp_le_i32_e32 vcc_lo, s44, v0
	s_or_b32 s0, vcc_lo, s9
	s_delay_alu instid0(SALU_CYCLE_1) | instskip(NEXT) | instid1(SALU_CYCLE_1)
	s_and_saveexec_b32 s11, s0
	s_xor_b32 s0, exec_lo, s11
	s_cbranch_execz .LBB9_343
; %bb.342:
	v_mad_u32_u24 v0, v69, 44, v236
	v_mov_b32_e32 v1, 0
                                        ; implicit-def: $vgpr69
	s_delay_alu instid0(VALU_DEP_2)
	v_lshl_add_u32 v0, v0, 2, 0
	ds_store_b32 v0, v1
                                        ; implicit-def: $vgpr0
.LBB9_343:
	s_and_not1_saveexec_b32 s0, s0
	s_cbranch_execz .LBB9_345
; %bb.344:
	v_mul_lo_u32 v0, v0, s59
	v_mul_lo_u32 v1, v179, s14
	s_delay_alu instid0(VALU_DEP_1) | instskip(NEXT) | instid1(VALU_DEP_1)
	v_add3_u32 v0, v1, v236, v0
	v_ashrrev_i32_e32 v1, 31, v0
	s_delay_alu instid0(VALU_DEP_1) | instskip(NEXT) | instid1(VALU_DEP_1)
	v_lshlrev_b64 v[0:1], 3, v[0:1]
	v_add_co_u32 v0, vcc_lo, s5, v0
	s_delay_alu instid0(VALU_DEP_2) | instskip(SKIP_4) | instid1(VALU_DEP_1)
	v_add_co_ci_u32_e32 v1, vcc_lo, s6, v1, vcc_lo
	global_load_b64 v[0:1], v[0:1], off
	s_waitcnt vmcnt(0)
	v_cvt_f16_f32_e32 v0, v0
	v_cvt_f16_f32_e32 v1, v1
	v_pack_b32_f16 v0, v0, v1
	v_mad_u32_u24 v1, v69, 44, v236
	s_delay_alu instid0(VALU_DEP_2) | instskip(NEXT) | instid1(VALU_DEP_2)
	v_pk_mul_f16 v0, v147, v0
	v_lshl_add_u32 v1, v1, 2, 0
	ds_store_b32 v1, v0
.LBB9_345:
	s_or_b32 exec_lo, exec_lo, s0
	v_lshrrev_b32_e32 v0, 2, v68
	s_delay_alu instid0(VALU_DEP_1) | instskip(NEXT) | instid1(VALU_DEP_1)
	v_add_nc_u32_e32 v0, s1, v0
	v_cmp_le_i32_e32 vcc_lo, s44, v0
	s_or_b32 s0, vcc_lo, s9
	s_delay_alu instid0(SALU_CYCLE_1) | instskip(NEXT) | instid1(SALU_CYCLE_1)
	s_and_saveexec_b32 s11, s0
	s_xor_b32 s0, exec_lo, s11
	s_cbranch_execz .LBB9_347
; %bb.346:
	v_mad_u32_u24 v0, v68, 44, v236
	v_mov_b32_e32 v1, 0
                                        ; implicit-def: $vgpr68
	s_delay_alu instid0(VALU_DEP_2)
	v_lshl_add_u32 v0, v0, 2, 0
	ds_store_b32 v0, v1
                                        ; implicit-def: $vgpr0
.LBB9_347:
	s_and_not1_saveexec_b32 s0, s0
	s_cbranch_execz .LBB9_349
; %bb.348:
	v_mul_lo_u32 v0, v0, s59
	v_mul_lo_u32 v1, v179, s14
	s_delay_alu instid0(VALU_DEP_1) | instskip(NEXT) | instid1(VALU_DEP_1)
	v_add3_u32 v0, v1, v236, v0
	v_ashrrev_i32_e32 v1, 31, v0
	s_delay_alu instid0(VALU_DEP_1) | instskip(NEXT) | instid1(VALU_DEP_1)
	v_lshlrev_b64 v[0:1], 3, v[0:1]
	v_add_co_u32 v0, vcc_lo, s5, v0
	s_delay_alu instid0(VALU_DEP_2) | instskip(SKIP_4) | instid1(VALU_DEP_1)
	v_add_co_ci_u32_e32 v1, vcc_lo, s6, v1, vcc_lo
	global_load_b64 v[0:1], v[0:1], off
	s_waitcnt vmcnt(0)
	v_cvt_f16_f32_e32 v0, v0
	v_cvt_f16_f32_e32 v1, v1
	v_pack_b32_f16 v0, v0, v1
	v_mad_u32_u24 v1, v68, 44, v236
	s_delay_alu instid0(VALU_DEP_2) | instskip(NEXT) | instid1(VALU_DEP_2)
	v_pk_mul_f16 v0, v147, v0
	v_lshl_add_u32 v1, v1, 2, 0
	ds_store_b32 v1, v0
.LBB9_349:
	s_or_b32 exec_lo, exec_lo, s0
	v_lshrrev_b32_e32 v0, 2, v67
	s_delay_alu instid0(VALU_DEP_1) | instskip(NEXT) | instid1(VALU_DEP_1)
	v_add_nc_u32_e32 v0, s1, v0
	v_cmp_le_i32_e32 vcc_lo, s44, v0
	s_or_b32 s0, vcc_lo, s9
	s_delay_alu instid0(SALU_CYCLE_1) | instskip(NEXT) | instid1(SALU_CYCLE_1)
	s_and_saveexec_b32 s11, s0
	s_xor_b32 s0, exec_lo, s11
	s_cbranch_execz .LBB9_351
; %bb.350:
	v_mad_u32_u24 v0, v67, 44, v236
	v_mov_b32_e32 v1, 0
                                        ; implicit-def: $vgpr67
	s_delay_alu instid0(VALU_DEP_2)
	v_lshl_add_u32 v0, v0, 2, 0
	ds_store_b32 v0, v1
                                        ; implicit-def: $vgpr0
.LBB9_351:
	s_and_not1_saveexec_b32 s0, s0
	s_cbranch_execz .LBB9_353
; %bb.352:
	v_mul_lo_u32 v0, v0, s59
	v_mul_lo_u32 v1, v179, s14
	s_delay_alu instid0(VALU_DEP_1) | instskip(NEXT) | instid1(VALU_DEP_1)
	v_add3_u32 v0, v1, v236, v0
	v_ashrrev_i32_e32 v1, 31, v0
	s_delay_alu instid0(VALU_DEP_1) | instskip(NEXT) | instid1(VALU_DEP_1)
	v_lshlrev_b64 v[0:1], 3, v[0:1]
	v_add_co_u32 v0, vcc_lo, s5, v0
	s_delay_alu instid0(VALU_DEP_2) | instskip(SKIP_4) | instid1(VALU_DEP_1)
	v_add_co_ci_u32_e32 v1, vcc_lo, s6, v1, vcc_lo
	global_load_b64 v[0:1], v[0:1], off
	s_waitcnt vmcnt(0)
	v_cvt_f16_f32_e32 v0, v0
	v_cvt_f16_f32_e32 v1, v1
	v_pack_b32_f16 v0, v0, v1
	v_mad_u32_u24 v1, v67, 44, v236
	s_delay_alu instid0(VALU_DEP_2) | instskip(NEXT) | instid1(VALU_DEP_2)
	v_pk_mul_f16 v0, v147, v0
	v_lshl_add_u32 v1, v1, 2, 0
	ds_store_b32 v1, v0
.LBB9_353:
	s_or_b32 exec_lo, exec_lo, s0
	v_lshrrev_b32_e32 v0, 2, v66
	s_sub_i32 s11, 0, s4
	s_delay_alu instid0(VALU_DEP_1) | instskip(NEXT) | instid1(VALU_DEP_1)
	v_add_nc_u32_e32 v0, s1, v0
	v_cmp_le_i32_e32 vcc_lo, s44, v0
	s_or_b32 s0, vcc_lo, s9
	s_delay_alu instid0(SALU_CYCLE_1) | instskip(NEXT) | instid1(SALU_CYCLE_1)
	s_and_saveexec_b32 s9, s0
	s_xor_b32 s0, exec_lo, s9
	s_cbranch_execz .LBB9_355
; %bb.354:
	v_mad_u32_u24 v0, v66, 44, v236
	v_mov_b32_e32 v1, 0
                                        ; implicit-def: $vgpr179
                                        ; implicit-def: $vgpr66
	s_delay_alu instid0(VALU_DEP_2)
	v_lshl_add_u32 v0, v0, 2, 0
	ds_store_b32 v0, v1
                                        ; implicit-def: $vgpr0
.LBB9_355:
	s_or_saveexec_b32 s0, s0
	s_mul_i32 s11, s11, s7
	s_xor_b32 exec_lo, exec_lo, s0
	s_cbranch_execz .LBB9_357
; %bb.356:
	v_mul_lo_u32 v0, v0, s59
	v_mul_lo_u32 v1, v179, s14
	s_delay_alu instid0(VALU_DEP_1) | instskip(NEXT) | instid1(VALU_DEP_1)
	v_add3_u32 v0, v1, v236, v0
	v_ashrrev_i32_e32 v1, 31, v0
	s_delay_alu instid0(VALU_DEP_1) | instskip(NEXT) | instid1(VALU_DEP_1)
	v_lshlrev_b64 v[0:1], 3, v[0:1]
	v_add_co_u32 v0, vcc_lo, s5, v0
	s_delay_alu instid0(VALU_DEP_2) | instskip(SKIP_4) | instid1(VALU_DEP_1)
	v_add_co_ci_u32_e32 v1, vcc_lo, s6, v1, vcc_lo
	global_load_b64 v[0:1], v[0:1], off
	s_waitcnt vmcnt(0)
	v_cvt_f16_f32_e32 v0, v0
	v_cvt_f16_f32_e32 v1, v1
	v_pack_b32_f16 v0, v0, v1
	v_mad_u32_u24 v1, v66, 44, v236
	s_delay_alu instid0(VALU_DEP_2) | instskip(NEXT) | instid1(VALU_DEP_2)
	v_pk_mul_f16 v0, v147, v0
	v_lshl_add_u32 v1, v1, 2, 0
	ds_store_b32 v1, v0
.LBB9_357:
	s_or_b32 exec_lo, exec_lo, s0
	v_lshrrev_b32_e32 v225, 3, v236
	v_bfe_u32 v0, v236, 3, 2
	v_and_b32_e32 v224, 7, v236
	s_mul_hi_u32 s11, s7, s11
	s_delay_alu instid0(VALU_DEP_3) | instskip(NEXT) | instid1(VALU_DEP_3)
	v_lshl_add_u32 v80, v235, 2, v225
	v_or_b32_e32 v2, s8, v0
	v_mul_lo_u32 v0, s14, v0
	s_delay_alu instid0(VALU_DEP_3) | instskip(NEXT) | instid1(VALU_DEP_3)
	v_lshrrev_b32_e32 v1, 2, v80
	v_cmp_gt_i32_e32 vcc_lo, s33, v2
	s_delay_alu instid0(VALU_DEP_2) | instskip(SKIP_1) | instid1(VALU_DEP_1)
	v_add_nc_u32_e32 v1, s1, v1
	s_xor_b32 s9, vcc_lo, -1
	v_cmp_le_i32_e64 s0, s44, v1
	s_delay_alu instid0(VALU_DEP_1) | instskip(NEXT) | instid1(SALU_CYCLE_1)
	s_or_b32 s0, s0, s9
	s_and_saveexec_b32 s8, s0
	s_delay_alu instid0(SALU_CYCLE_1)
	s_xor_b32 s0, exec_lo, s8
	s_cbranch_execz .LBB9_359
; %bb.358:
	v_mad_u32_u24 v1, v80, 44, v224
	v_mov_b32_e32 v2, 0
	s_delay_alu instid0(VALU_DEP_2)
	v_lshl_add_u32 v1, v1, 2, 0
	ds_store_b32 v1, v2 offset:128
                                        ; implicit-def: $vgpr1
.LBB9_359:
	s_or_saveexec_b32 s0, s0
	v_add3_u32 v0, v0, v224, 32
	s_abs_i32 s8, s2
	s_add_i32 s7, s7, s11
	s_xor_b32 exec_lo, exec_lo, s0
	s_cbranch_execz .LBB9_361
; %bb.360:
	v_mad_u64_u32 v[2:3], null, v1, s59, v[0:1]
	s_delay_alu instid0(VALU_DEP_1) | instskip(NEXT) | instid1(VALU_DEP_1)
	v_ashrrev_i32_e32 v3, 31, v2
	v_lshlrev_b64 v[1:2], 3, v[2:3]
	s_delay_alu instid0(VALU_DEP_1) | instskip(NEXT) | instid1(VALU_DEP_2)
	v_add_co_u32 v1, vcc_lo, s5, v1
	v_add_co_ci_u32_e32 v2, vcc_lo, s6, v2, vcc_lo
	global_load_b64 v[1:2], v[1:2], off
	s_waitcnt vmcnt(0)
	v_cvt_f16_f32_e32 v1, v1
	v_cvt_f16_f32_e32 v2, v2
	s_delay_alu instid0(VALU_DEP_1) | instskip(SKIP_1) | instid1(VALU_DEP_2)
	v_pack_b32_f16 v1, v1, v2
	v_mad_u32_u24 v2, v80, 44, v224
	v_pk_mul_f16 v1, v147, v1
	s_delay_alu instid0(VALU_DEP_2)
	v_lshl_add_u32 v2, v2, 2, 0
	ds_store_b32 v2, v1 offset:128
.LBB9_361:
	s_or_b32 exec_lo, exec_lo, s0
	v_add_nc_u32_e32 v1, 16, v80
	s_mul_hi_u32 s7, s8, s7
	s_delay_alu instid0(VALU_DEP_1) | instskip(NEXT) | instid1(VALU_DEP_1)
	v_lshrrev_b32_e32 v2, 2, v1
	v_add_nc_u32_e32 v2, s1, v2
	s_delay_alu instid0(VALU_DEP_1) | instskip(SKIP_1) | instid1(SALU_CYCLE_1)
	v_cmp_le_i32_e32 vcc_lo, s44, v2
	s_or_b32 s0, vcc_lo, s9
	s_and_saveexec_b32 s9, s0
	s_delay_alu instid0(SALU_CYCLE_1)
	s_xor_b32 s0, exec_lo, s9
	s_cbranch_execz .LBB9_363
; %bb.362:
	v_mad_u32_u24 v0, v1, 44, v224
	v_mov_b32_e32 v1, 0
                                        ; implicit-def: $vgpr2
                                        ; implicit-def: $vgpr147
	s_delay_alu instid0(VALU_DEP_2)
	v_lshl_add_u32 v0, v0, 2, 0
	ds_store_b32 v0, v1 offset:128
                                        ; implicit-def: $vgpr0
                                        ; implicit-def: $vgpr1
.LBB9_363:
	s_or_saveexec_b32 s9, s0
	s_ashr_i32 s0, s2, 31
	s_xor_b32 exec_lo, exec_lo, s9
	s_cbranch_execz .LBB9_365
; %bb.364:
	v_mad_u64_u32 v[3:4], null, v2, s59, v[0:1]
	v_mad_u32_u24 v1, v1, 44, v224
	s_delay_alu instid0(VALU_DEP_1) | instskip(NEXT) | instid1(VALU_DEP_3)
	v_lshl_add_u32 v1, v1, 2, 0
	v_ashrrev_i32_e32 v4, 31, v3
	s_delay_alu instid0(VALU_DEP_1) | instskip(NEXT) | instid1(VALU_DEP_1)
	v_lshlrev_b64 v[2:3], 3, v[3:4]
	v_add_co_u32 v2, vcc_lo, s5, v2
	s_delay_alu instid0(VALU_DEP_2) | instskip(SKIP_4) | instid1(VALU_DEP_1)
	v_add_co_ci_u32_e32 v3, vcc_lo, s6, v3, vcc_lo
	global_load_b64 v[2:3], v[2:3], off
	s_waitcnt vmcnt(0)
	v_cvt_f16_f32_e32 v0, v2
	v_cvt_f16_f32_e32 v2, v3
	v_pack_b32_f16 v0, v0, v2
	s_delay_alu instid0(VALU_DEP_1)
	v_pk_mul_f16 v0, v147, v0
	ds_store_b32 v1, v0 offset:128
.LBB9_365:
	s_or_b32 exec_lo, exec_lo, s9
	v_and_b32_e32 v81, 0x1ff0, v222
	v_and_b32_e32 v143, 15, v236
	s_mul_i32 s5, s2, s49
	s_mul_hi_u32 s6, s2, s48
	s_mul_i32 s9, s2, s48
	s_add_i32 s5, s6, s5
	s_mul_i32 s6, s0, s48
	v_mul_u32_u24_e32 v0, 0xb0, v81
	v_mul_u32_u24_e32 v41, 0xb0, v143
	s_add_i32 s5, s5, s6
	s_add_u32 s6, s18, s9
	s_mul_i32 s9, s3, s91
	s_addc_u32 s5, s19, s5
	s_ashr_i32 s11, s9, 31
	s_mul_i32 s7, s7, s4
	v_add3_u32 v36, 0, v0, v41
	s_add_u32 s14, s6, s9
	s_addc_u32 s26, s5, s11
	s_sub_i32 s5, s8, s7
	s_waitcnt lgkmcnt(0)
	s_waitcnt_vscnt null, 0x0
	s_sub_i32 s6, s5, s4
	s_cmp_ge_u32 s5, s4
	s_barrier
	buffer_gl0_inv
	ds_load_b128 v[8:11], v36
	ds_load_b128 v[12:15], v36 offset:16
	ds_load_b128 v[0:3], v36 offset:32
	;; [unrolled: 1-line block ×9, first 2 shown]
	s_cselect_b32 s5, s6, s5
	v_add_nc_u32_e32 v117, -1, v40
	s_sub_i32 s6, s5, s4
	s_cmp_ge_u32 s5, s4
	s_mul_i32 s3, s3, s51
	s_cselect_b32 s4, s6, s5
	v_cmp_lt_i32_e32 vcc_lo, s104, v117
	s_xor_b32 s4, s4, s0
	v_lshlrev_b32_e32 v40, 1, v236
	s_sub_i32 s4, s4, s0
	s_mul_i32 s0, s0, s52
	s_ashr_i32 s5, s4, 31
	s_mul_i32 s6, s4, s55
	s_mul_hi_u32 s7, s4, s54
	s_mul_i32 s5, s5, s54
	s_add_i32 s6, s7, s6
	s_mul_i32 s4, s4, s54
	s_add_i32 s6, s6, s5
	s_add_u32 s24, s22, s4
	s_mul_i32 s4, s2, s53
	s_mul_hi_u32 s5, s2, s52
	s_addc_u32 s25, s23, s6
	s_add_i32 s4, s5, s4
	s_mul_i32 s2, s2, s52
	s_add_i32 s4, s4, s0
	s_add_u32 s0, s20, s2
	s_addc_u32 s2, s21, s4
	s_ashr_i32 s4, s3, 31
	s_add_u32 s11, s0, s3
	s_addc_u32 s13, s2, s4
	s_mov_b32 s0, 0
	s_and_b32 vcc_lo, exec_lo, vcc_lo
	s_mov_b32 s3, -1
	s_waitcnt lgkmcnt(0)
	s_barrier
	buffer_gl0_inv
	s_cbranch_vccnz .LBB9_367
; %bb.366:
	v_dual_mov_b32 v153, 32 :: v_dual_add_nc_u32 v42, s1, v235
	v_dual_mov_b32 v112, 0 :: v_dual_add_nc_u32 v43, s1, v129
	v_mul_lo_u32 v88, s12, v80
	s_delay_alu instid0(VALU_DEP_3) | instskip(SKIP_1) | instid1(VALU_DEP_4)
	v_mul_hi_u32 v44, s34, v42
	v_mul_lo_u32 v101, s10, v80
	v_mul_hi_u32 v45, s34, v43
	s_movk_i32 s3, 0xb00
	v_lshlrev_b32_e32 v140, 4, v235
	v_mad_u32_u24 v133, 0xb0, v80, s3
	s_movk_i32 s3, 0x2100
	v_lshrrev_b32_e32 v46, 1, v236
	v_add_nc_u32_e32 v44, v42, v44
	s_lshl_b32 s4, s12, 4
	v_add_nc_u32_e32 v45, v43, v45
	v_mad_u32_u24 v149, 0xb0, v80, s3
	s_lshl_b32 s3, s10, 4
	v_lshrrev_b32_e32 v44, s35, v44
	v_add_nc_u32_e32 v92, s4, v88
	v_lshrrev_b32_e32 v45, s35, v45
	v_add_nc_u32_e32 v103, s3, v101
	v_add_nc_u32_e32 v46, v140, v46
	v_mul_lo_u32 v44, v44, s44
	v_add_nc_u32_e32 v94, s4, v92
	v_mul_lo_u32 v45, v45, s44
	;; [unrolled: 2-line block ×3, first 2 shown]
	v_mul_lo_u32 v107, s10, v46
	v_and_b32_e32 v148, 16, v140
	s_movk_i32 s2, 0x240
	v_sub_nc_u32_e32 v42, v42, v44
	v_dual_mov_b32 v114, v112 :: v_dual_lshlrev_b32 v47, 2, v236
	v_sub_nc_u32_e32 v43, v43, v45
	v_add_nc_u32_e32 v115, s4, v94
	s_delay_alu instid0(VALU_DEP_4)
	v_mad_i64_i32 v[98:99], null, v42, s46, 0
	v_and_or_b32 v42, v236, 12, v81
	v_mbcnt_lo_u32_b32 v154, -1, 0
	v_lshrrev_b32_e32 v130, 4, v236
	v_add_nc_u32_e32 v109, s3, v105
	v_mad_u32_u24 v254, 0x90, v235, s2
	v_lshrrev_b32_e32 v42, 2, v42
	s_movk_i32 s2, 0x1600
	v_mad_i64_i32 v[96:97], null, v43, s46, 0
	v_mad_u32_u24 v147, 0xb0, v80, s2
	s_delay_alu instid0(VALU_DEP_3)
	v_mul_u32_u24_e32 v151, 0x90, v42
	v_and_b32_e32 v42, 8, v222
	v_mad_u32_u24 v157, 0xb0, v148, s2
	s_movk_i32 s2, 0x160
	v_mul_u32_u24_e32 v253, 0x90, v235
	v_mul_u32_u24_e32 v141, 0xb0, v80
	v_and_or_b32 v111, v47, 4, 32
	v_and_b32_e32 v113, 28, v47
	v_mul_u32_u24_e32 v132, 0xb0, v46
	v_ashrrev_i32_e32 v91, 31, v90
	v_ashrrev_i32_e32 v89, 31, v88
	;; [unrolled: 1-line block ×5, first 2 shown]
	v_mul_u32_u24_e32 v158, 0xb0, v148
	v_or_b32_e32 v150, 32, v148
	v_xor_b32_e32 v155, 16, v154
	v_xor_b32_e32 v100, 1, v130
	v_ashrrev_i32_e32 v108, 31, v107
	v_ashrrev_i32_e32 v102, 31, v101
	;; [unrolled: 1-line block ×5, first 2 shown]
	v_or_b32_e32 v144, 0xb0, v143
	v_or_b32_e32 v252, 0x160, v143
	;; [unrolled: 1-line block ×7, first 2 shown]
	v_mul_u32_u24_e32 v131, 0x160, v42
	v_mad_u32_u24 v230, v42, s2, 0x1600
	s_ashr_i32 s5, s12, 31
	s_ashr_i32 s9, s10, 31
	s_mov_b32 s2, 0xfeffffff
	s_mov_b32 s3, 0
	s_branch .LBB9_368
.LBB9_367:
                                        ; implicit-def: $vgpr100_vgpr101
                                        ; implicit-def: $sgpr0
                                        ; implicit-def: $sgpr2
                                        ; implicit-def: $vgpr253
                                        ; implicit-def: $vgpr98_vgpr99
                                        ; implicit-def: $vgpr254
                                        ; implicit-def: $vgpr96_vgpr97
                                        ; implicit-def: $vgpr140
                                        ; implicit-def: $vgpr132
                                        ; implicit-def: $vgpr90_vgpr91
                                        ; implicit-def: $vgpr111
                                        ; implicit-def: $vgpr141
                                        ; implicit-def: $vgpr113
                                        ; implicit-def: $vgpr88_vgpr89
                                        ; implicit-def: $vgpr133
                                        ; implicit-def: $vgpr92_vgpr93
                                        ; implicit-def: $vgpr147
                                        ; implicit-def: $vgpr94_vgpr95
                                        ; implicit-def: $vgpr149
                                        ; implicit-def: $vgpr115_vgpr116
                                        ; implicit-def: $vgpr148
                                        ; implicit-def: $vgpr158
                                        ; implicit-def: $vgpr150
                                        ; implicit-def: $vgpr157
                                        ; implicit-def: $vgpr130
                                        ; implicit-def: $vgpr151
                                        ; implicit-def: $vgpr154
                                        ; implicit-def: $vgpr155
                                        ; implicit-def: $vgpr153
                                        ; implicit-def: $vgpr107_vgpr108
                                        ; implicit-def: $vgpr103_vgpr104
                                        ; implicit-def: $vgpr105_vgpr106
                                        ; implicit-def: $vgpr109_vgpr110
                                        ; implicit-def: $vgpr144
                                        ; implicit-def: $vgpr252
                                        ; implicit-def: $vgpr227
                                        ; implicit-def: $vgpr228
                                        ; implicit-def: $vgpr231
                                        ; implicit-def: $vgpr229
                                        ; implicit-def: $vgpr226
                                        ; implicit-def: $vgpr131
                                        ; implicit-def: $vgpr230
                                        ; implicit-def: $sgpr4_sgpr5
                                        ; implicit-def: $sgpr8_sgpr9
                                        ; implicit-def: $vgpr101_vgpr102
.LBB9_368:
	v_dual_mov_b32 v47, s0 :: v_dual_mov_b32 v152, s2
	v_dual_mov_b32 v46, s0 :: v_dual_lshlrev_b32 v159, 1, v40
	v_dual_mov_b32 v45, s0 :: v_dual_add_nc_u32 v156, 0, v41
	v_dual_mov_b32 v44, s0 :: v_dual_lshlrev_b32 v121, 1, v143
	v_dual_mov_b32 v43, s0 :: v_dual_mov_b32 v42, s0
	v_dual_mov_b32 v41, s0 :: v_dual_mov_b32 v40, s0
	v_dual_mov_b32 v55, s0 :: v_dual_mov_b32 v54, s0
	v_dual_mov_b32 v53, s0 :: v_dual_mov_b32 v52, s0
	v_dual_mov_b32 v51, s0 :: v_dual_mov_b32 v50, s0
	v_dual_mov_b32 v49, s0 :: v_dual_mov_b32 v48, s0
	v_dual_mov_b32 v63, s0 :: v_dual_mov_b32 v62, s0
	v_dual_mov_b32 v61, s0 :: v_dual_mov_b32 v60, s0
	v_dual_mov_b32 v59, s0 :: v_dual_mov_b32 v58, s0
	v_dual_mov_b32 v57, s0 :: v_dual_mov_b32 v56, s0
	v_dual_mov_b32 v79, s0 :: v_dual_mov_b32 v78, s0
	v_dual_mov_b32 v77, s0 :: v_dual_mov_b32 v76, s0
	v_dual_mov_b32 v75, s0 :: v_dual_mov_b32 v74, s0
	v_dual_mov_b32 v73, s0 :: v_dual_mov_b32 v72, s0
	v_dual_mov_b32 v71, s0 :: v_dual_mov_b32 v70, s0
	v_dual_mov_b32 v69, s0 :: v_dual_mov_b32 v68, s0
	v_dual_mov_b32 v67, s0 :: v_dual_mov_b32 v66, s0
	v_dual_mov_b32 v65, s0 :: v_dual_mov_b32 v64, s0
	v_mov_b32_e32 v142, s0
	s_and_not1_b32 vcc_lo, exec_lo, s3
	s_cbranch_vccnz .LBB9_372
; %bb.369:
	v_dual_mov_b32 v153, 32 :: v_dual_add_nc_u32 v40, s1, v235
	v_mbcnt_lo_u32_b32 v154, -1, 0
	v_dual_mov_b32 v112, 0 :: v_dual_add_nc_u32 v41, s1, v129
	s_delay_alu instid0(VALU_DEP_3) | instskip(SKIP_1) | instid1(VALU_DEP_4)
	v_mul_hi_u32 v42, s34, v40
	v_lshlrev_b32_e32 v140, 4, v235
	v_xor_b32_e32 v155, 16, v154
	s_delay_alu instid0(VALU_DEP_4)
	v_mul_hi_u32 v44, s34, v41
	v_mov_b32_e32 v65, v112
	v_lshrrev_b32_e32 v45, 1, v236
	v_dual_mov_b32 v69, v112 :: v_dual_lshlrev_b32 v46, 2, v236
	v_cmp_gt_i32_e32 vcc_lo, 32, v155
	v_add_nc_u32_e32 v42, v40, v42
	v_mul_lo_u32 v88, s12, v80
	v_dual_mov_b32 v67, v112 :: v_dual_add_nc_u32 v44, v41, v44
	v_add_co_u32 v118, s0, s24, v159
	s_delay_alu instid0(VALU_DEP_4) | instskip(SKIP_2) | instid1(VALU_DEP_3)
	v_lshrrev_b32_e32 v42, s35, v42
	v_dual_mov_b32 v152, 0xfeffffff :: v_dual_add_nc_u32 v45, v140, v45
	v_dual_mov_b32 v142, v112 :: v_dual_and_b32 v47, 4, v46
	v_mul_lo_u32 v42, v42, s44
	v_add_co_ci_u32_e64 v119, null, s25, 0, s0
	s_movk_i32 s0, 0x240
	v_lshrrev_b32_e32 v44, s35, v44
	v_mad_u32_u24 v254, 0x90, v235, s0
	s_lshl_b32 s0, s12, 4
	s_movk_i32 s1, 0xb00
	s_delay_alu instid0(VALU_DEP_4) | instskip(SKIP_3) | instid1(VALU_DEP_4)
	v_sub_nc_u32_e32 v40, v40, v42
	v_mad_u32_u24 v42, 0xb0, v45, 0
	v_dual_mov_b32 v73, v112 :: v_dual_add_nc_u32 v92, s0, v88
	v_mul_lo_u32 v44, v44, s44
	v_mad_i64_i32 v[98:99], null, v40, s46, 0
	v_dual_mov_b32 v71, v112 :: v_dual_lshlrev_b32 v40, 2, v47
	v_mul_lo_u32 v101, s10, v80
	v_dual_mov_b32 v77, v112 :: v_dual_add_nc_u32 v94, s0, v92
	s_delay_alu instid0(VALU_DEP_3)
	v_add3_u32 v120, v42, v40, 0x80
	v_mad_u32_u24 v40, 0xb0, v80, s1
	s_clause 0x2
	scratch_store_b32 off, v225, off offset:8
	scratch_store_b32 off, v224, off
	scratch_store_b32 off, v223, off offset:344
	v_dual_mov_b32 v64, v112 :: v_dual_and_b32 v113, 28, v46
	v_sub_nc_u32_e32 v41, v41, v44
	s_clause 0x1
	scratch_store_b32 off, v40, off offset:24
	scratch_store_b32 off, v222, off offset:340
	v_and_or_b32 v40, v236, 12, v81
	v_dual_mov_b32 v70, v112 :: v_dual_add_nc_u32 v115, s0, v94
	s_lshl_b32 s0, s10, 4
	v_mad_i64_i32 v[96:97], null, v41, s46, 0
	v_dual_mov_b32 v72, v112 :: v_dual_add_nc_u32 v103, s0, v101
	v_mul_u32_u24_e32 v141, 0xb0, v80
	v_dual_mov_b32 v66, v112 :: v_dual_lshlrev_b32 v41, 2, v113
	v_lshrrev_b32_e32 v40, 2, v40
	v_lshrrev_b32_e32 v130, 4, v236
	v_dual_mov_b32 v57, v112 :: v_dual_and_b32 v148, 16, v140
	v_dual_mov_b32 v74, v112 :: v_dual_add_nc_u32 v105, s0, v103
	v_add3_u32 v146, 0, v141, v41
	v_mad_u32_u24 v41, 0x90, v40, 0
	v_dual_mov_b32 v59, v112 :: v_dual_lshlrev_b32 v42, 1, v130
	v_dual_mov_b32 v61, v112 :: v_dual_lshlrev_b32 v44, 1, v148
	v_mul_u32_u24_e32 v151, 0x90, v40
	v_dual_mov_b32 v49, v112 :: v_dual_and_b32 v40, 8, v222
	v_dual_mov_b32 v78, v112 :: v_dual_add_nc_u32 v109, s0, v105
	s_movk_i32 s0, 0x160
	v_mul_u32_u24_e32 v46, 0xb0, v45
	v_add3_u32 v163, v41, v42, v44
	v_cndmask_b32_e32 v41, v154, v155, vcc_lo
	v_mul_u32_u24_e32 v131, 0x160, v40
	v_mad_u32_u24 v40, v40, s0, 0x1600
	v_dual_mov_b32 v114, v112 :: v_dual_add_nc_u32 v43, 0, v159
	v_mul_u32_u24_e32 v253, 0x90, v235
	s_clause 0x2
	scratch_store_b32 off, v235, off offset:128
	scratch_store_b32 off, v46, off offset:20
	;; [unrolled: 1-line block ×3, first 2 shown]
	v_dual_mov_b32 v76, v112 :: v_dual_lshlrev_b32 v165, 2, v41
	v_add3_u32 v41, 0, 32, v131
	v_add3_u32 v40, 0, 64, v131
	v_mul_lo_u32 v90, s12, v45
	v_mul_lo_u32 v107, s10, v45
	v_mul_u32_u24_e32 v158, 0xb0, v148
	v_add3_u32 v166, 0, v131, v121
	v_add3_u32 v169, v41, v121, 0x1600
	;; [unrolled: 1-line block ×5, first 2 shown]
	v_dual_mov_b32 v43, v112 :: v_dual_add_nc_u32 v40, v43, v253
	s_movk_i32 s1, 0x1600
	s_movk_i32 s2, 0x2100
	v_ashrrev_i32_e32 v91, 31, v90
	v_or_b32_e32 v111, 32, v47
	v_ashrrev_i32_e32 v89, 31, v88
	v_dual_mov_b32 v75, v112 :: v_dual_add_nc_u32 v160, 0xb00, v146
	v_ashrrev_i32_e32 v93, 31, v92
	v_mad_u32_u24 v147, 0xb0, v80, s1
	v_dual_mov_b32 v68, v112 :: v_dual_add_nc_u32 v161, 0x1600, v146
	v_ashrrev_i32_e32 v95, 31, v94
	v_mad_u32_u24 v149, 0xb0, v80, s2
	v_dual_mov_b32 v79, v112 :: v_dual_add_nc_u32 v162, 0x2100, v146
	v_ashrrev_i32_e32 v116, 31, v115
	v_or_b32_e32 v150, 32, v148
	v_mad_u32_u24 v157, 0xb0, v148, s1
	v_dual_mov_b32 v63, v112 :: v_dual_add_nc_u32 v164, 0x2c00, v163
	v_xor_b32_e32 v100, 1, v130
	v_ashrrev_i32_e32 v108, 31, v107
	v_ashrrev_i32_e32 v102, 31, v101
	;; [unrolled: 1-line block ×5, first 2 shown]
	v_or_b32_e32 v144, 0xb0, v143
	v_or_b32_e32 v252, 0x160, v143
	v_dual_mov_b32 v56, v112 :: v_dual_add_nc_u32 v167, 0x1600, v166
	v_dual_mov_b32 v51, v112 :: v_dual_add_nc_u32 v168, 32, v166
	;; [unrolled: 1-line block ×4, first 2 shown]
	v_add3_u32 v173, v41, v121, 0x1600
	v_dual_mov_b32 v41, v112 :: v_dual_add_nc_u32 v174, 0x80, v166
	v_add3_u32 v175, v42, v121, 0x1600
	v_dual_mov_b32 v45, v112 :: v_dual_lshlrev_b32 v176, 2, v47
	v_dual_mov_b32 v58, v112 :: v_dual_lshlrev_b32 v177, 2, v113
	v_add_nc_u32_e32 v178, v156, v158
	v_dual_mov_b32 v60, v112 :: v_dual_add_nc_u32 v179, 0x2c00, v40
	v_mov_b32_e32 v62, v112
	v_mov_b32_e32 v48, v112
	;; [unrolled: 1-line block ×10, first 2 shown]
	s_mov_b32 s16, 0
	s_ashr_i32 s5, s12, 31
	s_ashr_i32 s9, s10, 31
	s_lshl_b32 s6, s104, 6
	s_mov_b32 s17, s16
	s_mov_b32 s18, s16
	s_mov_b32 s19, s16
	s_mov_b32 s20, s16
	s_mov_b32 s21, s16
	s_mov_b32 s22, s16
	s_mov_b32 s23, s16
.LBB9_370:                              ; =>This Inner Loop Header: Depth=1
	s_ashr_i32 s7, s6, 31
	v_lshlrev_b64 v[80:81], 1, v[98:99]
	s_lshl_b64 s[0:1], s[6:7], 1
	v_lshlrev_b64 v[82:83], 1, v[96:97]
	v_add_co_u32 v84, vcc_lo, v118, s0
	v_add_co_ci_u32_e32 v85, vcc_lo, s1, v119, vcc_lo
	s_mul_hi_i32 s1, s6, s12
	s_delay_alu instid0(VALU_DEP_2) | instskip(NEXT) | instid1(VALU_DEP_2)
	v_add_co_u32 v80, vcc_lo, v84, v80
	v_add_co_ci_u32_e32 v81, vcc_lo, v85, v81, vcc_lo
	v_add_co_u32 v82, vcc_lo, v84, v82
	v_add_co_ci_u32_e32 v83, vcc_lo, v85, v83, vcc_lo
	s_mul_i32 s0, s6, s12
	s_clause 0x1
	global_load_b32 v80, v[80:81], off
	global_load_b32 v81, v[82:83], off
	s_lshl_b64 s[0:1], s[0:1], 2
	v_dual_mov_b32 v195, s23 :: v_dual_mov_b32 v194, s22
	s_add_u32 s0, s14, s0
	s_addc_u32 s1, s26, s1
	v_dual_mov_b32 v193, s21 :: v_dual_mov_b32 v192, s20
	v_dual_mov_b32 v191, s19 :: v_dual_mov_b32 v190, s18
	;; [unrolled: 1-line block ×3, first 2 shown]
	v_cmp_eq_u32_e64 s2, 0, v130
	s_waitcnt vmcnt(0)
	ds_store_2addr_b32 v179, v80, v81 offset1:144
	v_lshlrev_b64 v[80:81], 2, v[90:91]
	s_delay_alu instid0(VALU_DEP_1) | instskip(NEXT) | instid1(VALU_DEP_2)
	v_add_co_u32 v82, vcc_lo, s0, v80
	v_add_co_ci_u32_e32 v83, vcc_lo, s1, v81, vcc_lo
	v_lshlrev_b64 v[80:81], 2, v[88:89]
	s_delay_alu instid0(VALU_DEP_1) | instskip(NEXT) | instid1(VALU_DEP_2)
	v_add_co_u32 v84, vcc_lo, s0, v80
	v_add_co_ci_u32_e32 v85, vcc_lo, s1, v81, vcc_lo
	v_add_co_u32 v80, vcc_lo, v82, v176
	v_add_co_ci_u32_e32 v81, vcc_lo, 0, v83, vcc_lo
	s_delay_alu instid0(VALU_DEP_4) | instskip(NEXT) | instid1(VALU_DEP_4)
	v_add_co_u32 v84, vcc_lo, v84, v177
	v_add_co_ci_u32_e32 v85, vcc_lo, 0, v85, vcc_lo
	s_clause 0x1
	global_load_b128 v[80:83], v[80:81], off offset:128
	global_load_b128 v[84:87], v[84:85], off
	s_waitcnt vmcnt(1)
	ds_store_b128 v120, v[80:83]
	v_lshlrev_b64 v[80:81], 2, v[92:93]
	s_delay_alu instid0(VALU_DEP_1) | instskip(NEXT) | instid1(VALU_DEP_2)
	v_add_co_u32 v82, vcc_lo, s0, v80
	v_add_co_ci_u32_e32 v83, vcc_lo, s1, v81, vcc_lo
	v_lshlrev_b64 v[80:81], 2, v[94:95]
	s_delay_alu instid0(VALU_DEP_1) | instskip(NEXT) | instid1(VALU_DEP_2)
	v_add_co_u32 v122, vcc_lo, s0, v80
	v_add_co_ci_u32_e32 v123, vcc_lo, s1, v81, vcc_lo
	v_add_co_u32 v80, vcc_lo, v82, v177
	v_add_co_ci_u32_e32 v81, vcc_lo, 0, v83, vcc_lo
	s_delay_alu instid0(VALU_DEP_4) | instskip(NEXT) | instid1(VALU_DEP_4)
	v_add_co_u32 v122, vcc_lo, v122, v177
	v_add_co_ci_u32_e32 v123, vcc_lo, 0, v123, vcc_lo
	s_clause 0x1
	global_load_b128 v[80:83], v[80:81], off
	global_load_b128 v[122:125], v[122:123], off
	s_waitcnt vmcnt(2)
	ds_store_b128 v146, v[84:87]
	s_waitcnt vmcnt(1)
	ds_store_b128 v160, v[80:83]
	v_lshlrev_b64 v[80:81], 2, v[115:116]
	s_delay_alu instid0(VALU_DEP_1) | instskip(NEXT) | instid1(VALU_DEP_2)
	v_add_co_u32 v80, vcc_lo, s0, v80
	v_add_co_ci_u32_e32 v81, vcc_lo, s1, v81, vcc_lo
	s_mul_hi_i32 s1, s6, s10
	s_delay_alu instid0(VALU_DEP_2) | instskip(NEXT) | instid1(VALU_DEP_2)
	v_add_co_u32 v80, vcc_lo, v80, v177
	v_add_co_ci_u32_e32 v81, vcc_lo, 0, v81, vcc_lo
	s_mul_i32 s0, s6, s10
	s_delay_alu instid0(SALU_CYCLE_1)
	s_lshl_b64 s[0:1], s[0:1], 2
	global_load_b128 v[80:83], v[80:81], off
	s_add_u32 s0, s11, s0
	s_addc_u32 s1, s13, s1
	s_add_i32 s104, s104, 1
	s_add_i32 s6, s6, 64
	s_waitcnt vmcnt(1)
	ds_store_b128 v161, v[122:125]
	s_waitcnt vmcnt(0)
	ds_store_b128 v162, v[80:83]
	s_waitcnt lgkmcnt(0)
	s_waitcnt_vscnt null, 0x0
	s_barrier
	buffer_gl0_inv
	ds_load_b128 v[80:83], v178
	ds_load_b128 v[84:87], v178 offset:16
	ds_load_b128 v[180:183], v178 offset:5632
	;; [unrolled: 1-line block ×3, first 2 shown]
	s_waitcnt lgkmcnt(2)
	v_wmma_f32_16x16x16_f16 v[196:203], v[80:87], v[8:15], v[188:195]
	ds_load_b128 v[80:83], v178 offset:32
	ds_load_b128 v[84:87], v178 offset:48
	s_waitcnt lgkmcnt(2)
	v_wmma_f32_16x16x16_f16 v[204:211], v[180:187], v[8:15], v[188:195]
	s_waitcnt lgkmcnt(0)
	v_wmma_f32_16x16x16_f16 v[196:203], v[80:87], v[0:7], v[196:203]
	ds_load_b128 v[80:83], v178 offset:5664
	ds_load_b128 v[84:87], v178 offset:5680
	s_waitcnt lgkmcnt(0)
	v_wmma_f32_16x16x16_f16 v[204:211], v[80:87], v[0:7], v[204:211]
	ds_load_b128 v[80:83], v178 offset:64
	ds_load_b128 v[84:87], v178 offset:80
	;; [unrolled: 4-line block ×7, first 2 shown]
	s_waitcnt lgkmcnt(0)
	s_barrier
	buffer_gl0_inv
	v_wmma_f32_16x16x16_f16 v[204:211], v[80:87], v[32:39], v[204:211]
	ds_load_u16 v80, v163 offset:11264
	ds_load_u16 v81, v163 offset:11268
	ds_load_u16 v82, v163 offset:11272
	ds_load_u16 v83, v163 offset:11276
	ds_load_u16 v84, v163 offset:11280
	ds_load_u16 v85, v163 offset:11284
	ds_load_u16 v86, v163 offset:11288
	ds_load_u16 v87, v163 offset:11292
	ds_load_u16 v122, v164 offset:64
	ds_load_u16 v123, v164 offset:68
	ds_load_u16 v124, v164 offset:72
	ds_load_u16 v125, v164 offset:76
	ds_load_u16 v126, v164 offset:80
	ds_load_u16 v127, v164 offset:84
	ds_load_u16 v128, v164 offset:88
	ds_load_u16 v129, v164 offset:92
	s_waitcnt lgkmcnt(15)
	v_cvt_f32_f16_e32 v80, v80
	s_waitcnt lgkmcnt(7)
	v_cvt_f32_f16_e32 v122, v122
	;; [unrolled: 2-line block ×6, first 2 shown]
	v_dual_add_f32 v185, v204, v122 :: v_dual_add_f32 v186, v205, v123
	v_lshlrev_b64 v[122:123], 2, v[107:108]
	v_dual_add_f32 v184, v206, v124 :: v_dual_add_f32 v183, v207, v125
	s_waitcnt lgkmcnt(2)
	v_cvt_f32_f16_e32 v127, v127
	v_add_f32_e32 v182, v208, v126
	s_waitcnt lgkmcnt(1)
	v_cvt_f32_f16_e64 v128, v128
	v_add_co_u32 v124, vcc_lo, s0, v122
	v_add_f32_e32 v181, v209, v127
	v_add_co_ci_u32_e32 v125, vcc_lo, s1, v123, vcc_lo
	v_lshlrev_b64 v[122:123], 2, v[101:102]
	s_waitcnt lgkmcnt(0)
	v_cvt_f32_f16_e64 v129, v129
	v_add_f32_e32 v180, v210, v128
	v_cvt_f32_f16_e32 v81, v81
	v_cvt_f32_f16_e32 v82, v82
	;; [unrolled: 1-line block ×3, first 2 shown]
	v_add_f32_e32 v145, v211, v129
	v_add_co_u32 v126, vcc_lo, s0, v122
	v_add_co_ci_u32_e32 v127, vcc_lo, s1, v123, vcc_lo
	v_add_co_u32 v122, vcc_lo, v124, v176
	v_add_co_ci_u32_e32 v123, vcc_lo, 0, v125, vcc_lo
	s_delay_alu instid0(VALU_DEP_4) | instskip(NEXT) | instid1(VALU_DEP_4)
	v_add_co_u32 v126, vcc_lo, v126, v177
	v_add_co_ci_u32_e32 v127, vcc_lo, 0, v127, vcc_lo
	s_clause 0x1
	global_load_b128 v[122:125], v[122:123], off offset:128
	global_load_b128 v[126:129], v[126:127], off
	v_dual_add_f32 v80, v196, v80 :: v_dual_add_f32 v81, v197, v81
	v_cvt_f32_f16_e32 v84, v84
	v_cvt_f32_f16_e32 v85, v85
	v_dual_add_f32 v82, v198, v82 :: v_dual_add_f32 v83, v199, v83
	v_cvt_f32_f16_e32 v86, v86
	v_cvt_f32_f16_e32 v87, v87
	s_delay_alu instid0(VALU_DEP_4) | instskip(NEXT) | instid1(VALU_DEP_2)
	v_dual_add_f32 v84, v200, v84 :: v_dual_add_f32 v85, v201, v85
	v_dual_add_f32 v86, v202, v86 :: v_dual_add_f32 v87, v203, v87
	s_waitcnt vmcnt(1)
	ds_store_b128 v120, v[122:125]
	v_lshlrev_b64 v[122:123], 2, v[103:104]
	s_delay_alu instid0(VALU_DEP_1) | instskip(NEXT) | instid1(VALU_DEP_2)
	v_add_co_u32 v124, vcc_lo, s0, v122
	v_add_co_ci_u32_e32 v125, vcc_lo, s1, v123, vcc_lo
	v_lshlrev_b64 v[122:123], 2, v[105:106]
	s_delay_alu instid0(VALU_DEP_1) | instskip(NEXT) | instid1(VALU_DEP_2)
	v_add_co_u32 v132, vcc_lo, s0, v122
	v_add_co_ci_u32_e32 v133, vcc_lo, s1, v123, vcc_lo
	v_add_co_u32 v122, vcc_lo, v124, v177
	v_add_co_ci_u32_e32 v123, vcc_lo, 0, v125, vcc_lo
	s_delay_alu instid0(VALU_DEP_4) | instskip(NEXT) | instid1(VALU_DEP_4)
	v_add_co_u32 v132, vcc_lo, v132, v177
	v_add_co_ci_u32_e32 v133, vcc_lo, 0, v133, vcc_lo
	s_clause 0x1
	global_load_b128 v[122:125], v[122:123], off
	global_load_b128 v[132:135], v[132:133], off
	s_waitcnt vmcnt(2)
	ds_store_b128 v146, v[126:129]
	s_waitcnt vmcnt(1)
	ds_store_b128 v160, v[122:125]
	v_lshlrev_b64 v[122:123], 2, v[109:110]
	s_delay_alu instid0(VALU_DEP_1) | instskip(NEXT) | instid1(VALU_DEP_2)
	v_add_co_u32 v122, vcc_lo, s0, v122
	v_add_co_ci_u32_e32 v123, vcc_lo, s1, v123, vcc_lo
	v_cmp_eq_u32_e64 s1, 1, v130
	s_delay_alu instid0(VALU_DEP_3) | instskip(NEXT) | instid1(VALU_DEP_3)
	v_add_co_u32 v122, vcc_lo, v122, v177
	v_add_co_ci_u32_e32 v123, vcc_lo, 0, v123, vcc_lo
	global_load_b128 v[122:125], v[122:123], off
	s_waitcnt vmcnt(1)
	ds_store_b128 v161, v[132:135]
	s_waitcnt vmcnt(0)
	ds_store_b128 v162, v[122:125]
	v_dual_mov_b32 v122, v152 :: v_dual_add_f32 v123, 0x40051340, v80
	v_dual_add_f32 v124, 0x40051340, v81 :: v_dual_add_f32 v125, 0x40051340, v83
	s_waitcnt lgkmcnt(0)
	s_barrier
	buffer_gl0_inv
	v_max3_f32 v123, v122, v123, v124
	v_add_f32_e32 v124, 0x40051340, v82
	s_delay_alu instid0(VALU_DEP_1) | instskip(SKIP_1) | instid1(VALU_DEP_1)
	v_max3_f32 v123, v123, v124, v125
	v_dual_add_f32 v125, 0x40051340, v85 :: v_dual_add_f32 v124, 0x40051340, v84
	v_max3_f32 v123, v123, v124, v125
	v_dual_add_f32 v125, 0x40051340, v87 :: v_dual_add_f32 v124, 0x40051340, v86
	s_delay_alu instid0(VALU_DEP_1) | instskip(SKIP_1) | instid1(VALU_DEP_1)
	v_max3_f32 v123, v123, v124, v125
	v_dual_add_f32 v124, 0x40051340, v185 :: v_dual_add_f32 v125, 0x40051340, v186
	v_max3_f32 v123, v123, v124, v125
	v_dual_add_f32 v124, 0x40051340, v184 :: v_dual_add_f32 v125, 0x40051340, v183
	;; [unrolled: 5-line block ×3, first 2 shown]
	s_delay_alu instid0(VALU_DEP_1) | instskip(SKIP_3) | instid1(VALU_DEP_1)
	v_max3_f32 v123, v123, v124, v125
	ds_bpermute_b32 v124, v165, v123
	s_waitcnt lgkmcnt(0)
	v_max_f32_e32 v124, v124, v124
	v_max_f32_e32 v152, v123, v124
	s_delay_alu instid0(VALU_DEP_1) | instskip(NEXT) | instid1(VALU_DEP_1)
	v_sub_f32_e32 v81, v81, v152
	v_mul_f32_e32 v123, 0x3fb8aa3b, v81
	v_cmp_ngt_f32_e32 vcc_lo, 0xc2ce8ed0, v81
	s_delay_alu instid0(VALU_DEP_2) | instskip(SKIP_1) | instid1(VALU_DEP_2)
	v_fma_f32 v124, 0x3fb8aa3b, v81, -v123
	v_rndne_f32_e32 v125, v123
	v_fmac_f32_e32 v124, 0x32a5705f, v81
	s_delay_alu instid0(VALU_DEP_2) | instskip(SKIP_1) | instid1(VALU_DEP_2)
	v_sub_f32_e32 v123, v123, v125
	v_cvt_i32_f32_e32 v125, v125
	v_add_f32_e32 v123, v123, v124
	s_delay_alu instid0(VALU_DEP_1) | instskip(SKIP_2) | instid1(VALU_DEP_1)
	v_exp_f32_e32 v123, v123
	s_waitcnt_depctr 0xfff
	v_ldexp_f32 v123, v123, v125
	v_dual_cndmask_b32 v123, 0, v123 :: v_dual_sub_f32 v80, v80, v152
	v_sub_f32_e32 v122, v122, v152
	v_sub_f32_e32 v82, v82, v152
	;; [unrolled: 1-line block ×4, first 2 shown]
	v_mul_f32_e32 v124, 0x3fb8aa3b, v80
	v_cmp_ngt_f32_e64 s0, 0xc2ce8ed0, v80
	v_cmp_ngt_f32_e64 s3, 0xc2ce8ed0, v82
	v_sub_f32_e32 v86, v86, v152
	v_sub_f32_e32 v85, v85, v152
	v_fma_f32 v126, 0x3fb8aa3b, v80, -v124
	v_rndne_f32_e32 v127, v124
	v_sub_f32_e32 v87, v87, v152
	s_delay_alu instid0(VALU_DEP_3) | instskip(NEXT) | instid1(VALU_DEP_3)
	v_fmac_f32_e32 v126, 0x32a5705f, v80
	v_sub_f32_e32 v124, v124, v127
	v_cvt_i32_f32_e32 v125, v127
	v_cmp_nlt_f32_e32 vcc_lo, 0x42b17218, v81
	s_delay_alu instid0(VALU_DEP_3) | instskip(SKIP_2) | instid1(VALU_DEP_3)
	v_add_f32_e32 v124, v124, v126
	v_cndmask_b32_e32 v188, 0x7f800000, v123, vcc_lo
	v_cmp_eq_u32_e32 vcc_lo, 1, v100
	v_exp_f32_e32 v124, v124
	ds_bpermute_b32 v123, v165, v188
	v_ldexp_f32 v124, v124, v125
	s_delay_alu instid0(VALU_DEP_1) | instskip(SKIP_1) | instid1(VALU_DEP_1)
	v_cndmask_b32_e64 v81, 0, v124, s0
	v_cmp_nlt_f32_e64 s0, 0x42b17218, v80
	v_cndmask_b32_e64 v187, 0x7f800000, v81, s0
	v_cmp_eq_u32_e64 s0, 0, v100
	ds_bpermute_b32 v80, v165, v187
	s_waitcnt lgkmcnt(0)
	v_cndmask_b32_e32 v81, v187, v80, vcc_lo
	v_cndmask_b32_e64 v80, v187, v80, s0
	s_delay_alu instid0(VALU_DEP_2) | instskip(NEXT) | instid1(VALU_DEP_2)
	v_cndmask_b32_e64 v125, v81, v188, s1
	v_cndmask_b32_e64 v124, v80, v188, s2
	v_cvt_f16_f32_e32 v80, v80
	v_cvt_f16_f32_e32 v81, v81
	s_delay_alu instid0(VALU_DEP_3) | instskip(SKIP_1) | instid1(VALU_DEP_3)
	v_cndmask_b32_e64 v124, v124, v123, s0
	v_cndmask_b32_e32 v123, v125, v123, vcc_lo
	v_pack_b32_f16 v80, v80, v81
	s_delay_alu instid0(VALU_DEP_3) | instskip(NEXT) | instid1(VALU_DEP_3)
	v_cvt_f16_f32_e32 v125, v124
	v_cvt_f16_f32_e32 v126, v123
	s_delay_alu instid0(VALU_DEP_1) | instskip(SKIP_1) | instid1(VALU_DEP_1)
	v_pack_b32_f16 v81, v125, v126
	v_mul_f32_e32 v125, 0x3fb8aa3b, v82
	v_fma_f32 v126, 0x3fb8aa3b, v82, -v125
	v_rndne_f32_e32 v127, v125
	s_delay_alu instid0(VALU_DEP_1) | instskip(NEXT) | instid1(VALU_DEP_1)
	v_dual_fmac_f32 v126, 0x32a5705f, v82 :: v_dual_sub_f32 v125, v125, v127
	v_add_f32_e32 v125, v125, v126
	v_cvt_i32_f32_e32 v126, v127
	s_delay_alu instid0(VALU_DEP_2) | instskip(SKIP_2) | instid1(VALU_DEP_1)
	v_exp_f32_e32 v125, v125
	s_waitcnt_depctr 0xfff
	v_ldexp_f32 v125, v125, v126
	v_cndmask_b32_e64 v125, 0, v125, s3
	v_cmp_nlt_f32_e64 s3, 0x42b17218, v82
	s_delay_alu instid0(VALU_DEP_1) | instskip(NEXT) | instid1(VALU_DEP_1)
	v_cndmask_b32_e64 v189, 0x7f800000, v125, s3
	v_cndmask_b32_e64 v82, v124, v189, s2
	ds_bpermute_b32 v124, v165, v189
	v_cndmask_b32_e64 v123, v123, v189, s1
	s_waitcnt lgkmcnt(0)
	s_delay_alu instid0(VALU_DEP_1) | instskip(SKIP_1) | instid1(VALU_DEP_2)
	v_cndmask_b32_e32 v123, v123, v124, vcc_lo
	v_cndmask_b32_e64 v125, v82, v124, s0
	v_cvt_f16_f32_e32 v124, v123
	s_delay_alu instid0(VALU_DEP_2) | instskip(NEXT) | instid1(VALU_DEP_1)
	v_cvt_f16_f32_e32 v82, v125
	v_pack_b32_f16 v82, v82, v124
	v_mul_f32_e32 v124, 0x3fb8aa3b, v83
	s_delay_alu instid0(VALU_DEP_1) | instskip(SKIP_1) | instid1(VALU_DEP_1)
	v_fma_f32 v126, 0x3fb8aa3b, v83, -v124
	v_rndne_f32_e32 v127, v124
	v_sub_f32_e32 v124, v124, v127
	s_delay_alu instid0(VALU_DEP_3) | instskip(SKIP_1) | instid1(VALU_DEP_2)
	v_fmac_f32_e32 v126, 0x32a5705f, v83
	v_cmp_ngt_f32_e64 s3, 0xc2ce8ed0, v83
	v_add_f32_e32 v124, v124, v126
	v_cvt_i32_f32_e32 v126, v127
	s_delay_alu instid0(VALU_DEP_2) | instskip(SKIP_2) | instid1(VALU_DEP_1)
	v_exp_f32_e32 v124, v124
	s_waitcnt_depctr 0xfff
	v_ldexp_f32 v124, v124, v126
	v_cndmask_b32_e64 v124, 0, v124, s3
	v_cmp_nlt_f32_e64 s3, 0x42b17218, v83
	s_delay_alu instid0(VALU_DEP_1)
	v_cndmask_b32_e64 v190, 0x7f800000, v124, s3
	v_cmp_ngt_f32_e64 s3, 0xc2ce8ed0, v84
	ds_bpermute_b32 v124, v165, v190
	v_cndmask_b32_e64 v83, v125, v190, s2
	v_cndmask_b32_e64 v123, v123, v190, s1
	s_waitcnt lgkmcnt(0)
	s_delay_alu instid0(VALU_DEP_2) | instskip(NEXT) | instid1(VALU_DEP_2)
	v_cndmask_b32_e64 v125, v83, v124, s0
	v_cndmask_b32_e32 v123, v123, v124, vcc_lo
	s_delay_alu instid0(VALU_DEP_2) | instskip(NEXT) | instid1(VALU_DEP_2)
	v_cvt_f16_f32_e32 v83, v125
	v_cvt_f16_f32_e32 v124, v123
	s_delay_alu instid0(VALU_DEP_1) | instskip(SKIP_1) | instid1(VALU_DEP_1)
	v_pack_b32_f16 v83, v83, v124
	v_mul_f32_e32 v124, 0x3fb8aa3b, v84
	v_fma_f32 v126, 0x3fb8aa3b, v84, -v124
	v_rndne_f32_e32 v127, v124
	s_delay_alu instid0(VALU_DEP_2) | instskip(NEXT) | instid1(VALU_DEP_2)
	v_fmac_f32_e32 v126, 0x32a5705f, v84
	v_sub_f32_e32 v124, v124, v127
	s_delay_alu instid0(VALU_DEP_1) | instskip(SKIP_1) | instid1(VALU_DEP_2)
	v_add_f32_e32 v124, v124, v126
	v_cvt_i32_f32_e32 v126, v127
	v_exp_f32_e32 v124, v124
	s_waitcnt_depctr 0xfff
	v_ldexp_f32 v124, v124, v126
	s_delay_alu instid0(VALU_DEP_1) | instskip(SKIP_1) | instid1(VALU_DEP_1)
	v_cndmask_b32_e64 v124, 0, v124, s3
	v_cmp_nlt_f32_e64 s3, 0x42b17218, v84
	v_cndmask_b32_e64 v191, 0x7f800000, v124, s3
	v_cmp_ngt_f32_e64 s3, 0xc2ce8ed0, v85
	ds_bpermute_b32 v124, v165, v191
	v_cndmask_b32_e64 v84, v125, v191, s2
	v_cndmask_b32_e64 v123, v123, v191, s1
	s_waitcnt lgkmcnt(0)
	s_delay_alu instid0(VALU_DEP_2) | instskip(NEXT) | instid1(VALU_DEP_2)
	v_cndmask_b32_e64 v125, v84, v124, s0
	v_cndmask_b32_e32 v123, v123, v124, vcc_lo
	s_delay_alu instid0(VALU_DEP_2) | instskip(NEXT) | instid1(VALU_DEP_2)
	v_cvt_f16_f32_e32 v84, v125
	v_cvt_f16_f32_e32 v124, v123
	s_delay_alu instid0(VALU_DEP_1) | instskip(SKIP_1) | instid1(VALU_DEP_1)
	v_pack_b32_f16 v84, v84, v124
	v_mul_f32_e32 v124, 0x3fb8aa3b, v85
	v_fma_f32 v126, 0x3fb8aa3b, v85, -v124
	v_rndne_f32_e32 v127, v124
	s_delay_alu instid0(VALU_DEP_2) | instskip(NEXT) | instid1(VALU_DEP_2)
	v_fmac_f32_e32 v126, 0x32a5705f, v85
	v_sub_f32_e32 v124, v124, v127
	s_delay_alu instid0(VALU_DEP_1) | instskip(SKIP_1) | instid1(VALU_DEP_2)
	v_add_f32_e32 v124, v124, v126
	v_cvt_i32_f32_e32 v126, v127
	v_exp_f32_e32 v124, v124
	s_waitcnt_depctr 0xfff
	v_ldexp_f32 v124, v124, v126
	s_delay_alu instid0(VALU_DEP_1) | instskip(SKIP_1) | instid1(VALU_DEP_1)
	v_cndmask_b32_e64 v124, 0, v124, s3
	v_cmp_nlt_f32_e64 s3, 0x42b17218, v85
	;; [unrolled: 29-line block ×4, first 2 shown]
	v_cndmask_b32_e64 v194, 0x7f800000, v124, s3
	v_cmp_ngt_f32_e64 s3, 0xc2ce8ed0, v122
	ds_bpermute_b32 v124, v165, v194
	v_cndmask_b32_e64 v87, v125, v194, s2
	v_cndmask_b32_e64 v123, v123, v194, s1
	s_waitcnt lgkmcnt(0)
	s_delay_alu instid0(VALU_DEP_2) | instskip(NEXT) | instid1(VALU_DEP_2)
	v_cndmask_b32_e64 v87, v87, v124, s0
	v_cndmask_b32_e32 v123, v123, v124, vcc_lo
	s_delay_alu instid0(VALU_DEP_2) | instskip(NEXT) | instid1(VALU_DEP_2)
	v_cvt_f16_f32_e32 v87, v87
	v_cvt_f16_f32_e32 v123, v123
	s_delay_alu instid0(VALU_DEP_1) | instskip(SKIP_1) | instid1(VALU_DEP_1)
	v_pack_b32_f16 v87, v87, v123
	v_mul_f32_e32 v123, 0x3fb8aa3b, v122
	v_fma_f32 v124, 0x3fb8aa3b, v122, -v123
	v_rndne_f32_e32 v125, v123
	s_delay_alu instid0(VALU_DEP_1) | instskip(NEXT) | instid1(VALU_DEP_1)
	v_dual_fmac_f32 v124, 0x32a5705f, v122 :: v_dual_sub_f32 v123, v123, v125
	v_add_f32_e32 v123, v123, v124
	v_cvt_i32_f32_e32 v124, v125
	s_delay_alu instid0(VALU_DEP_2) | instskip(SKIP_2) | instid1(VALU_DEP_1)
	v_exp_f32_e32 v123, v123
	s_waitcnt_depctr 0xfff
	v_ldexp_f32 v123, v123, v124
	v_cndmask_b32_e64 v123, 0, v123, s3
	v_cmp_nlt_f32_e64 s3, 0x42b17218, v122
	s_delay_alu instid0(VALU_DEP_1) | instskip(SKIP_1) | instid1(VALU_DEP_1)
	v_cndmask_b32_e64 v123, 0x7f800000, v123, s3
	v_cmp_le_f32_e64 s3, 0xc1a00000, v122
	v_cndmask_b32_e64 v195, 0, v123, s3
	ds_load_u16 v202, v166 offset:2112
	ds_load_u16 v203, v166 offset:2464
	;; [unrolled: 1-line block ×17, first 2 shown]
	ds_load_u16 v196, v166
	ds_load_u16 v204, v166 offset:32
	ds_load_u16 v212, v166 offset:64
	ds_load_u16 v220, v166 offset:96
	ds_load_u16 v229, v174 offset:352
	ds_load_u16 v235, v174 offset:2464
	ds_load_u16 v233, v174 offset:1760
	ds_load_u16 v231, v174 offset:1056
	ds_load_u16 v237, v167 offset:352
	ds_load_u16 v242, v167 offset:2112
	ds_load_u16 v206, v168 offset:704
	ds_load_u16 v243, v167 offset:2464
	ds_load_u16 v241, v167 offset:1760
	ds_load_u16 v240, v167 offset:1408
	ds_load_u16 v239, v167 offset:1056
	ds_load_u16 v238, v167 offset:704
	ds_load_u16 v209, v168 offset:1760
	ds_load_u16 v210, v168 offset:2112
	ds_load_u16 v211, v168 offset:2464
	ds_load_u16 v245, v169 offset:352
	ds_load_u16 v244, v168 offset:5632
	ds_load_u16 v214, v170 offset:704
	ds_load_u16 v251, v169 offset:2464
	ds_load_u16 v250, v169 offset:2112
	ds_load_u16 v249, v169 offset:1760
	ds_load_u16 v248, v169 offset:1408
	ds_load_u16 v247, v169 offset:1056
	ds_load_u16 v246, v169 offset:704
	ds_load_u16 v123, v171 offset:352
	ds_load_u16 v125, v171 offset:1056
	ds_load_u16 v218, v170 offset:2112
	ds_load_u16 v219, v170 offset:2464
	ds_load_u16 v122, v170 offset:5632
	ds_load_u16 v222, v172 offset:704
	ds_load_u16 v129, v171 offset:2464
	ds_load_u16 v128, v171 offset:2112
	ds_load_u16 v127, v171 offset:1760
	ds_load_u16 v126, v171 offset:1408
	ds_load_u16 v133, v173 offset:352
	ds_load_u16 v135, v173 offset:1056
	ds_load_u16 v137, v173 offset:1760
	ds_load_u16 v227, v172 offset:2464
	ds_load_u16 v132, v172 offset:5632
	ds_load_u16 v136, v173 offset:1408
	ds_load_u16 v234, v174 offset:2112
	ds_load_u16 v232, v174 offset:1408
	ds_load_u16 v230, v174 offset:704
	ds_load_u16 v139, v173 offset:2464
	ds_load_u16 v138, v173 offset:2112
	ds_load_u16 v198, v166 offset:704
	s_waitcnt lgkmcnt(39)
	ds_load_u16_d16_hi v206, v166 offset:912
	s_waitcnt lgkmcnt(31)
	ds_load_u16_d16_hi v245, v168 offset:6160
	;; [unrolled: 2-line block ×3, first 2 shown]
	ds_load_u16_d16_hi v249, v168 offset:7568
	ds_load_u16_d16_hi v251, v168 offset:8272
	;; [unrolled: 1-line block ×6, first 2 shown]
	s_waitcnt lgkmcnt(30)
	ds_load_u16_d16_hi v123, v170 offset:6160
	s_waitcnt lgkmcnt(30)
	ds_load_u16_d16_hi v125, v170 offset:6864
	;; [unrolled: 2-line block ×3, first 2 shown]
	ds_load_u16_d16_hi v129, v170 offset:8272
	ds_load_u16_d16_hi v218, v166 offset:2352
	;; [unrolled: 1-line block ×5, first 2 shown]
	s_waitcnt lgkmcnt(21)
	ds_load_u16_d16_hi v232, v166 offset:1712
	ds_load_u16_d16_hi v201, v166 offset:1936
	;; [unrolled: 1-line block ×5, first 2 shown]
	s_waitcnt lgkmcnt(22)
	ds_load_u16_d16_hi v198, v166 offset:880
	ds_load_u16_d16_hi v214, v166 offset:944
	;; [unrolled: 1-line block ×19, first 2 shown]
	ds_load_u16 v236, v166 offset:5632
	ds_load_u16_d16_hi v237, v166 offset:6160
	ds_load_u16_d16_hi v239, v166 offset:6864
	;; [unrolled: 1-line block ×9, first 2 shown]
	ds_load_u16 v228, v166 offset:128
	ds_load_u16_d16_hi v197, v166 offset:528
	ds_load_u16_d16_hi v196, v166 offset:176
	ds_load_u16_d16_hi v204, v166 offset:208
	ds_load_u16_d16_hi v212, v166 offset:240
	ds_load_u16_d16_hi v220, v166 offset:272
	ds_load_u16_d16_hi v213, v166 offset:592
	ds_load_u16_d16_hi v229, v166 offset:656
	v_mul_f32_e32 v72, v72, v195
	ds_load_u16 v224, v172 offset:1408
	v_mul_f32_e32 v73, v73, v195
	v_mul_f32_e32 v74, v74, v195
	;; [unrolled: 1-line block ×10, first 2 shown]
	s_waitcnt lgkmcnt(8)
	ds_load_u16_d16_hi v228, v166 offset:304
	v_mul_f32_e32 v67, v67, v195
	v_mul_f32_e32 v68, v68, v195
	;; [unrolled: 1-line block ×8, first 2 shown]
	s_waitcnt lgkmcnt(1)
	ds_load_u16_d16_hi v224, v166 offset:1680
	v_mul_f32_e32 v59, v59, v195
	v_mul_f32_e32 v60, v60, v195
	;; [unrolled: 1-line block ×21, first 2 shown]
	v_wmma_f32_16x16x16_f16 v[72:79], v[196:203], v[80:87], v[72:79]
	v_wmma_f32_16x16x16_f16 v[64:71], v[204:211], v[80:87], v[64:71]
	;; [unrolled: 1-line block ×3, first 2 shown]
	s_waitcnt lgkmcnt(0)
	v_wmma_f32_16x16x16_f16 v[48:55], v[220:227], v[80:87], v[48:55]
	v_wmma_f32_16x16x16_f16 v[40:47], v[228:235], v[80:87], v[40:47]
	v_sub_f32_e32 v80, v186, v152
	ds_load_u16_d16_hi v236, v166 offset:5808
	ds_load_u16_d16_hi v238, v166 offset:6512
	;; [unrolled: 1-line block ×7, first 2 shown]
	v_mul_f32_e32 v81, 0x3fb8aa3b, v80
	v_cmp_ngt_f32_e64 s3, 0xc2ce8ed0, v80
	s_delay_alu instid0(VALU_DEP_2) | instskip(SKIP_1) | instid1(VALU_DEP_1)
	v_fma_f32 v82, 0x3fb8aa3b, v80, -v81
	v_rndne_f32_e32 v83, v81
	v_dual_fmac_f32 v82, 0x32a5705f, v80 :: v_dual_sub_f32 v81, v81, v83
	v_cvt_i32_f32_e32 v83, v83
	s_delay_alu instid0(VALU_DEP_2) | instskip(SKIP_1) | instid1(VALU_DEP_2)
	v_add_f32_e32 v81, v81, v82
	v_sub_f32_e32 v82, v185, v152
	v_exp_f32_e32 v81, v81
	s_delay_alu instid0(VALU_DEP_1) | instskip(SKIP_1) | instid1(VALU_DEP_2)
	v_mul_f32_e32 v84, 0x3fb8aa3b, v82
	v_cmp_ngt_f32_e64 s4, 0xc2ce8ed0, v82
	v_fma_f32 v85, 0x3fb8aa3b, v82, -v84
	v_rndne_f32_e32 v86, v84
	s_waitcnt_depctr 0xfff
	v_ldexp_f32 v81, v81, v83
	v_fmac_f32_e32 v85, 0x32a5705f, v82
	v_sub_f32_e32 v84, v84, v86
	v_cvt_i32_f32_e32 v83, v86
	s_delay_alu instid0(VALU_DEP_4) | instskip(SKIP_1) | instid1(VALU_DEP_4)
	v_cndmask_b32_e64 v81, 0, v81, s3
	v_cmp_nlt_f32_e64 s3, 0x42b17218, v80
	v_add_f32_e32 v84, v84, v85
	s_delay_alu instid0(VALU_DEP_2) | instskip(NEXT) | instid1(VALU_DEP_2)
	v_cndmask_b32_e64 v186, 0x7f800000, v81, s3
	v_exp_f32_e32 v84, v84
	s_waitcnt_depctr 0xfff
	v_ldexp_f32 v83, v84, v83
	s_delay_alu instid0(VALU_DEP_1)
	v_cndmask_b32_e64 v80, 0, v83, s4
	v_cmp_nlt_f32_e64 s4, 0x42b17218, v82
	ds_bpermute_b32 v82, v165, v186
	v_cndmask_b32_e64 v185, 0x7f800000, v80, s4
	ds_bpermute_b32 v80, v165, v185
	s_waitcnt lgkmcnt(0)
	v_cndmask_b32_e32 v81, v185, v80, vcc_lo
	v_cndmask_b32_e64 v80, v185, v80, s0
	s_delay_alu instid0(VALU_DEP_2) | instskip(NEXT) | instid1(VALU_DEP_2)
	v_cndmask_b32_e64 v84, v81, v186, s1
	v_cndmask_b32_e64 v83, v80, v186, s2
	v_cvt_f16_f32_e32 v80, v80
	v_cvt_f16_f32_e32 v81, v81
	s_delay_alu instid0(VALU_DEP_3) | instskip(SKIP_1) | instid1(VALU_DEP_3)
	v_cndmask_b32_e64 v83, v83, v82, s0
	v_cndmask_b32_e32 v82, v84, v82, vcc_lo
	v_pack_b32_f16 v80, v80, v81
	s_delay_alu instid0(VALU_DEP_3) | instskip(NEXT) | instid1(VALU_DEP_3)
	v_cvt_f16_f32_e32 v84, v83
	v_cvt_f16_f32_e32 v85, v82
	s_delay_alu instid0(VALU_DEP_1) | instskip(SKIP_1) | instid1(VALU_DEP_1)
	v_pack_b32_f16 v81, v84, v85
	v_sub_f32_e32 v84, v184, v152
	v_mul_f32_e32 v85, 0x3fb8aa3b, v84
	v_cmp_ngt_f32_e64 s3, 0xc2ce8ed0, v84
	s_delay_alu instid0(VALU_DEP_2) | instskip(SKIP_1) | instid1(VALU_DEP_1)
	v_fma_f32 v86, 0x3fb8aa3b, v84, -v85
	v_rndne_f32_e32 v87, v85
	v_dual_fmac_f32 v86, 0x32a5705f, v84 :: v_dual_sub_f32 v85, v85, v87
	s_delay_alu instid0(VALU_DEP_1) | instskip(SKIP_1) | instid1(VALU_DEP_2)
	v_add_f32_e32 v85, v85, v86
	v_cvt_i32_f32_e32 v86, v87
	v_exp_f32_e32 v85, v85
	s_waitcnt_depctr 0xfff
	v_ldexp_f32 v85, v85, v86
	s_delay_alu instid0(VALU_DEP_1) | instskip(SKIP_1) | instid1(VALU_DEP_1)
	v_cndmask_b32_e64 v85, 0, v85, s3
	v_cmp_nlt_f32_e64 s3, 0x42b17218, v84
	v_cndmask_b32_e64 v184, 0x7f800000, v85, s3
	ds_bpermute_b32 v84, v165, v184
	v_cndmask_b32_e64 v83, v83, v184, s2
	v_cndmask_b32_e64 v82, v82, v184, s1
	s_waitcnt lgkmcnt(0)
	s_delay_alu instid0(VALU_DEP_2) | instskip(NEXT) | instid1(VALU_DEP_2)
	v_cndmask_b32_e64 v83, v83, v84, s0
	v_cndmask_b32_e32 v84, v82, v84, vcc_lo
	s_delay_alu instid0(VALU_DEP_2) | instskip(NEXT) | instid1(VALU_DEP_2)
	v_cvt_f16_f32_e32 v82, v83
	v_cvt_f16_f32_e32 v85, v84
	s_delay_alu instid0(VALU_DEP_1) | instskip(SKIP_1) | instid1(VALU_DEP_1)
	v_pack_b32_f16 v82, v82, v85
	v_sub_f32_e32 v85, v183, v152
	v_mul_f32_e32 v86, 0x3fb8aa3b, v85
	v_cmp_ngt_f32_e64 s3, 0xc2ce8ed0, v85
	s_delay_alu instid0(VALU_DEP_2) | instskip(SKIP_1) | instid1(VALU_DEP_1)
	v_fma_f32 v87, 0x3fb8aa3b, v85, -v86
	v_rndne_f32_e32 v124, v86
	v_dual_fmac_f32 v87, 0x32a5705f, v85 :: v_dual_sub_f32 v86, v86, v124
	s_delay_alu instid0(VALU_DEP_1) | instskip(SKIP_1) | instid1(VALU_DEP_2)
	v_add_f32_e32 v86, v86, v87
	v_cvt_i32_f32_e32 v87, v124
	v_exp_f32_e32 v86, v86
	s_waitcnt_depctr 0xfff
	v_ldexp_f32 v86, v86, v87
	s_delay_alu instid0(VALU_DEP_1) | instskip(SKIP_1) | instid1(VALU_DEP_1)
	v_cndmask_b32_e64 v86, 0, v86, s3
	v_cmp_nlt_f32_e64 s3, 0x42b17218, v85
	v_cndmask_b32_e64 v183, 0x7f800000, v86, s3
	ds_bpermute_b32 v85, v165, v183
	v_cndmask_b32_e64 v83, v83, v183, s2
	v_cndmask_b32_e64 v84, v84, v183, s1
	s_waitcnt lgkmcnt(0)
	s_delay_alu instid0(VALU_DEP_2) | instskip(NEXT) | instid1(VALU_DEP_2)
	v_cndmask_b32_e64 v86, v83, v85, s0
	v_cndmask_b32_e32 v84, v84, v85, vcc_lo
	s_delay_alu instid0(VALU_DEP_2) | instskip(NEXT) | instid1(VALU_DEP_2)
	v_cvt_f16_f32_e32 v83, v86
	v_cvt_f16_f32_e32 v85, v84
	s_delay_alu instid0(VALU_DEP_1) | instskip(SKIP_1) | instid1(VALU_DEP_1)
	v_pack_b32_f16 v83, v83, v85
	v_sub_f32_e32 v85, v182, v152
	v_mul_f32_e32 v87, 0x3fb8aa3b, v85
	v_cmp_ngt_f32_e64 s3, 0xc2ce8ed0, v85
	s_delay_alu instid0(VALU_DEP_2) | instskip(SKIP_1) | instid1(VALU_DEP_1)
	v_fma_f32 v124, 0x3fb8aa3b, v85, -v87
	v_rndne_f32_e32 v134, v87
	v_dual_fmac_f32 v124, 0x32a5705f, v85 :: v_dual_sub_f32 v87, v87, v134
	s_delay_alu instid0(VALU_DEP_1) | instskip(SKIP_1) | instid1(VALU_DEP_2)
	v_add_f32_e32 v87, v87, v124
	v_cvt_i32_f32_e32 v124, v134
	v_exp_f32_e32 v87, v87
	s_waitcnt_depctr 0xfff
	v_ldexp_f32 v87, v87, v124
	s_delay_alu instid0(VALU_DEP_1) | instskip(SKIP_1) | instid1(VALU_DEP_1)
	v_cndmask_b32_e64 v87, 0, v87, s3
	v_cmp_nlt_f32_e64 s3, 0x42b17218, v85
	v_cndmask_b32_e64 v182, 0x7f800000, v87, s3
	s_delay_alu instid0(VALU_DEP_1) | instskip(SKIP_4) | instid1(VALU_DEP_2)
	v_cndmask_b32_e64 v85, v86, v182, s2
	ds_bpermute_b32 v86, v165, v182
	v_cndmask_b32_e64 v84, v84, v182, s1
	s_waitcnt lgkmcnt(0)
	v_cndmask_b32_e64 v85, v85, v86, s0
	v_cndmask_b32_e32 v86, v84, v86, vcc_lo
	s_delay_alu instid0(VALU_DEP_2) | instskip(NEXT) | instid1(VALU_DEP_2)
	v_cvt_f16_f32_e32 v84, v85
	v_cvt_f16_f32_e32 v87, v86
	s_delay_alu instid0(VALU_DEP_1) | instskip(SKIP_1) | instid1(VALU_DEP_1)
	v_pack_b32_f16 v84, v84, v87
	v_sub_f32_e32 v87, v181, v152
	v_mul_f32_e32 v124, 0x3fb8aa3b, v87
	v_cmp_ngt_f32_e64 s3, 0xc2ce8ed0, v87
	s_delay_alu instid0(VALU_DEP_2) | instskip(SKIP_1) | instid1(VALU_DEP_2)
	v_fma_f32 v134, 0x3fb8aa3b, v87, -v124
	v_rndne_f32_e32 v181, v124
	v_fmac_f32_e32 v134, 0x32a5705f, v87
	s_delay_alu instid0(VALU_DEP_2) | instskip(NEXT) | instid1(VALU_DEP_1)
	v_sub_f32_e32 v124, v124, v181
	v_add_f32_e32 v124, v124, v134
	v_cvt_i32_f32_e32 v134, v181
	s_delay_alu instid0(VALU_DEP_2) | instskip(SKIP_2) | instid1(VALU_DEP_1)
	v_exp_f32_e32 v124, v124
	s_waitcnt_depctr 0xfff
	v_ldexp_f32 v124, v124, v134
	v_cndmask_b32_e64 v124, 0, v124, s3
	v_cmp_nlt_f32_e64 s3, 0x42b17218, v87
	s_delay_alu instid0(VALU_DEP_1) | instskip(SKIP_4) | instid1(VALU_DEP_2)
	v_cndmask_b32_e64 v181, 0x7f800000, v124, s3
	ds_bpermute_b32 v87, v165, v181
	v_cndmask_b32_e64 v85, v85, v181, s2
	v_cndmask_b32_e64 v86, v86, v181, s1
	s_waitcnt lgkmcnt(0)
	v_cndmask_b32_e64 v124, v85, v87, s0
	s_delay_alu instid0(VALU_DEP_2) | instskip(NEXT) | instid1(VALU_DEP_2)
	v_cndmask_b32_e32 v86, v86, v87, vcc_lo
	v_cvt_f16_f32_e32 v85, v124
	s_delay_alu instid0(VALU_DEP_2) | instskip(NEXT) | instid1(VALU_DEP_1)
	v_cvt_f16_f32_e32 v87, v86
	v_pack_b32_f16 v85, v85, v87
	v_sub_f32_e32 v87, v180, v152
	s_delay_alu instid0(VALU_DEP_1) | instskip(SKIP_1) | instid1(VALU_DEP_2)
	v_mul_f32_e32 v134, 0x3fb8aa3b, v87
	v_cmp_ngt_f32_e64 s3, 0xc2ce8ed0, v87
	v_fma_f32 v180, 0x3fb8aa3b, v87, -v134
	v_rndne_f32_e32 v196, v134
	s_delay_alu instid0(VALU_DEP_2) | instskip(NEXT) | instid1(VALU_DEP_2)
	v_fmac_f32_e32 v180, 0x32a5705f, v87
	v_sub_f32_e32 v134, v134, v196
	s_delay_alu instid0(VALU_DEP_1) | instskip(SKIP_1) | instid1(VALU_DEP_2)
	v_add_f32_e32 v134, v134, v180
	v_cvt_i32_f32_e32 v180, v196
	v_exp_f32_e32 v134, v134
	s_waitcnt_depctr 0xfff
	v_ldexp_f32 v134, v134, v180
	s_delay_alu instid0(VALU_DEP_1) | instskip(SKIP_1) | instid1(VALU_DEP_1)
	v_cndmask_b32_e64 v134, 0, v134, s3
	v_cmp_nlt_f32_e64 s3, 0x42b17218, v87
	v_cndmask_b32_e64 v180, 0x7f800000, v134, s3
	s_delay_alu instid0(VALU_DEP_1) | instskip(SKIP_4) | instid1(VALU_DEP_2)
	v_cndmask_b32_e64 v87, v124, v180, s2
	ds_bpermute_b32 v124, v165, v180
	v_cndmask_b32_e64 v86, v86, v180, s1
	s_waitcnt lgkmcnt(0)
	v_cndmask_b32_e64 v87, v87, v124, s0
	v_cndmask_b32_e32 v124, v86, v124, vcc_lo
	s_delay_alu instid0(VALU_DEP_2) | instskip(NEXT) | instid1(VALU_DEP_2)
	v_cvt_f16_f32_e32 v86, v87
	v_cvt_f16_f32_e64 v134, v124
	s_delay_alu instid0(VALU_DEP_1) | instskip(SKIP_1) | instid1(VALU_DEP_1)
	v_pack_b32_f16 v86, v86, v134
	v_sub_f32_e32 v134, v145, v152
	v_mul_f32_e32 v145, 0x3fb8aa3b, v134
	v_cmp_ngt_f32_e64 s3, 0xc2ce8ed0, v134
	s_delay_alu instid0(VALU_DEP_2) | instskip(SKIP_1) | instid1(VALU_DEP_1)
	v_fma_f32 v196, 0x3fb8aa3b, v134, -v145
	v_rndne_f32_e32 v197, v145
	v_dual_fmac_f32 v196, 0x32a5705f, v134 :: v_dual_sub_f32 v145, v145, v197
	s_delay_alu instid0(VALU_DEP_1) | instskip(SKIP_1) | instid1(VALU_DEP_2)
	v_add_f32_e32 v145, v145, v196
	v_cvt_i32_f32_e32 v196, v197
	v_exp_f32_e32 v145, v145
	s_waitcnt_depctr 0xfff
	v_ldexp_f32 v145, v145, v196
	s_delay_alu instid0(VALU_DEP_1) | instskip(SKIP_1) | instid1(VALU_DEP_1)
	v_cndmask_b32_e64 v145, 0, v145, s3
	v_cmp_nlt_f32_e64 s3, 0x42b17218, v134
	v_cndmask_b32_e64 v145, 0x7f800000, v145, s3
	ds_bpermute_b32 v134, v165, v145
	v_cndmask_b32_e64 v87, v87, v145, s2
	v_cndmask_b32_e64 v124, v124, v145, s1
	s_waitcnt lgkmcnt(0)
	s_delay_alu instid0(VALU_DEP_2) | instskip(NEXT) | instid1(VALU_DEP_2)
	v_cndmask_b32_e64 v87, v87, v134, s0
	v_cndmask_b32_e32 v124, v124, v134, vcc_lo
	v_cmp_lt_i32_e32 vcc_lo, s104, v117
	s_delay_alu instid0(VALU_DEP_3) | instskip(NEXT) | instid1(VALU_DEP_3)
	v_cvt_f16_f32_e32 v87, v87
	v_cvt_f16_f32_e32 v124, v124
	s_and_b32 vcc_lo, exec_lo, vcc_lo
	s_delay_alu instid0(VALU_DEP_1)
	v_pack_b32_f16 v87, v87, v124
	ds_load_u16 v124, v171 offset:704
	ds_load_u16_d16_hi v122, v170 offset:5808
	s_waitcnt lgkmcnt(1)
	ds_load_u16_d16_hi v124, v170 offset:6512
	ds_load_u16_d16_hi v126, v170 offset:7216
	ds_load_u16 v134, v173 offset:704
	ds_load_u16_d16_hi v132, v172 offset:5808
	s_waitcnt lgkmcnt(1)
	ds_load_u16_d16_hi v134, v172 offset:6512
	ds_load_u16_d16_hi v136, v172 offset:7216
	v_wmma_f32_16x16x16_f16 v[56:63], v[122:129], v[80:87], v[56:63]
	ds_load_u16 v123, v175 offset:352
	ds_load_u16 v125, v175 offset:1056
	;; [unrolled: 1-line block ×8, first 2 shown]
	s_waitcnt lgkmcnt(7)
	ds_load_u16_d16_hi v123, v174 offset:6160
	s_waitcnt lgkmcnt(7)
	ds_load_u16_d16_hi v125, v174 offset:6864
	;; [unrolled: 2-line block ×8, first 2 shown]
	v_wmma_f32_16x16x16_f16 v[72:79], v[236:243], v[80:87], v[72:79]
	v_wmma_f32_16x16x16_f16 v[64:71], v[244:251], v[80:87], v[64:71]
	;; [unrolled: 1-line block ×3, first 2 shown]
	s_waitcnt lgkmcnt(0)
	s_barrier
	buffer_gl0_inv
	v_wmma_f32_16x16x16_f16 v[40:47], v[122:129], v[80:87], v[40:47]
	v_dual_add_f32 v80, v187, v188 :: v_dual_mov_b32 v81, v142
	s_delay_alu instid0(VALU_DEP_1) | instskip(NEXT) | instid1(VALU_DEP_1)
	v_add_f32_e32 v80, v189, v80
	v_add_f32_e32 v80, v190, v80
	s_delay_alu instid0(VALU_DEP_1) | instskip(NEXT) | instid1(VALU_DEP_1)
	v_add_f32_e32 v80, v191, v80
	v_add_f32_e32 v80, v192, v80
	;; [unrolled: 3-line block ×7, first 2 shown]
	s_delay_alu instid0(VALU_DEP_1)
	v_fmac_f32_e32 v142, v81, v195
	s_cbranch_vccnz .LBB9_370
; %bb.371:
	s_clause 0x8
	scratch_load_b32 v235, off, off offset:128
	scratch_load_b64 v[236:237], off, off offset:120
	scratch_load_b32 v222, off, off offset:340
	scratch_load_b32 v223, off, off offset:344
	scratch_load_b32 v224, off, off
	scratch_load_b32 v225, off, off offset:8
	scratch_load_b32 v230, off, off offset:16
	;; [unrolled: 1-line block ×4, first 2 shown]
	v_or_b32_e32 v226, 0x4d0, v143
	v_or_b32_e32 v227, 0x210, v143
	;; [unrolled: 1-line block ×5, first 2 shown]
.LBB9_372:
	s_lshl_b32 s16, s104, 6
	v_lshlrev_b64 v[80:81], 1, v[98:99]
	s_ashr_i32 s17, s16, 31
	v_lshlrev_b64 v[82:83], 1, v[96:97]
	s_lshl_b64 s[0:1], s[16:17], 1
	v_lshlrev_b64 v[117:118], 2, v[111:112]
	s_add_u32 s0, s24, s0
	s_addc_u32 s1, s25, s1
	v_add_co_u32 v84, s0, s0, v159
	s_delay_alu instid0(VALU_DEP_1) | instskip(SKIP_1) | instid1(VALU_DEP_2)
	v_add_co_ci_u32_e64 v85, null, s1, 0, s0
	s_mul_i32 s0, s12, s17
	v_add_co_u32 v80, vcc_lo, v84, v80
	s_mul_hi_u32 s1, s12, s16
	s_delay_alu instid0(VALU_DEP_2)
	v_add_co_ci_u32_e32 v81, vcc_lo, v85, v81, vcc_lo
	s_add_i32 s0, s1, s0
	s_mul_i32 s1, s5, s16
	v_add_co_u32 v82, vcc_lo, v84, v82
	v_add_co_ci_u32_e32 v83, vcc_lo, v85, v83, vcc_lo
	s_add_i32 s1, s0, s1
	s_mul_i32 s0, s12, s16
	v_lshlrev_b64 v[84:85], 2, v[90:91]
	s_lshl_b64 s[0:1], s[0:1], 2
	s_clause 0x1
	global_load_b32 v146, v[80:81], off
	global_load_b32 v160, v[82:83], off
	s_add_u32 s0, s14, s0
	s_addc_u32 s1, s26, s1
	v_lshlrev_b64 v[80:81], 2, v[88:89]
	v_add_co_u32 v82, vcc_lo, s0, v84
	v_add_co_ci_u32_e32 v83, vcc_lo, s1, v85, vcc_lo
	v_lshlrev_b64 v[119:120], 2, v[113:114]
	s_delay_alu instid0(VALU_DEP_3) | instskip(NEXT) | instid1(VALU_DEP_3)
	v_add_co_u32 v82, vcc_lo, v82, v117
	v_add_co_ci_u32_e32 v83, vcc_lo, v83, v118, vcc_lo
	v_add_co_u32 v84, vcc_lo, s0, v80
	v_add_co_ci_u32_e32 v85, vcc_lo, s1, v81, vcc_lo
	v_lshlrev_b64 v[80:81], 2, v[92:93]
	s_delay_alu instid0(VALU_DEP_3) | instskip(NEXT) | instid1(VALU_DEP_3)
	v_add_co_u32 v84, vcc_lo, v84, v119
	v_add_co_ci_u32_e32 v85, vcc_lo, v85, v120, vcc_lo
	s_mul_hi_u32 s12, s10, s16
	s_delay_alu instid0(VALU_DEP_3) | instskip(NEXT) | instid1(VALU_DEP_4)
	v_add_co_u32 v86, vcc_lo, s0, v80
	v_add_co_ci_u32_e32 v87, vcc_lo, s1, v81, vcc_lo
	v_lshlrev_b64 v[80:81], 2, v[94:95]
	s_delay_alu instid0(VALU_DEP_3) | instskip(NEXT) | instid1(VALU_DEP_3)
	v_add_co_u32 v88, vcc_lo, v86, v119
	v_add_co_ci_u32_e32 v89, vcc_lo, v87, v120, vcc_lo
	v_lshlrev_b64 v[86:87], 2, v[115:116]
	s_delay_alu instid0(VALU_DEP_4) | instskip(SKIP_2) | instid1(VALU_DEP_3)
	v_add_co_u32 v80, vcc_lo, s0, v80
	v_add_co_ci_u32_e32 v81, vcc_lo, s1, v81, vcc_lo
	s_mul_i32 s9, s9, s16
	v_add_co_u32 v86, vcc_lo, s0, v86
	s_delay_alu instid0(VALU_DEP_4) | instskip(SKIP_2) | instid1(VALU_DEP_4)
	v_add_co_ci_u32_e32 v87, vcc_lo, s1, v87, vcc_lo
	v_add_co_u32 v92, vcc_lo, v80, v119
	v_add_co_ci_u32_e32 v93, vcc_lo, v81, v120, vcc_lo
	v_add_co_u32 v96, vcc_lo, v86, v119
	s_delay_alu instid0(VALU_DEP_4)
	v_add_co_ci_u32_e32 v97, vcc_lo, v87, v120, vcc_lo
	s_clause 0x4
	global_load_b128 v[80:83], v[82:83], off
	global_load_b128 v[84:87], v[84:85], off
	;; [unrolled: 1-line block ×5, first 2 shown]
	s_mov_b32 s0, 0
	v_cmp_lt_i32_e32 vcc_lo, v155, v153
	s_mov_b32 s7, s0
	s_mov_b32 s1, s0
	;; [unrolled: 1-line block ×7, first 2 shown]
	v_lshlrev_b32_e32 v145, 1, v130
	v_dual_mov_b32 v129, s7 :: v_dual_add_nc_u32 v114, 0, v159
	v_dual_mov_b32 v128, s6 :: v_dual_lshlrev_b32 v115, 2, v111
	v_dual_mov_b32 v127, s5 :: v_dual_lshlrev_b32 v112, 2, v113
	v_dual_mov_b32 v126, s4 :: v_dual_add_nc_u32 v113, v156, v157
	v_dual_mov_b32 v125, s3 :: v_dual_mov_b32 v122, s0
	v_dual_mov_b32 v124, s2 :: v_dual_mov_b32 v123, s1
	s_mul_i32 s0, s10, s17
	v_lshlrev_b64 v[201:202], 2, v[107:108]
	s_add_i32 s0, s12, s0
	v_add3_u32 v108, 0, v151, v145
	s_mul_i32 s8, s10, s16
	s_add_i32 s9, s0, s9
	v_dual_cndmask_b32 v116, v154, v155 :: v_dual_add_nc_u32 v111, v156, v158
	v_lshlrev_b64 v[213:214], 2, v[105:106]
	v_add_nc_u32_e32 v106, v114, v253
	v_add_nc_u32_e32 v107, v114, v254
	s_lshl_b64 s[0:1], s[8:9], 2
	v_lshlrev_b64 v[209:210], 2, v[101:102]
	s_waitcnt vmcnt(8)
	v_add3_u32 v101, 0, v132, v115
	v_add3_u32 v102, 0, v141, v112
	v_lshl_add_u32 v114, v148, 1, v108
	s_add_u32 s0, s11, s0
	v_lshlrev_b64 v[211:212], 2, v[103:104]
	s_waitcnt vmcnt(7)
	v_add3_u32 v103, 0, v133, v112
	v_lshlrev_b64 v[215:216], 2, v[109:110]
	v_add3_u32 v104, 0, v147, v112
	v_add3_u32 v105, 0, v149, v112
	v_lshl_add_u32 v115, v150, 1, v108
	s_addc_u32 s1, s13, s1
	v_lshlrev_b32_e32 v141, 2, v116
	v_cmp_eq_u32_e64 s2, 1, v130
	s_waitcnt vmcnt(6)
	ds_store_b32 v106, v146 offset:11264
	s_waitcnt vmcnt(5)
	ds_store_b32 v107, v160 offset:11264
	s_waitcnt vmcnt(4)
	ds_store_b128 v101, v[80:83]
	s_waitcnt vmcnt(3)
	ds_store_b128 v102, v[84:87]
	;; [unrolled: 2-line block ×5, first 2 shown]
	s_waitcnt lgkmcnt(0)
	s_barrier
	buffer_gl0_inv
	ds_load_b128 v[80:83], v111
	ds_load_b128 v[84:87], v111 offset:16
	ds_load_b128 v[88:91], v111 offset:32
	;; [unrolled: 1-line block ×9, first 2 shown]
	ds_load_b128 v[169:172], v113
	ds_load_b128 v[173:176], v113 offset:16
	ds_load_b128 v[177:180], v113 offset:32
	;; [unrolled: 1-line block ×9, first 2 shown]
	v_add_co_u32 v99, vcc_lo, s0, v201
	v_add_co_ci_u32_e32 v116, vcc_lo, s1, v202, vcc_lo
	s_waitcnt lgkmcnt(18)
	v_wmma_f32_16x16x16_f16 v[201:208], v[80:87], v[8:15], v[122:129]
	s_waitcnt lgkmcnt(0)
	s_barrier
	buffer_gl0_inv
	ds_load_u16 v96, v114 offset:11264
	ds_load_u16 v97, v114 offset:11268
	;; [unrolled: 1-line block ×3, first 2 shown]
	v_wmma_f32_16x16x16_f16 v[201:208], v[88:95], v[0:7], v[201:208]
	v_wmma_f32_16x16x16_f16 v[122:129], v[169:176], v[8:15], v[122:129]
	ds_load_u16 v146, v114 offset:11276
	ds_load_u16 v147, v114 offset:11280
	;; [unrolled: 1-line block ×13, first 2 shown]
	v_wmma_f32_16x16x16_f16 v[201:208], v[132:139], v[16:23], v[201:208]
	v_wmma_f32_16x16x16_f16 v[122:129], v[177:184], v[0:7], v[122:129]
	s_delay_alu instid0(VALU_DEP_2) | instskip(SKIP_2) | instid1(VALU_DEP_3)
	v_wmma_f32_16x16x16_f16 v[201:208], v[153:160], v[24:31], v[201:208]
	s_waitcnt lgkmcnt(12)
	v_cvt_f32_f16_e64 v11, v146
	v_wmma_f32_16x16x16_f16 v[122:129], v[185:192], v[16:23], v[122:129]
	s_waitcnt lgkmcnt(11)
	v_cvt_f32_f16_e64 v12, v147
	s_waitcnt lgkmcnt(10)
	v_cvt_f32_f16_e64 v13, v148
	v_wmma_f32_16x16x16_f16 v[201:208], v[161:168], v[32:39], v[201:208]
	s_waitcnt lgkmcnt(9)
	v_cvt_f32_f16_e64 v14, v149
	v_cvt_f32_f16_e32 v8, v96
	v_cvt_f32_f16_e32 v9, v97
	;; [unrolled: 1-line block ×3, first 2 shown]
	v_dual_add_f32 v11, v204, v11 :: v_dual_add_f32 v12, v205, v12
	s_delay_alu instid0(VALU_DEP_3) | instskip(NEXT) | instid1(VALU_DEP_3)
	v_dual_add_f32 v16, v201, v8 :: v_dual_add_f32 v17, v202, v9
	v_add_f32_e32 v10, v203, v10
	s_waitcnt lgkmcnt(8)
	v_cvt_f32_f16_e32 v15, v114
	v_wmma_f32_16x16x16_f16 v[122:129], v[193:200], v[24:31], v[122:129]
	v_dual_add_f32 v8, 0x40051340, v16 :: v_dual_add_f32 v9, 0x40051340, v17
	v_dual_add_f32 v18, 0x40051340, v10 :: v_dual_add_f32 v13, v206, v13
	;; [unrolled: 1-line block ×3, first 2 shown]
	s_delay_alu instid0(VALU_DEP_3)
	v_max3_f32 v8, v152, v8, v9
	s_waitcnt lgkmcnt(7)
	v_cvt_f32_f16_e64 v0, v150
	v_add_f32_e32 v20, 0x40051340, v13
	s_waitcnt lgkmcnt(6)
	v_cvt_f32_f16_e64 v1, v151
	v_wmma_f32_16x16x16_f16 v[122:129], v[106:113], v[32:39], v[122:129]
	v_add_f32_e32 v15, v208, v15
	v_add_f32_e32 v9, 0x40051340, v12
	v_max3_f32 v8, v8, v18, v19
	s_waitcnt lgkmcnt(5)
	v_cvt_f32_f16_e64 v2, v217
	s_waitcnt lgkmcnt(4)
	v_cvt_f32_f16_e64 v3, v218
	v_add_f32_e32 v18, v122, v0
	v_dual_add_f32 v0, 0x40051340, v14 :: v_dual_add_f32 v19, v123, v1
	v_add_f32_e32 v1, 0x40051340, v15
	v_max3_f32 v8, v8, v9, v20
	s_waitcnt lgkmcnt(3)
	v_cvt_f32_f16_e64 v4, v219
	s_waitcnt lgkmcnt(2)
	v_cvt_f32_f16_e64 v5, v220
	v_add_f32_e32 v20, v124, v2
	v_dual_add_f32 v2, 0x40051340, v18 :: v_dual_add_f32 v21, v125, v3
	v_dual_add_f32 v22, v126, v4 :: v_dual_add_f32 v3, 0x40051340, v19
	v_max3_f32 v0, v8, v0, v1
	s_waitcnt lgkmcnt(1)
	v_cvt_f32_f16_e64 v6, v221
	v_add_f32_e32 v4, 0x40051340, v21
	s_waitcnt lgkmcnt(0)
	v_cvt_f32_f16_e32 v7, v115
	v_add_f32_e32 v23, v127, v5
	v_add_f32_e32 v1, 0x40051340, v20
	v_max3_f32 v0, v0, v2, v3
	v_add_f32_e32 v2, 0x40051340, v22
	v_dual_add_f32 v24, v128, v6 :: v_dual_add_f32 v25, v129, v7
	v_add_f32_e32 v3, 0x40051340, v23
	s_delay_alu instid0(VALU_DEP_4) | instskip(SKIP_1) | instid1(VALU_DEP_4)
	v_max3_f32 v0, v0, v1, v4
	v_add_co_u32 v4, vcc_lo, s0, v209
	v_dual_add_f32 v6, 0x40051340, v25 :: v_dual_add_f32 v1, 0x40051340, v24
	s_delay_alu instid0(VALU_DEP_3) | instskip(SKIP_2) | instid1(VALU_DEP_3)
	v_max3_f32 v0, v0, v2, v3
	v_add_co_ci_u32_e32 v5, vcc_lo, s1, v210, vcc_lo
	v_add_co_u32 v7, vcc_lo, s0, v211
	v_max3_f32 v26, v0, v1, v6
	v_add_co_ci_u32_e32 v8, vcc_lo, s1, v212, vcc_lo
	v_add_co_u32 v6, vcc_lo, s0, v213
	ds_bpermute_b32 v27, v141, v26
	v_add_co_ci_u32_e32 v9, vcc_lo, s1, v214, vcc_lo
	v_add_co_u32 v28, vcc_lo, s0, v215
	v_add_co_ci_u32_e32 v29, vcc_lo, s1, v216, vcc_lo
	v_add_co_u32 v0, vcc_lo, v99, v117
	;; [unrolled: 2-line block ×5, first 2 shown]
	s_waitcnt lgkmcnt(0)
	v_max_f32_e32 v27, v27, v27
	v_add_co_ci_u32_e32 v7, vcc_lo, v9, v120, vcc_lo
	v_add_co_u32 v8, vcc_lo, v28, v119
	s_delay_alu instid0(VALU_DEP_3)
	v_max_f32_e32 v146, v26, v27
	v_add_co_ci_u32_e32 v9, vcc_lo, v29, v120, vcc_lo
	s_clause 0x4
	global_load_b128 v[80:83], v[0:1], off
	global_load_b128 v[84:87], v[2:3], off
	;; [unrolled: 1-line block ×5, first 2 shown]
	v_cmp_eq_u32_e64 s0, 1, v100
	v_sub_f32_e32 v2, v10, v146
	v_sub_f32_e32 v3, v11, v146
	;; [unrolled: 1-line block ×5, first 2 shown]
	v_mul_f32_e32 v19, 0x3fb8aa3b, v2
	v_sub_f32_e32 v1, v17, v146
	v_sub_f32_e32 v4, v12, v146
	;; [unrolled: 1-line block ×4, first 2 shown]
	v_rndne_f32_e32 v39, v19
	v_dual_sub_f32 v16, v152, v146 :: v_dual_mul_f32 v17, 0x3fb8aa3b, v0
	v_fma_f32 v38, 0x3fb8aa3b, v2, -v19
	v_dual_sub_f32 v6, v14, v146 :: v_dual_mul_f32 v21, 0x3fb8aa3b, v4
	s_delay_alu instid0(VALU_DEP_4) | instskip(NEXT) | instid1(VALU_DEP_4)
	v_dual_sub_f32 v19, v19, v39 :: v_dual_sub_f32 v12, v22, v146
	v_dual_mul_f32 v33, 0x3fb8aa3b, v16 :: v_dual_sub_f32 v8, v18, v146
	v_mul_f32_e32 v28, 0x3fb8aa3b, v11
	v_fma_f32 v34, 0x3fb8aa3b, v0, -v17
	s_delay_alu instid0(VALU_DEP_4)
	v_dual_mul_f32 v29, 0x3fb8aa3b, v12 :: v_dual_sub_f32 v10, v20, v146
	v_mul_f32_e32 v20, 0x3fb8aa3b, v3
	v_mul_f32_e32 v18, 0x3fb8aa3b, v1
	v_rndne_f32_e32 v35, v17
	v_sub_f32_e32 v14, v24, v146
	v_mul_f32_e32 v24, 0x3fb8aa3b, v7
	v_dual_mul_f32 v22, 0x3fb8aa3b, v5 :: v_dual_sub_f32 v15, v25, v146
	v_sub_f32_e32 v13, v23, v146
	v_mul_f32_e32 v25, 0x3fb8aa3b, v8
	v_fma_f32 v36, 0x3fb8aa3b, v1, -v18
	v_rndne_f32_e32 v37, v18
	v_mul_f32_e32 v32, 0x3fb8aa3b, v15
	v_rndne_f32_e32 v109, v21
	v_rndne_f32_e32 v111, v22
	v_mul_f32_e32 v27, 0x3fb8aa3b, v10
	v_rndne_f32_e32 v124, v28
	v_dual_fmac_f32 v34, 0x32a5705f, v0 :: v_dual_sub_f32 v17, v17, v35
	v_mul_f32_e32 v26, 0x3fb8aa3b, v9
	v_mul_f32_e32 v30, 0x3fb8aa3b, v13
	v_rndne_f32_e32 v107, v20
	v_mul_f32_e32 v23, 0x3fb8aa3b, v6
	v_fma_f32 v108, 0x3fb8aa3b, v4, -v21
	v_fma_f32 v110, 0x3fb8aa3b, v5, -v22
	v_fma_f32 v114, 0x3fb8aa3b, v7, -v24
	v_fma_f32 v123, 0x3fb8aa3b, v11, -v28
	v_fma_f32 v125, 0x3fb8aa3b, v12, -v29
	v_rndne_f32_e32 v126, v29
	v_sub_f32_e32 v18, v18, v37
	v_dual_sub_f32 v21, v21, v109 :: v_dual_sub_f32 v22, v22, v111
	v_rndne_f32_e32 v122, v27
	v_fmac_f32_e32 v36, 0x32a5705f, v1
	v_dual_sub_f32 v28, v28, v124 :: v_dual_add_f32 v17, v17, v34
	v_fma_f32 v106, 0x3fb8aa3b, v3, -v20
	v_fma_f32 v120, 0x3fb8aa3b, v10, -v27
	v_rndne_f32_e32 v128, v30
	v_sub_f32_e32 v20, v20, v107
	v_rndne_f32_e32 v113, v23
	v_fmac_f32_e32 v38, 0x32a5705f, v2
	v_dual_fmac_f32 v110, 0x32a5705f, v5 :: v_dual_fmac_f32 v125, 0x32a5705f, v12
	v_dual_fmac_f32 v114, 0x32a5705f, v7 :: v_dual_sub_f32 v29, v29, v126
	v_dual_sub_f32 v27, v27, v122 :: v_dual_add_f32 v18, v18, v36
	v_exp_f32_e32 v17, v17
	v_fma_f32 v112, 0x3fb8aa3b, v6, -v23
	s_delay_alu instid0(VALU_DEP_3)
	v_add_f32_e32 v29, v29, v125
	v_rndne_f32_e32 v117, v25
	v_fma_f32 v127, 0x3fb8aa3b, v13, -v30
	v_cvt_i32_f32_e32 v35, v35
	v_dual_fmac_f32 v106, 0x32a5705f, v3 :: v_dual_sub_f32 v23, v23, v113
	v_dual_sub_f32 v30, v30, v128 :: v_dual_add_f32 v19, v19, v38
	v_exp_f32_e32 v18, v18
	v_fma_f32 v116, 0x3fb8aa3b, v8, -v25
	v_cvt_i32_f32_e32 v37, v37
	v_dual_fmac_f32 v108, 0x32a5705f, v4 :: v_dual_fmac_f32 v123, 0x32a5705f, v11
	v_dual_fmac_f32 v112, 0x32a5705f, v6 :: v_dual_fmac_f32 v127, 0x32a5705f, v13
	v_dual_sub_f32 v25, v25, v117 :: v_dual_add_f32 v20, v20, v106
	s_delay_alu instid0(VALU_DEP_3)
	v_add_f32_e32 v21, v21, v108
	v_exp_f32_e32 v19, v19
	v_ldexp_f32 v17, v17, v35
	v_cmp_ngt_f32_e32 vcc_lo, 0xc2ce8ed0, v0
	v_cvt_i32_f32_e32 v39, v39
	v_add_f32_e32 v30, v30, v127
	v_exp_f32_e32 v20, v20
	v_ldexp_f32 v18, v18, v37
	v_cndmask_b32_e32 v17, 0, v17, vcc_lo
	v_cmp_ngt_f32_e32 vcc_lo, 0xc2ce8ed0, v1
	v_rndne_f32_e32 v115, v24
	v_mul_f32_e32 v31, 0x3fb8aa3b, v14
	v_cvt_i32_f32_e32 v107, v107
	v_dual_add_f32 v22, v22, v110 :: v_dual_add_f32 v23, v23, v112
	v_exp_f32_e32 v21, v21
	v_ldexp_f32 v19, v19, v39
	v_cndmask_b32_e32 v18, 0, v18, vcc_lo
	v_cmp_ngt_f32_e32 vcc_lo, 0xc2ce8ed0, v2
	v_cvt_i32_f32_e32 v109, v109
	v_sub_f32_e32 v24, v24, v115
	v_fma_f32 v129, 0x3fb8aa3b, v14, -v31
	v_exp_f32_e32 v22, v22
	v_cndmask_b32_e32 v19, 0, v19, vcc_lo
	v_ldexp_f32 v20, v20, v107
	v_cmp_ngt_f32_e32 vcc_lo, 0xc2ce8ed0, v3
	v_fma_f32 v118, 0x3fb8aa3b, v9, -v26
	v_rndne_f32_e32 v119, v26
	v_cvt_i32_f32_e32 v111, v111
	v_dual_fmac_f32 v116, 0x32a5705f, v8 :: v_dual_fmac_f32 v129, 0x32a5705f, v14
	v_add_f32_e32 v24, v24, v114
	v_exp_f32_e32 v23, v23
	v_ldexp_f32 v21, v21, v109
	s_delay_alu instid0(VALU_DEP_3)
	v_add_f32_e32 v25, v25, v116
	v_cndmask_b32_e32 v20, 0, v20, vcc_lo
	v_cmp_ngt_f32_e32 vcc_lo, 0xc2ce8ed0, v4
	v_rndne_f32_e32 v132, v31
	v_fma_f32 v133, 0x3fb8aa3b, v15, -v32
	v_fma_f32 v135, 0x3fb8aa3b, v16, -v33
	v_cvt_i32_f32_e32 v113, v113
	v_cndmask_b32_e32 v21, 0, v21, vcc_lo
	v_dual_fmac_f32 v118, 0x32a5705f, v9 :: v_dual_sub_f32 v31, v31, v132
	s_delay_alu instid0(VALU_DEP_4)
	v_dual_sub_f32 v26, v26, v119 :: v_dual_fmac_f32 v135, 0x32a5705f, v16
	v_exp_f32_e32 v24, v24
	v_ldexp_f32 v22, v22, v111
	v_cmp_ngt_f32_e32 vcc_lo, 0xc2ce8ed0, v5
	v_cvt_i32_f32_e32 v115, v115
	v_dual_fmac_f32 v120, 0x32a5705f, v10 :: v_dual_fmac_f32 v133, 0x32a5705f, v15
	v_add_f32_e32 v26, v26, v118
	v_exp_f32_e32 v25, v25
	v_ldexp_f32 v23, v23, v113
	s_delay_alu instid0(VALU_DEP_3)
	v_dual_add_f32 v27, v27, v120 :: v_dual_cndmask_b32 v22, 0, v22
	v_cmp_ngt_f32_e32 vcc_lo, 0xc2ce8ed0, v6
	v_cvt_i32_f32_e32 v117, v117
	v_exp_f32_e32 v26, v26
	v_ldexp_f32 v24, v24, v115
	v_cvt_i32_f32_e32 v119, v119
	v_cndmask_b32_e32 v23, 0, v23, vcc_lo
	v_cmp_ngt_f32_e32 vcc_lo, 0xc2ce8ed0, v7
	v_dual_add_f32 v28, v28, v123 :: v_dual_add_f32 v31, v31, v129
	v_exp_f32_e32 v27, v27
	v_ldexp_f32 v25, v25, v117
	v_cndmask_b32_e32 v24, 0, v24, vcc_lo
	v_cmp_ngt_f32_e32 vcc_lo, 0xc2ce8ed0, v8
	v_cvt_i32_f32_e32 v122, v122
	v_exp_f32_e32 v28, v28
	v_ldexp_f32 v26, v26, v119
	v_rndne_f32_e32 v134, v32
	v_cndmask_b32_e32 v25, 0, v25, vcc_lo
	v_cmp_ngt_f32_e32 vcc_lo, 0xc2ce8ed0, v9
	v_cvt_i32_f32_e32 v124, v124
	v_exp_f32_e32 v29, v29
	v_ldexp_f32 v27, v27, v122
	v_rndne_f32_e32 v136, v33
	v_cndmask_b32_e32 v26, 0, v26, vcc_lo
	v_cmp_ngt_f32_e32 vcc_lo, 0xc2ce8ed0, v10
	v_cvt_i32_f32_e32 v126, v126
	s_delay_alu instid0(VALU_DEP_4)
	v_dual_sub_f32 v32, v32, v134 :: v_dual_sub_f32 v33, v33, v136
	v_exp_f32_e32 v30, v30
	v_ldexp_f32 v28, v28, v124
	v_cndmask_b32_e32 v27, 0, v27, vcc_lo
	v_cmp_ngt_f32_e32 vcc_lo, 0xc2ce8ed0, v11
	v_cvt_i32_f32_e32 v128, v128
	v_dual_add_f32 v32, v32, v133 :: v_dual_add_f32 v33, v33, v135
	v_exp_f32_e32 v31, v31
	v_ldexp_f32 v29, v29, v126
	v_cndmask_b32_e32 v28, 0, v28, vcc_lo
	v_cmp_ngt_f32_e32 vcc_lo, 0xc2ce8ed0, v12
	v_cvt_i32_f32_e32 v132, v132
	v_exp_f32_e32 v32, v32
	v_ldexp_f32 v30, v30, v128
	v_cvt_i32_f32_e32 v134, v134
	v_cndmask_b32_e32 v29, 0, v29, vcc_lo
	v_cmp_ngt_f32_e32 vcc_lo, 0xc2ce8ed0, v13
	v_exp_f32_e32 v33, v33
	v_ldexp_f32 v31, v31, v132
	v_cvt_i32_f32_e32 v136, v136
	v_cmp_eq_u32_e64 s1, 0, v130
	v_cndmask_b32_e32 v30, 0, v30, vcc_lo
	v_cmp_ngt_f32_e32 vcc_lo, 0xc2ce8ed0, v14
	v_ldexp_f32 v32, v32, v134
	s_waitcnt vmcnt(4)
	ds_store_b128 v101, v[80:83]
	s_waitcnt vmcnt(3)
	ds_store_b128 v102, v[84:87]
	;; [unrolled: 2-line block ×5, first 2 shown]
	v_cndmask_b32_e32 v31, 0, v31, vcc_lo
	v_cmp_ngt_f32_e32 vcc_lo, 0xc2ce8ed0, v15
	v_ldexp_f32 v33, v33, v136
	s_waitcnt lgkmcnt(0)
	s_barrier
	buffer_gl0_inv
	v_cndmask_b32_e32 v32, 0, v32, vcc_lo
	v_cmp_ngt_f32_e32 vcc_lo, 0xc2ce8ed0, v16
	v_cndmask_b32_e32 v33, 0, v33, vcc_lo
	v_cmp_nlt_f32_e32 vcc_lo, 0x42b17218, v0
	v_cndmask_b32_e32 v106, 0x7f800000, v17, vcc_lo
	v_cmp_nlt_f32_e32 vcc_lo, 0x42b17218, v1
	;; [unrolled: 2-line block ×17, first 2 shown]
	v_cndmask_b32_e32 v122, 0x7f800000, v32, vcc_lo
	v_cmp_le_f32_e32 vcc_lo, 0xc1a00000, v16
	s_delay_alu instid0(VALU_DEP_4) | instskip(SKIP_1) | instid1(VALU_DEP_2)
	v_cndmask_b32_e32 v7, 0, v1, vcc_lo
	v_cmp_eq_u32_e32 vcc_lo, 0, v100
	v_mul_f32_e32 v33, v73, v7
	v_add_f32_e32 v0, v106, v107
	v_mul_f32_e32 v35, v75, v7
	ds_bpermute_b32 v3, v141, v106
	ds_bpermute_b32 v124, v141, v109
	v_add_f32_e32 v0, v108, v0
	ds_bpermute_b32 v6, v141, v107
	v_add_f32_e32 v0, v109, v0
	s_delay_alu instid0(VALU_DEP_1) | instskip(NEXT) | instid1(VALU_DEP_1)
	v_add_f32_e32 v0, v110, v0
	v_add_f32_e32 v0, v111, v0
	s_delay_alu instid0(VALU_DEP_1)
	v_add_f32_e32 v0, v112, v0
	v_mul_f32_e32 v32, v72, v7
	v_mul_f32_e32 v27, v67, v7
	;; [unrolled: 1-line block ×4, first 2 shown]
	v_add_f32_e32 v0, v113, v0
	v_mul_f32_e32 v29, v69, v7
	v_mul_f32_e32 v39, v79, v7
	;; [unrolled: 1-line block ×3, first 2 shown]
	s_delay_alu instid0(VALU_DEP_4)
	v_dual_mul_f32 v25, v65, v7 :: v_dual_add_f32 v0, v114, v0
	v_mul_f32_e32 v17, v57, v7
	v_mul_f32_e32 v2, v42, v7
	ds_bpermute_b32 v65, v141, v120
	v_mul_f32_e32 v8, v48, v7
	v_add_f32_e32 v0, v115, v0
	v_mul_f32_e32 v31, v71, v7
	ds_bpermute_b32 v48, v141, v110
	v_mul_f32_e32 v12, v52, v7
	v_mul_f32_e32 v26, v66, v7
	v_add_f32_e32 v0, v116, v0
	v_dual_mul_f32 v28, v68, v7 :: v_dual_lshlrev_b32 v67, 1, v226
	v_mul_f32_e32 v18, v58, v7
	s_delay_alu instid0(VALU_DEP_3)
	v_dual_mul_f32 v20, v60, v7 :: v_dual_add_f32 v1, v117, v0
	ds_bpermute_b32 v123, v141, v108
	v_mul_f32_e32 v0, v40, v7
	s_waitcnt lgkmcnt(5)
	v_cndmask_b32_e32 v40, v106, v3, vcc_lo
	v_dual_mul_f32 v19, v59, v7 :: v_dual_add_f32 v4, v118, v1
	v_mul_f32_e32 v1, v41, v7
	v_cndmask_b32_e64 v41, v106, v3, s0
	s_delay_alu instid0(VALU_DEP_4)
	v_cndmask_b32_e64 v5, v40, v107, s1
	v_mul_f32_e32 v38, v78, v7
	v_dual_mul_f32 v21, v61, v7 :: v_dual_add_f32 v4, v119, v4
	v_mul_f32_e32 v3, v43, v7
	v_cndmask_b32_e64 v42, v41, v107, s2
	s_waitcnt lgkmcnt(3)
	v_cndmask_b32_e32 v43, v5, v6, vcc_lo
	v_dual_mul_f32 v23, v63, v7 :: v_dual_add_f32 v4, v120, v4
	v_mul_f32_e32 v5, v45, v7
	v_cndmask_b32_e64 v42, v42, v6, s0
	s_delay_alu instid0(VALU_DEP_4) | instskip(SKIP_2) | instid1(VALU_DEP_4)
	v_cndmask_b32_e64 v6, v43, v108, s1
	v_cvt_f16_f32_e32 v40, v40
	v_dual_add_f32 v147, v122, v4 :: v_dual_mul_f32 v4, v44, v7
	v_cndmask_b32_e64 v44, v42, v108, s2
	s_waitcnt lgkmcnt(0)
	v_cndmask_b32_e32 v45, v6, v123, vcc_lo
	v_cvt_f16_f32_e32 v41, v41
	v_mul_f32_e32 v6, v46, v7
	v_cvt_f16_f32_e32 v42, v42
	v_cndmask_b32_e64 v44, v44, v123, s0
	v_cndmask_b32_e64 v46, v45, v109, s1
	v_mul_f32_e32 v9, v49, v7
	v_pack_b32_f16 v40, v40, v41
	v_cvt_f16_f32_e32 v41, v43
	v_cndmask_b32_e64 v43, v44, v109, s2
	v_cndmask_b32_e32 v46, v46, v124, vcc_lo
	v_cvt_f16_f32_e32 v45, v45
	v_cvt_f16_f32_e32 v44, v44
	v_mul_f32_e32 v22, v62, v7
	v_cndmask_b32_e64 v43, v43, v124, s0
	v_cvt_f16_f32_e32 v49, v46
	v_cndmask_b32_e64 v46, v46, v110, s1
	v_mul_f32_e32 v11, v51, v7
	v_mul_f32_e32 v10, v50, v7
	v_cndmask_b32_e64 v52, v43, v110, s2
	v_cvt_f16_f32_e32 v43, v43
	v_cndmask_b32_e32 v46, v46, v48, vcc_lo
	v_mul_f32_e32 v14, v54, v7
	v_fmac_f32_e32 v147, v142, v7
	ds_bpermute_b32 v50, v141, v111
	v_pack_b32_f16 v41, v41, v42
	v_pack_b32_f16 v42, v45, v44
	;; [unrolled: 1-line block ×3, first 2 shown]
	v_cvt_f16_f32_e32 v44, v46
	ds_bpermute_b32 v49, v141, v116
	v_mul_f32_e32 v15, v55, v7
	v_cndmask_b32_e64 v46, v46, v111, s1
	v_mul_f32_e32 v13, v53, v7
	ds_bpermute_b32 v62, v141, v119
	v_mul_f32_e32 v24, v64, v7
	ds_bpermute_b32 v149, v141, v122
	v_mul_f32_e32 v16, v56, v7
	v_lshlrev_b32_e32 v66, 1, v228
	v_mul_f32_e32 v30, v70, v7
	v_mul_f32_e32 v7, v47, v7
	ds_bpermute_b32 v47, v141, v114
	ds_bpermute_b32 v51, v141, v115
	v_cndmask_b32_e64 v45, v52, v48, s0
	ds_bpermute_b32 v53, v141, v112
	s_waitcnt lgkmcnt(6)
	v_cndmask_b32_e32 v46, v46, v50, vcc_lo
	ds_bpermute_b32 v59, v141, v118
	v_cvt_f16_f32_e32 v52, v45
	v_cndmask_b32_e64 v45, v45, v111, s2
	v_cvt_f16_f32_e32 v56, v46
	v_cndmask_b32_e64 v46, v46, v112, s1
	s_delay_alu instid0(VALU_DEP_4) | instskip(NEXT) | instid1(VALU_DEP_4)
	v_pack_b32_f16 v44, v44, v52
	v_cndmask_b32_e64 v45, v45, v50, s0
	s_delay_alu instid0(VALU_DEP_1)
	v_cndmask_b32_e64 v58, v45, v112, s2
	v_cvt_f16_f32_e32 v45, v45
	s_waitcnt lgkmcnt(3)
	v_cndmask_b32_e32 v48, v114, v47, vcc_lo
	v_cndmask_b32_e64 v54, v114, v47, s0
	s_waitcnt lgkmcnt(1)
	v_cndmask_b32_e32 v46, v46, v53, vcc_lo
	v_cndmask_b32_e64 v53, v58, v53, s0
	v_cndmask_b32_e64 v47, v48, v115, s1
	;; [unrolled: 1-line block ×3, first 2 shown]
	v_pack_b32_f16 v45, v56, v45
	v_cvt_f16_f32_e32 v58, v46
	v_cndmask_b32_e64 v46, v46, v113, s1
	v_cndmask_b32_e32 v55, v47, v51, vcc_lo
	ds_bpermute_b32 v47, v141, v117
	v_cndmask_b32_e64 v50, v52, v51, s0
	ds_bpermute_b32 v51, v141, v113
	v_cndmask_b32_e64 v61, v53, v113, s2
	v_cndmask_b32_e64 v52, v55, v116, s1
	v_cvt_f16_f32_e32 v53, v53
	v_cndmask_b32_e64 v57, v50, v116, s2
	v_cvt_f16_f32_e32 v50, v50
	v_cvt_f16_f32_e32 v48, v48
	v_cndmask_b32_e32 v52, v52, v49, vcc_lo
	v_cvt_f16_f32_e32 v54, v54
	v_cndmask_b32_e64 v49, v57, v49, s0
	s_delay_alu instid0(VALU_DEP_3) | instskip(SKIP_1) | instid1(VALU_DEP_3)
	v_cndmask_b32_e64 v57, v52, v117, s1
	v_cvt_f16_f32_e32 v52, v52
	v_cndmask_b32_e64 v60, v49, v117, s2
	v_pack_b32_f16 v48, v48, v54
	s_waitcnt lgkmcnt(1)
	v_cndmask_b32_e32 v57, v57, v47, vcc_lo
	s_delay_alu instid0(VALU_DEP_3)
	v_cndmask_b32_e64 v60, v60, v47, s0
	s_waitcnt lgkmcnt(0)
	v_cndmask_b32_e32 v46, v46, v51, vcc_lo
	v_cndmask_b32_e64 v47, v61, v51, s0
	v_cndmask_b32_e64 v51, v57, v118, s1
	;; [unrolled: 1-line block ×3, first 2 shown]
	s_delay_alu instid0(VALU_DEP_4)
	v_cvt_f16_f32_e32 v63, v46
	v_pack_b32_f16 v46, v58, v53
	v_cvt_f16_f32_e32 v47, v47
	v_cndmask_b32_e32 v64, v51, v59, vcc_lo
	v_cndmask_b32_e64 v51, v61, v59, s0
	v_cvt_f16_f32_e64 v137, v60
	s_delay_alu instid0(VALU_DEP_4) | instskip(NEXT) | instid1(VALU_DEP_4)
	v_pack_b32_f16 v47, v63, v47
	v_cndmask_b32_e64 v53, v64, v119, s1
	s_delay_alu instid0(VALU_DEP_4) | instskip(SKIP_2) | instid1(VALU_DEP_4)
	v_cndmask_b32_e64 v56, v51, v119, s2
	v_cvt_f16_f32_e64 v138, v64
	v_add_nc_u32_e32 v64, 0, v230
	v_cndmask_b32_e32 v53, v53, v62, vcc_lo
	s_delay_alu instid0(VALU_DEP_4)
	v_cndmask_b32_e64 v136, v56, v62, s0
	v_cvt_f16_f32_e32 v56, v49
	v_lshlrev_b32_e32 v62, 1, v229
	v_cvt_f16_f32_e32 v55, v55
	v_cndmask_b32_e64 v58, v53, v120, s1
	v_add_nc_u32_e32 v150, v64, v66
	v_add_nc_u32_e32 v94, v64, v67
	;; [unrolled: 1-line block ×3, first 2 shown]
	v_pack_b32_f16 v49, v55, v50
	v_pack_b32_f16 v50, v52, v56
	v_cndmask_b32_e32 v52, v58, v65, vcc_lo
	v_add_nc_u32_e32 v56, 0, v131
	v_lshlrev_b32_e32 v58, 1, v252
	v_cvt_f16_f32_e32 v53, v53
	s_delay_alu instid0(VALU_DEP_4) | instskip(NEXT) | instid1(VALU_DEP_4)
	v_cndmask_b32_e64 v139, v52, v122, s1
	v_add_nc_u32_e32 v142, v56, v121
	s_delay_alu instid0(VALU_DEP_4) | instskip(SKIP_4) | instid1(VALU_DEP_4)
	v_add_nc_u32_e32 v63, v56, v58
	v_cndmask_b32_e64 v59, v136, v120, s2
	v_add_nc_u32_e32 v123, v56, v66
	v_add_nc_u32_e32 v92, v64, v58
	v_cvt_f16_f32_e64 v136, v136
	v_cndmask_b32_e64 v54, v59, v65, s0
	v_lshlrev_b32_e32 v59, 1, v231
	v_lshlrev_b32_e32 v65, 1, v227
	s_delay_alu instid0(VALU_DEP_4) | instskip(NEXT) | instid1(VALU_DEP_4)
	v_pack_b32_f16 v53, v53, v136
	v_cndmask_b32_e64 v148, v54, v122, s2
	s_delay_alu instid0(VALU_DEP_4) | instskip(NEXT) | instid1(VALU_DEP_4)
	v_add_nc_u32_e32 v108, v56, v59
	v_add_nc_u32_e32 v88, v56, v65
	;; [unrolled: 1-line block ×4, first 2 shown]
	v_cvt_f16_f32_e32 v55, v57
	ds_load_u16 v69, v108 offset:32
	ds_load_u16 v61, v109 offset:32
	;; [unrolled: 1-line block ×3, first 2 shown]
	v_lshlrev_b32_e32 v57, 1, v144
	v_add_nc_u32_e32 v144, v64, v121
	v_add_nc_u32_e32 v124, v64, v65
	ds_load_u16 v62, v117 offset:32
	v_cvt_f16_f32_e32 v54, v54
	v_add_nc_u32_e32 v60, v56, v57
	v_add_nc_u32_e32 v56, v56, v67
	;; [unrolled: 1-line block ×3, first 2 shown]
	ds_load_u16 v77, v108 offset:64
	ds_load_u16 v85, v108 offset:96
	ds_load_u16 v118, v59
	ds_load_u16 v133, v108 offset:128
	s_waitcnt lgkmcnt(7)
	ds_load_u16_d16_hi v69, v142 offset:1968
	ds_load_u16 v101, v109 offset:64
	ds_load_u16 v93, v109 offset:96
	ds_load_u16 v110, v117
	ds_load_u16 v125, v109 offset:128
	s_waitcnt lgkmcnt(11)
	ds_load_u16_d16_hi v61, v144 offset:1968
	ds_load_u16 v113, v60
	ds_load_u16 v65, v60 offset:32
	ds_load_u16 v73, v60 offset:64
	ds_load_u16 v105, v91
	ds_load_u16 v57, v91 offset:32
	ds_load_u16 v97, v91 offset:64
	;; [unrolled: 1-line block ×6, first 2 shown]
	ds_load_u16 v119, v56
	ds_load_u16 v71, v56 offset:32
	ds_load_u16 v79, v56 offset:64
	;; [unrolled: 1-line block ×3, first 2 shown]
	ds_load_u16 v115, v88
	ds_load_u16 v130, v63 offset:128
	ds_load_u16 v114, v63
	ds_load_u16 v129, v60 offset:128
	ds_load_u16 v135, v56 offset:128
	ds_load_u16 v112, v142
	ds_load_u16 v64, v142 offset:32
	ds_load_u16 v72, v142 offset:64
	;; [unrolled: 1-line block ×12, first 2 shown]
	s_waitcnt lgkmcnt(21)
	ds_load_u16_d16_hi v119, v142 offset:2640
	s_waitcnt lgkmcnt(21)
	ds_load_u16_d16_hi v71, v142 offset:2672
	;; [unrolled: 2-line block ×4, first 2 shown]
	ds_load_u16_d16_hi v73, v142 offset:592
	s_waitcnt lgkmcnt(19)
	ds_load_u16_d16_hi v129, v142 offset:656
	s_waitcnt lgkmcnt(19)
	ds_load_u16_d16_hi v135, v142 offset:2768
	ds_load_u16_d16_hi v113, v142 offset:528
	ds_load_u16 v128, v142 offset:128
	s_waitcnt lgkmcnt(21)
	ds_load_u16_d16_hi v112, v142 offset:176
	s_waitcnt lgkmcnt(21)
	ds_load_u16_d16_hi v64, v142 offset:208
	;; [unrolled: 2-line block ×4, first 2 shown]
	ds_load_u16_d16_hi v114, v142 offset:880
	ds_load_u16_d16_hi v81, v142 offset:624
	;; [unrolled: 1-line block ×5, first 2 shown]
	ds_load_u16 v116, v123
	ds_load_u16 v131, v88 offset:128
	s_waitcnt lgkmcnt(28)
	ds_load_u16_d16_hi v67, v142 offset:1264
	s_waitcnt lgkmcnt(28)
	ds_load_u16_d16_hi v75, v142 offset:1296
	;; [unrolled: 2-line block ×6, first 2 shown]
	ds_load_u16_d16_hi v77, v142 offset:2000
	ds_load_u16_d16_hi v85, v142 offset:2032
	ds_load_u16 v89, v91 offset:96
	ds_load_u16 v58, v92 offset:32
	;; [unrolled: 1-line block ×4, first 2 shown]
	ds_load_u16 v111, v94
	ds_load_u16 v63, v94 offset:32
	ds_load_u16 v103, v94 offset:64
	;; [unrolled: 1-line block ×3, first 2 shown]
	ds_load_u16 v107, v124
	ds_load_u16 v122, v92 offset:128
	ds_load_u16 v106, v92
	ds_load_u16 v121, v91 offset:128
	ds_load_u16 v127, v94 offset:128
	ds_load_u16 v104, v144
	ds_load_u16 v56, v144 offset:32
	ds_load_u16 v96, v144 offset:64
	;; [unrolled: 1-line block ×12, first 2 shown]
	s_waitcnt lgkmcnt(21)
	ds_load_u16_d16_hi v111, v144 offset:2640
	s_waitcnt lgkmcnt(21)
	ds_load_u16_d16_hi v63, v144 offset:2672
	;; [unrolled: 2-line block ×4, first 2 shown]
	ds_load_u16_d16_hi v97, v144 offset:592
	s_waitcnt lgkmcnt(19)
	ds_load_u16_d16_hi v121, v144 offset:656
	s_waitcnt lgkmcnt(19)
	ds_load_u16_d16_hi v127, v144 offset:2768
	ds_load_u16_d16_hi v105, v144 offset:528
	ds_load_u16 v120, v144 offset:128
	s_waitcnt lgkmcnt(21)
	ds_load_u16_d16_hi v104, v144 offset:176
	s_waitcnt lgkmcnt(21)
	ds_load_u16_d16_hi v56, v144 offset:208
	;; [unrolled: 2-line block ×4, first 2 shown]
	ds_load_u16_d16_hi v106, v144 offset:880
	ds_load_u16_d16_hi v89, v144 offset:624
	ds_load_u16 v117, v108
	ds_load_u16 v132, v123 offset:128
	ds_load_u16_d16_hi v58, v144 offset:912
	ds_load_u16_d16_hi v98, v144 offset:944
	;; [unrolled: 1-line block ×3, first 2 shown]
	ds_load_u16 v108, v150
	ds_load_u16 v123, v124 offset:128
	s_waitcnt lgkmcnt(30)
	ds_load_u16_d16_hi v59, v144 offset:1264
	s_waitcnt lgkmcnt(30)
	ds_load_u16_d16_hi v99, v144 offset:1296
	;; [unrolled: 2-line block ×6, first 2 shown]
	ds_load_u16_d16_hi v101, v144 offset:2000
	ds_load_u16_d16_hi v93, v144 offset:2032
	ds_load_u16 v109, v109
	ds_load_u16 v124, v150 offset:128
	ds_load_u16_d16_hi v65, v142 offset:560
	ds_load_u16_d16_hi v128, v142 offset:304
	;; [unrolled: 1-line block ×4, first 2 shown]
	s_waitcnt lgkmcnt(20)
	ds_load_u16_d16_hi v117, v142 offset:1936
	s_waitcnt lgkmcnt(20)
	ds_load_u16_d16_hi v132, v142 offset:1712
	ds_load_u16_d16_hi v116, v142 offset:1584
	;; [unrolled: 1-line block ×13, first 2 shown]
	s_waitcnt lgkmcnt(19)
	ds_load_u16_d16_hi v109, v144 offset:1936
	s_waitcnt lgkmcnt(19)
	ds_load_u16_d16_hi v124, v144 offset:1712
	ds_load_u16_d16_hi v108, v144 offset:1584
	;; [unrolled: 1-line block ×9, first 2 shown]
	ds_bpermute_b32 v142, v141, v147
	v_cvt_f16_f32_e64 v144, v51
	v_cndmask_b32_e32 v51, v139, v149, vcc_lo
	v_cndmask_b32_e64 v139, v148, v149, s0
	v_cvt_f16_f32_e64 v148, v52
	v_cmp_gt_u32_e64 s0, 16, v236
	v_pack_b32_f16 v52, v138, v144
	v_cvt_f16_f32_e64 v149, v51
	v_cvt_f16_f32_e64 v139, v139
	v_pack_b32_f16 v51, v55, v137
	v_pack_b32_f16 v54, v148, v54
	s_waitcnt lgkmcnt(0)
	s_barrier
	v_pack_b32_f16 v55, v149, v139
	buffer_gl0_inv
	s_and_saveexec_b32 s1, s0
	s_cbranch_execz .LBB9_374
; %bb.373:
	v_or_b32_e32 v136, v140, v236
	v_add_f32_e32 v137, v147, v142
	s_delay_alu instid0(VALU_DEP_2)
	v_mad_i32_i24 v136, 0xb0, v136, 0
	ds_store_2addr_b32 v136, v146, v137 offset0:40 offset1:41
.LBB9_374:
	s_or_b32 exec_lo, exec_lo, s1
	v_wmma_f32_16x16x16_f16 v[32:39], v[112:119], v[40:47], v[32:39]
	v_wmma_f32_16x16x16_f16 v[24:31], v[64:71], v[40:47], v[24:31]
	;; [unrolled: 1-line block ×5, first 2 shown]
	v_cmp_eq_u32_e32 vcc_lo, 0, v223
	v_cmp_eq_u32_e64 s1, 1, v223
	s_waitcnt lgkmcnt(0)
	s_barrier
	buffer_gl0_inv
	s_and_saveexec_b32 s2, s1
	s_delay_alu instid0(SALU_CYCLE_1)
	s_xor_b32 s1, exec_lo, s2
	s_cbranch_execz .LBB9_376
; %bb.375:
	s_barrier
	buffer_gl0_inv
                                        ; implicit-def: $vgpr141
                                        ; implicit-def: $vgpr222
.LBB9_376:
	s_or_saveexec_b32 s2, s1
	v_wmma_f32_16x16x16_f16 v[32:39], v[104:111], v[48:55], v[32:39]
	v_wmma_f32_16x16x16_f16 v[24:31], v[56:63], v[48:55], v[24:31]
	;; [unrolled: 1-line block ×5, first 2 shown]
	s_xor_b32 exec_lo, exec_lo, s2
	s_cbranch_execz .LBB9_380
; %bb.377:
	v_add_nc_u32_e32 v40, v140, v236
	s_delay_alu instid0(VALU_DEP_1)
	v_mad_i32_i24 v44, 0xb0, v40, 0
	ds_load_b64 v[42:43], v44 offset:160
	s_waitcnt lgkmcnt(0)
	s_barrier
	buffer_gl0_inv
	v_max_f32_e32 v41, v42, v42
	ds_bpermute_b32 v40, v141, v42
	s_waitcnt lgkmcnt(0)
	v_max_f32_e32 v40, v40, v40
	s_delay_alu instid0(VALU_DEP_1) | instskip(NEXT) | instid1(VALU_DEP_1)
	v_max_f32_e32 v40, v41, v40
	v_sub_f32_e32 v41, v42, v40
	s_delay_alu instid0(VALU_DEP_1) | instskip(SKIP_1) | instid1(VALU_DEP_2)
	v_mul_f32_e32 v42, 0x3fb8aa3b, v41
	v_cmp_ngt_f32_e64 s1, 0xc2ce8ed0, v41
	v_fma_f32 v45, 0x3fb8aa3b, v41, -v42
	v_rndne_f32_e32 v46, v42
	s_delay_alu instid0(VALU_DEP_1) | instskip(NEXT) | instid1(VALU_DEP_1)
	v_dual_fmamk_f32 v45, v41, 0x32a5705f, v45 :: v_dual_sub_f32 v42, v42, v46
	v_add_f32_e32 v42, v42, v45
	v_cvt_i32_f32_e32 v45, v46
	s_delay_alu instid0(VALU_DEP_2) | instskip(SKIP_2) | instid1(VALU_DEP_1)
	v_exp_f32_e32 v42, v42
	s_waitcnt_depctr 0xfff
	v_ldexp_f32 v42, v42, v45
	v_cndmask_b32_e64 v42, 0, v42, s1
	v_cmp_nlt_f32_e64 s1, 0x42b17218, v41
	s_delay_alu instid0(VALU_DEP_1) | instskip(SKIP_1) | instid1(VALU_DEP_1)
	v_cndmask_b32_e64 v41, 0x7f800000, v42, s1
	s_mov_b32 s1, 0
	v_mul_f32_e32 v42, v43, v41
	ds_bpermute_b32 v42, v141, v42
	s_waitcnt lgkmcnt(0)
	v_fmac_f32_e32 v42, v43, v41
	ds_store_b64 v44, v[41:42] offset:160
	s_and_saveexec_b32 s3, s0
	s_cbranch_execz .LBB9_379
; %bb.378:
	v_or_b32_e32 v41, v222, v236
	s_add_i32 s0, s36, s15
	s_delay_alu instid0(SALU_CYCLE_1) | instskip(NEXT) | instid1(SALU_CYCLE_1)
	s_lshl_b32 s0, s0, 5
	s_lshl_b64 s[0:1], s[0:1], 3
	s_delay_alu instid0(VALU_DEP_1)
	v_lshlrev_b32_e32 v43, 3, v41
	v_mov_b32_e32 v41, v42
	s_add_u32 s0, s30, s0
	s_addc_u32 s1, s31, s1
	global_store_b64 v43, v[40:41], s[0:1]
.LBB9_379:
	s_or_b32 exec_lo, exec_lo, s3
.LBB9_380:
	s_delay_alu instid0(SALU_CYCLE_1)
	s_or_b32 exec_lo, exec_lo, s2
	v_or_b32_e32 v40, v140, v143
	v_cvt_f16_f32_e32 v32, v32
	v_cvt_f16_f32_e32 v24, v24
	;; [unrolled: 1-line block ×4, first 2 shown]
	v_mul_i32_i24_e32 v40, 0xb0, v40
	v_cvt_f16_f32_e32 v0, v0
	v_cvt_f16_f32_e32 v33, v33
	;; [unrolled: 1-line block ×4, first 2 shown]
	v_add3_u32 v40, 0, v40, v145
	v_cvt_f16_f32_e32 v9, v9
	v_cvt_f16_f32_e32 v1, v1
	;; [unrolled: 1-line block ×7, first 2 shown]
	s_mov_b32 s1, 0
	v_cvt_f16_f32_e32 v35, v35
	v_cvt_f16_f32_e32 v27, v27
	;; [unrolled: 1-line block ×13, first 2 shown]
	ds_store_b16 v40, v32
	ds_store_b16 v40, v33 offset:4
	ds_store_b16 v40, v34 offset:8
	ds_store_b16 v40, v35 offset:12
	ds_store_b16 v40, v36 offset:16
	ds_store_b16 v40, v37 offset:20
	ds_store_b16 v40, v38 offset:24
	ds_store_b16 v40, v39 offset:28
	v_cvt_f16_f32_e32 v29, v29
	v_cvt_f16_f32_e32 v30, v30
	v_cvt_f16_f32_e32 v31, v31
	ds_store_b16 v40, v24 offset:32
	ds_store_b16 v40, v25 offset:36
	ds_store_b16 v40, v26 offset:40
	ds_store_b16 v40, v27 offset:44
	ds_store_b16 v40, v28 offset:48
	ds_store_b16 v40, v29 offset:52
	ds_store_b16 v40, v30 offset:56
	ds_store_b16 v40, v31 offset:60
	v_cvt_f16_f32_e32 v21, v21
	v_cvt_f16_f32_e32 v22, v22
	v_cvt_f16_f32_e32 v23, v23
	ds_store_b16 v40, v16 offset:64
	;; [unrolled: 11-line block ×4, first 2 shown]
	ds_store_b16 v40, v1 offset:132
	ds_store_b16 v40, v2 offset:136
	;; [unrolled: 1-line block ×7, first 2 shown]
	s_waitcnt lgkmcnt(0)
	s_waitcnt_vscnt null, 0x0
	s_barrier
	buffer_gl0_inv
	s_and_saveexec_b32 s2, vcc_lo
	s_cbranch_execz .LBB9_382
; %bb.381:
	v_lshrrev_b32_e32 v20, 1, v235
	v_bfe_u32 v21, v235, 1, 4
	v_lshlrev_b32_e32 v22, 2, v236
	s_mul_i32 s0, s15, 0x500
	s_delay_alu instid0(SALU_CYCLE_1)
	s_lshl_b64 s[4:5], s[0:1], 3
	v_add_nc_u32_e32 v0, 2, v20
	v_and_or_b32 v1, 0x3e0, v235, v21
	v_add_nc_u32_e32 v3, 4, v20
	v_add_nc_u32_e32 v4, 6, v20
	;; [unrolled: 1-line block ×3, first 2 shown]
	v_lshlrev_b32_e32 v2, 1, v0
	v_and_b32_e32 v0, 15, v0
	v_mad_u32_u24 v1, 0xb0, v1, 0
	v_lshlrev_b32_e32 v8, 1, v4
	v_and_b32_e32 v10, 15, v4
	v_mul_u32_u24_e32 v16, 40, v20
	v_and_or_b32 v0, 0x7e0, v2, v0
	v_lshlrev_b32_e32 v2, 1, v3
	v_and_b32_e32 v3, 15, v3
	v_add_nc_u32_e32 v5, 0xa0, v1
	v_add_nc_u32_e32 v6, v1, v22
	v_mad_u32_u24 v7, 0xb0, v0, 0
	v_and_or_b32 v8, 0x7e0, v8, v10
	v_and_or_b32 v9, 0x7e0, v2, v3
	ds_load_2addr_stride64_b32 v[0:1], v5 offset1:11
	ds_load_2addr_stride64_b32 v[2:3], v6 offset1:11
	v_add_lshl_u32 v24, v16, v236, 3
	v_add_nc_u32_e32 v5, 0xa0, v7
	v_add_nc_u32_e32 v6, v7, v22
	v_mad_u32_u24 v9, 0xb0, v9, 0
	ds_load_2addr_stride64_b32 v[4:5], v5 offset1:11
	ds_load_2addr_stride64_b32 v[6:7], v6 offset1:11
	v_mad_u32_u24 v12, 0xb0, v8, 0
	v_add_nc_u32_e32 v10, 0xa0, v9
	v_add_nc_u32_e32 v11, v9, v22
	ds_load_2addr_stride64_b32 v[8:9], v10 offset1:11
	ds_load_2addr_stride64_b32 v[10:11], v11 offset1:11
	v_add_nc_u32_e32 v13, 0xa0, v12
	v_add_nc_u32_e32 v14, v12, v22
	ds_load_2addr_stride64_b32 v[12:13], v13 offset1:11
	ds_load_2addr_stride64_b32 v[14:15], v14 offset1:11
	s_waitcnt lgkmcnt(6)
	v_fma_mix_f32 v18, v0, v2, 0 op_sel_hi:[0,1,0]
	v_fma_mix_f32 v2, v0, v2, 0 op_sel:[0,1,0] op_sel_hi:[0,1,0]
	s_add_u32 s3, s30, s4
	s_addc_u32 s4, s31, s5
	s_lshl_b32 s0, s36, 6
	v_fma_mix_f32 v0, v1, v3, v18 op_sel_hi:[0,1,0]
	v_fma_mix_f32 v1, v1, v3, v2 op_sel:[0,1,0] op_sel_hi:[0,1,0]
	v_lshlrev_b32_e32 v3, 1, v17
	v_and_b32_e32 v17, 15, v17
	s_waitcnt lgkmcnt(4)
	v_fma_mix_f32 v2, v4, v6, 0 op_sel_hi:[0,1,0]
	v_fma_mix_f32 v4, v4, v6, 0 op_sel:[0,1,0] op_sel_hi:[0,1,0]
	v_add_nc_u32_e32 v6, 10, v20
	s_lshl_b64 s[0:1], s[0:1], 3
	v_and_or_b32 v3, 0x7e0, v3, v17
	s_waitcnt lgkmcnt(2)
	v_fma_mix_f32 v16, v8, v10, 0 op_sel_hi:[0,1,0]
	v_fma_mix_f32 v8, v8, v10, 0 op_sel:[0,1,0] op_sel_hi:[0,1,0]
	v_lshlrev_b32_e32 v10, 1, v6
	v_and_b32_e32 v6, 15, v6
	v_mad_u32_u24 v17, 0xb0, v3, 0
	v_fma_mix_f32 v2, v5, v7, v2 op_sel_hi:[0,1,0]
	v_fma_mix_f32 v3, v5, v7, v4 op_sel:[0,1,0] op_sel_hi:[0,1,0]
	v_fma_mix_f32 v5, v9, v11, v8 op_sel:[0,1,0] op_sel_hi:[0,1,0]
	v_and_or_b32 v6, 0x7e0, v10, v6
	v_add_nc_u32_e32 v7, 0xa0, v17
	v_add_nc_u32_e32 v10, 12, v20
	;; [unrolled: 1-line block ×3, first 2 shown]
	v_fma_mix_f32 v4, v9, v11, v16 op_sel_hi:[0,1,0]
	v_mad_u32_u24 v16, 0xb0, v6, 0
	ds_load_2addr_stride64_b32 v[6:7], v7 offset1:11
	ds_load_2addr_stride64_b32 v[8:9], v8 offset1:11
	v_lshlrev_b32_e32 v17, 1, v10
	v_and_b32_e32 v18, 15, v10
	s_waitcnt lgkmcnt(2)
	v_fma_mix_f32 v11, v12, v14, 0 op_sel_hi:[0,1,0]
	v_fma_mix_f32 v12, v12, v14, 0 op_sel:[0,1,0] op_sel_hi:[0,1,0]
	v_add_nc_u32_e32 v19, 0xa0, v16
	v_add_nc_u32_e32 v23, v16, v22
	v_and_or_b32 v14, 0x7e0, v17, v18
	v_fma_mix_f32 v10, v13, v15, v11 op_sel_hi:[0,1,0]
	v_fma_mix_f32 v11, v13, v15, v12 op_sel:[0,1,0] op_sel_hi:[0,1,0]
	s_add_u32 s0, s3, s0
	s_addc_u32 s1, s4, s1
	v_mad_u32_u24 v13, 0xb0, v14, 0
	v_add_nc_u32_e32 v14, 14, v20
	v_add_nc_u32_e32 v12, 0x780, v24
	ds_load_2addr_stride64_b32 v[16:17], v19 offset1:11
	ds_load_2addr_stride64_b32 v[18:19], v23 offset1:11
	s_clause 0x3
	global_store_b64 v24, v[0:1], s[0:1]
	global_store_b64 v24, v[2:3], s[0:1] offset:640
	global_store_b64 v24, v[4:5], s[0:1] offset:1280
	global_store_b64 v12, v[10:11], s[0:1]
	v_add_nc_u32_e32 v0, 0xa0, v13
	v_lshlrev_b32_e32 v4, 1, v14
	v_and_b32_e32 v5, 15, v14
	v_add_nc_u32_e32 v2, v13, v22
	s_waitcnt lgkmcnt(2)
	v_fma_mix_f32 v10, v6, v8, 0 op_sel_hi:[0,1,0]
	v_fma_mix_f32 v6, v6, v8, 0 op_sel:[0,1,0] op_sel_hi:[0,1,0]
	ds_load_2addr_stride64_b32 v[0:1], v0 offset1:11
	ds_load_2addr_stride64_b32 v[2:3], v2 offset1:11
	v_and_or_b32 v8, 0x7e0, v4, v5
	v_fma_mix_f32 v4, v7, v9, v10 op_sel_hi:[0,1,0]
	v_fma_mix_f32 v5, v7, v9, v6 op_sel:[0,1,0] op_sel_hi:[0,1,0]
	v_add_nc_u32_e32 v9, 32, v235
	v_add_nc_u32_e32 v13, 18, v20
	v_mad_u32_u24 v8, 0xb0, v8, 0
	v_add_nc_u32_e32 v23, 20, v20
	v_add_nc_u32_e32 v26, 28, v20
	v_and_or_b32 v12, 0x7e0, v9, v21
	v_lshlrev_b32_e32 v14, 1, v13
	v_add_nc_u32_e32 v10, 0xa0, v8
	v_add_nc_u32_e32 v11, v8, v22
	ds_load_2addr_stride64_b32 v[8:9], v10 offset1:11
	ds_load_2addr_stride64_b32 v[10:11], v11 offset1:11
	v_mad_u32_u24 v12, 0xb0, v12, 0
	v_and_b32_e32 v13, 15, v13
	s_waitcnt lgkmcnt(4)
	v_fma_mix_f32 v6, v16, v18, 0 op_sel_hi:[0,1,0]
	v_fma_mix_f32 v7, v16, v18, 0 op_sel:[0,1,0] op_sel_hi:[0,1,0]
	s_waitcnt lgkmcnt(2)
	v_fma_mix_f32 v15, v0, v2, 0 op_sel_hi:[0,1,0]
	v_add_nc_u32_e32 v16, 0xa0, v12
	v_and_or_b32 v21, 0x7e0, v14, v13
	v_fma_mix_f32 v6, v17, v19, v6 op_sel_hi:[0,1,0]
	v_fma_mix_f32 v7, v17, v19, v7 op_sel:[0,1,0] op_sel_hi:[0,1,0]
	v_add_nc_u32_e32 v17, v12, v22
	v_fma_mix_f32 v2, v0, v2, 0 op_sel:[0,1,0] op_sel_hi:[0,1,0]
	v_fma_mix_f32 v0, v1, v3, v15 op_sel_hi:[0,1,0]
	ds_load_2addr_stride64_b32 v[12:13], v16 offset1:11
	ds_load_2addr_stride64_b32 v[14:15], v17 offset1:11
	v_mad_u32_u24 v16, 0xb0, v21, 0
	v_lshlrev_b32_e32 v17, 1, v23
	v_and_b32_e32 v21, 15, v23
	v_fma_mix_f32 v1, v1, v3, v2 op_sel:[0,1,0] op_sel_hi:[0,1,0]
	v_add_nc_u32_e32 v18, 0xa00, v24
	v_add_nc_u32_e32 v2, 0xa0, v16
	;; [unrolled: 1-line block ×3, first 2 shown]
	v_and_or_b32 v21, 0x7e0, v17, v21
	s_waitcnt lgkmcnt(2)
	v_fma_mix_f32 v25, v8, v10, 0 op_sel_hi:[0,1,0]
	v_fma_mix_f32 v8, v8, v10, 0 op_sel:[0,1,0] op_sel_hi:[0,1,0]
	ds_load_2addr_stride64_b32 v[2:3], v2 offset1:11
	ds_load_2addr_stride64_b32 v[16:17], v16 offset1:11
	v_add_nc_u32_e32 v19, 0xc80, v24
	v_add_nc_u32_e32 v23, 0xf00, v24
	v_mad_u32_u24 v10, 0xb0, v21, 0
	s_clause 0x2
	global_store_b64 v18, v[4:5], s[0:1]
	global_store_b64 v19, v[6:7], s[0:1]
	;; [unrolled: 1-line block ×3, first 2 shown]
	v_fma_mix_f32 v0, v9, v11, v25 op_sel_hi:[0,1,0]
	v_fma_mix_f32 v1, v9, v11, v8 op_sel:[0,1,0] op_sel_hi:[0,1,0]
	v_add_nc_u32_e32 v9, 22, v20
	v_add_nc_u32_e32 v4, 0xa0, v10
	;; [unrolled: 1-line block ×3, first 2 shown]
	s_waitcnt lgkmcnt(2)
	v_fma_mix_f32 v8, v12, v14, 0 op_sel_hi:[0,1,0]
	v_fma_mix_f32 v10, v12, v14, 0 op_sel:[0,1,0] op_sel_hi:[0,1,0]
	v_lshlrev_b32_e32 v11, 1, v9
	v_and_b32_e32 v12, 15, v9
	ds_load_2addr_stride64_b32 v[4:5], v4 offset1:11
	ds_load_2addr_stride64_b32 v[6:7], v6 offset1:11
	v_add_nc_u32_e32 v14, 24, v20
	v_fma_mix_f32 v8, v13, v15, v8 op_sel_hi:[0,1,0]
	v_fma_mix_f32 v9, v13, v15, v10 op_sel:[0,1,0] op_sel_hi:[0,1,0]
	v_and_or_b32 v11, 0x7e0, v11, v12
	s_waitcnt lgkmcnt(2)
	v_fma_mix_f32 v10, v2, v16, 0 op_sel_hi:[0,1,0]
	v_lshlrev_b32_e32 v12, 1, v14
	v_and_b32_e32 v14, 15, v14
	v_fma_mix_f32 v13, v2, v16, 0 op_sel:[0,1,0] op_sel_hi:[0,1,0]
	v_mad_u32_u24 v15, 0xb0, v11, 0
	v_add_nc_u32_e32 v11, 26, v20
	v_fma_mix_f32 v2, v3, v17, v10 op_sel_hi:[0,1,0]
	v_and_or_b32 v10, 0x7e0, v12, v14
	v_lshlrev_b32_e32 v27, 1, v26
	v_and_b32_e32 v26, 15, v26
	v_lshlrev_b32_e32 v14, 1, v11
	v_and_b32_e32 v16, 15, v11
	v_add_nc_u32_e32 v12, 0xa0, v15
	v_fma_mix_f32 v3, v3, v17, v13 op_sel:[0,1,0] op_sel_hi:[0,1,0]
	v_mad_u32_u24 v13, 0xb0, v10, 0
	s_waitcnt lgkmcnt(0)
	v_fma_mix_f32 v18, v4, v6, 0 op_sel_hi:[0,1,0]
	v_and_or_b32 v19, 0x7e0, v14, v16
	v_and_or_b32 v26, 0x7e0, v27, v26
	ds_load_2addr_stride64_b32 v[10:11], v12 offset1:11
	v_add_nc_u32_e32 v12, v15, v22
	v_add_nc_u32_e32 v15, 0xa0, v13
	v_mad_u32_u24 v19, 0xb0, v19, 0
	v_add_nc_u32_e32 v17, v13, v22
	v_fma_mix_f32 v6, v4, v6, 0 op_sel:[0,1,0] op_sel_hi:[0,1,0]
	v_add_nc_u32_e32 v21, 0x1180, v24
	v_fma_mix_f32 v4, v5, v7, v18 op_sel_hi:[0,1,0]
	v_add_nc_u32_e32 v18, 0xa0, v19
	v_mad_u32_u24 v26, 0xb0, v26, 0
	v_add_nc_u32_e32 v23, 0x1400, v24
	ds_load_2addr_stride64_b32 v[12:13], v12 offset1:11
	ds_load_2addr_stride64_b32 v[14:15], v15 offset1:11
	;; [unrolled: 1-line block ×3, first 2 shown]
	v_add_nc_u32_e32 v19, v19, v22
	v_add_nc_u32_e32 v25, 0x1680, v24
	v_fma_mix_f32 v5, v5, v7, v6 op_sel:[0,1,0] op_sel_hi:[0,1,0]
	v_add_nc_u32_e32 v27, 0x1900, v24
	ds_load_2addr_stride64_b32 v[6:7], v18 offset1:11
	ds_load_2addr_stride64_b32 v[18:19], v19 offset1:11
	s_clause 0x3
	global_store_b64 v21, v[0:1], s[0:1]
	global_store_b64 v23, v[8:9], s[0:1]
	;; [unrolled: 1-line block ×4, first 2 shown]
	v_add_nc_u32_e32 v0, 0xa0, v26
	v_add_nc_u32_e32 v2, v26, v22
	ds_load_2addr_stride64_b32 v[0:1], v0 offset1:11
	ds_load_2addr_stride64_b32 v[2:3], v2 offset1:11
	v_lshl_add_u32 v25, v235, 1, v225
	v_add_nc_u32_e32 v26, 0x2080, v24
	v_add_nc_u32_e32 v27, 0x2300, v24
	s_waitcnt lgkmcnt(6)
	v_fma_mix_f32 v4, v10, v12, 0 op_sel_hi:[0,1,0]
	v_fma_mix_f32 v5, v10, v12, 0 op_sel:[0,1,0] op_sel_hi:[0,1,0]
	s_waitcnt lgkmcnt(4)
	v_fma_mix_f32 v8, v14, v16, 0 op_sel_hi:[0,1,0]
	v_fma_mix_f32 v9, v14, v16, 0 op_sel:[0,1,0] op_sel_hi:[0,1,0]
	v_add_nc_u32_e32 v10, 0x1b80, v24
	v_fma_mix_f32 v4, v11, v13, v4 op_sel_hi:[0,1,0]
	v_fma_mix_f32 v5, v11, v13, v5 op_sel:[0,1,0] op_sel_hi:[0,1,0]
	s_waitcnt lgkmcnt(2)
	v_fma_mix_f32 v13, v6, v18, 0 op_sel_hi:[0,1,0]
	v_fma_mix_f32 v6, v6, v18, 0 op_sel:[0,1,0] op_sel_hi:[0,1,0]
	v_fma_mix_f32 v8, v15, v17, v8 op_sel_hi:[0,1,0]
	v_fma_mix_f32 v9, v15, v17, v9 op_sel:[0,1,0] op_sel_hi:[0,1,0]
	v_add_nc_u32_e32 v12, 0x1e00, v24
	v_add_nc_u32_e32 v11, 30, v20
	s_clause 0x1
	global_store_b64 v10, v[4:5], s[0:1]
	global_store_b64 v12, v[8:9], s[0:1]
	v_fma_mix_f32 v4, v7, v19, v13 op_sel_hi:[0,1,0]
	v_fma_mix_f32 v5, v7, v19, v6 op_sel:[0,1,0] op_sel_hi:[0,1,0]
	s_waitcnt lgkmcnt(0)
	v_fma_mix_f32 v7, v0, v2, 0 op_sel_hi:[0,1,0]
	v_lshlrev_b32_e32 v14, 1, v11
	v_and_b32_e32 v11, 15, v11
	v_fma_mix_f32 v2, v0, v2, 0 op_sel:[0,1,0] op_sel_hi:[0,1,0]
	v_lshlrev_b32_e32 v8, 1, v25
	v_fma_mix_f32 v0, v1, v3, v7 op_sel_hi:[0,1,0]
	v_add_nc_u32_e32 v7, 8, v25
	v_and_b32_e32 v9, 15, v25
	v_and_or_b32 v6, 0x7e0, v14, v11
	v_fma_mix_f32 v1, v1, v3, v2 op_sel:[0,1,0] op_sel_hi:[0,1,0]
	v_lshlrev_b32_e32 v16, 2, v224
	v_lshlrev_b32_e32 v10, 1, v7
	v_and_b32_e32 v11, 15, v7
	v_and_or_b32 v3, 0x1fe0, v8, v9
	v_mad_u32_u24 v6, 0xb0, v6, 0
	v_add_nc_u32_e32 v8, 32, v8
	v_add_nc_u32_e32 v24, 0x2580, v24
	v_and_or_b32 v10, 0x3fe0, v10, v11
	v_add_nc_u32_e32 v11, 24, v25
	v_mad_u32_u24 v12, 0xb0, v3, 0
	v_add_nc_u32_e32 v2, 0xa0, v6
	v_and_or_b32 v15, 0x3fe0, v8, v9
	v_mad_u32_u24 v10, 0xb0, v10, 0
	v_lshlrev_b32_e32 v14, 1, v11
	v_and_b32_e32 v11, 15, v11
	v_add_nc_u32_e32 v13, 0xa0, v12
	v_add_nc_u32_e32 v6, v6, v22
	;; [unrolled: 1-line block ×3, first 2 shown]
	ds_load_2addr_stride64_b32 v[2:3], v2 offset1:11
	ds_load_2addr_stride64_b32 v[6:7], v6 offset1:11
	v_and_or_b32 v11, 0x3fe0, v14, v11
	ds_load_2addr_stride64_b32 v[8:9], v13 offset1:11
	v_add_nc_u32_e32 v13, v10, v16
	v_mad_u32_u24 v17, 0xb0, v15, 0
	v_add_nc_u32_e32 v12, 0x80, v12
	v_mad_u32_u24 v18, 0xb0, v11, 0
	v_add_nc_u32_e32 v14, 0xa0, v10
	v_add_nc_u32_e32 v15, 0x80, v13
	;; [unrolled: 1-line block ×3, first 2 shown]
	ds_load_2addr_stride64_b32 v[10:11], v12 offset1:11
	v_add_nc_u32_e32 v16, v18, v16
	ds_load_2addr_stride64_b32 v[12:13], v14 offset1:11
	ds_load_2addr_stride64_b32 v[14:15], v15 offset1:11
	v_add_nc_u32_e32 v17, 0xa0, v17
	v_add_nc_u32_e32 v19, 0x80, v19
	v_add_nc_u32_e32 v20, 0xa0, v18
	v_add_nc_u32_e32 v22, 0x80, v16
	ds_load_2addr_stride64_b32 v[16:17], v17 offset1:11
	ds_load_2addr_stride64_b32 v[18:19], v19 offset1:11
	;; [unrolled: 1-line block ×4, first 2 shown]
	s_clause 0x1
	global_store_b64 v26, v[4:5], s[0:1]
	global_store_b64 v27, v[0:1], s[0:1]
	v_mul_u32_u24_e32 v4, 40, v25
	s_waitcnt lgkmcnt(8)
	v_fma_mix_f32 v28, v2, v6, 0 op_sel_hi:[0,1,0]
	v_fma_mix_f32 v2, v2, v6, 0 op_sel:[0,1,0] op_sel_hi:[0,1,0]
	s_delay_alu instid0(VALU_DEP_3) | instskip(NEXT) | instid1(VALU_DEP_3)
	v_or_b32_e32 v4, v4, v224
	v_fma_mix_f32 v0, v3, v7, v28 op_sel_hi:[0,1,0]
	s_delay_alu instid0(VALU_DEP_3)
	v_fma_mix_f32 v1, v3, v7, v2 op_sel:[0,1,0] op_sel_hi:[0,1,0]
	s_waitcnt lgkmcnt(6)
	v_fma_mix_f32 v2, v8, v10, 0 op_sel_hi:[0,1,0]
	v_fma_mix_f32 v3, v8, v10, 0 op_sel:[0,1,0] op_sel_hi:[0,1,0]
	s_waitcnt lgkmcnt(4)
	v_fma_mix_f32 v5, v12, v14, 0 op_sel_hi:[0,1,0]
	v_fma_mix_f32 v6, v12, v14, 0 op_sel:[0,1,0] op_sel_hi:[0,1,0]
	v_lshlrev_b32_e32 v10, 3, v4
	v_fma_mix_f32 v2, v9, v11, v2 op_sel_hi:[0,1,0]
	v_fma_mix_f32 v3, v9, v11, v3 op_sel:[0,1,0] op_sel_hi:[0,1,0]
	v_fma_mix_f32 v4, v13, v15, v5 op_sel_hi:[0,1,0]
	v_fma_mix_f32 v5, v13, v15, v6 op_sel:[0,1,0] op_sel_hi:[0,1,0]
	s_waitcnt lgkmcnt(2)
	v_fma_mix_f32 v6, v16, v18, 0 op_sel_hi:[0,1,0]
	v_fma_mix_f32 v7, v16, v18, 0 op_sel:[0,1,0] op_sel_hi:[0,1,0]
	s_waitcnt lgkmcnt(0)
	v_fma_mix_f32 v8, v20, v22, 0 op_sel_hi:[0,1,0]
	v_fma_mix_f32 v9, v20, v22, 0 op_sel:[0,1,0] op_sel_hi:[0,1,0]
	v_add_nc_u32_e32 v11, 0xa00, v10
	v_fma_mix_f32 v6, v17, v19, v6 op_sel_hi:[0,1,0]
	v_fma_mix_f32 v7, v17, v19, v7 op_sel:[0,1,0] op_sel_hi:[0,1,0]
	v_add_nc_u32_e32 v12, 0x1400, v10
	;; [unrolled: 3-line block ×3, first 2 shown]
	s_clause 0x4
	global_store_b64 v24, v[0:1], s[0:1]
	global_store_b64 v10, v[2:3], s[0:1] offset:256
	global_store_b64 v11, v[4:5], s[0:1] offset:256
	;; [unrolled: 1-line block ×4, first 2 shown]
.LBB9_382:
	s_or_b32 exec_lo, exec_lo, s2
	s_waitcnt_vscnt null, 0x0
	s_barrier
	buffer_gl0_inv
	s_endpgm
	.section	.rodata,"a",@progbits
	.p2align	6, 0x0
	.amdhsa_kernel _ZL18flash_attn_ext_f16ILi80ELi80ELi8ELi4ELb0ELb0EEvPKcS1_S1_S1_S1_PKiPfP15HIP_vector_typeIfLj2EEffffjfiS5_IjLj3EEiiiiiiiiiiiliiliiiiil
		.amdhsa_group_segment_fixed_size 0
		.amdhsa_private_segment_fixed_size 584
		.amdhsa_kernarg_size 464
		.amdhsa_user_sgpr_count 15
		.amdhsa_user_sgpr_dispatch_ptr 0
		.amdhsa_user_sgpr_queue_ptr 0
		.amdhsa_user_sgpr_kernarg_segment_ptr 1
		.amdhsa_user_sgpr_dispatch_id 0
		.amdhsa_user_sgpr_private_segment_size 0
		.amdhsa_wavefront_size32 1
		.amdhsa_uses_dynamic_stack 0
		.amdhsa_enable_private_segment 1
		.amdhsa_system_sgpr_workgroup_id_x 1
		.amdhsa_system_sgpr_workgroup_id_y 0
		.amdhsa_system_sgpr_workgroup_id_z 0
		.amdhsa_system_sgpr_workgroup_info 0
		.amdhsa_system_vgpr_workitem_id 1
		.amdhsa_next_free_vgpr 256
		.amdhsa_next_free_sgpr 105
		.amdhsa_reserve_vcc 1
		.amdhsa_float_round_mode_32 0
		.amdhsa_float_round_mode_16_64 0
		.amdhsa_float_denorm_mode_32 3
		.amdhsa_float_denorm_mode_16_64 3
		.amdhsa_dx10_clamp 1
		.amdhsa_ieee_mode 1
		.amdhsa_fp16_overflow 0
		.amdhsa_workgroup_processor_mode 1
		.amdhsa_memory_ordered 1
		.amdhsa_forward_progress 0
		.amdhsa_shared_vgpr_count 0
		.amdhsa_exception_fp_ieee_invalid_op 0
		.amdhsa_exception_fp_denorm_src 0
		.amdhsa_exception_fp_ieee_div_zero 0
		.amdhsa_exception_fp_ieee_overflow 0
		.amdhsa_exception_fp_ieee_underflow 0
		.amdhsa_exception_fp_ieee_inexact 0
		.amdhsa_exception_int_div_zero 0
	.end_amdhsa_kernel
	.section	.text._ZL18flash_attn_ext_f16ILi80ELi80ELi8ELi4ELb0ELb0EEvPKcS1_S1_S1_S1_PKiPfP15HIP_vector_typeIfLj2EEffffjfiS5_IjLj3EEiiiiiiiiiiiliiliiiiil,"axG",@progbits,_ZL18flash_attn_ext_f16ILi80ELi80ELi8ELi4ELb0ELb0EEvPKcS1_S1_S1_S1_PKiPfP15HIP_vector_typeIfLj2EEffffjfiS5_IjLj3EEiiiiiiiiiiiliiliiiiil,comdat
.Lfunc_end9:
	.size	_ZL18flash_attn_ext_f16ILi80ELi80ELi8ELi4ELb0ELb0EEvPKcS1_S1_S1_S1_PKiPfP15HIP_vector_typeIfLj2EEffffjfiS5_IjLj3EEiiiiiiiiiiiliiliiiiil, .Lfunc_end9-_ZL18flash_attn_ext_f16ILi80ELi80ELi8ELi4ELb0ELb0EEvPKcS1_S1_S1_S1_PKiPfP15HIP_vector_typeIfLj2EEffffjfiS5_IjLj3EEiiiiiiiiiiiliiliiiiil
                                        ; -- End function
	.section	.AMDGPU.csdata,"",@progbits
; Kernel info:
; codeLenInByte = 75424
; NumSgprs: 107
; NumVgprs: 256
; ScratchSize: 584
; MemoryBound: 0
; FloatMode: 240
; IeeeMode: 1
; LDSByteSize: 0 bytes/workgroup (compile time only)
; SGPRBlocks: 13
; VGPRBlocks: 31
; NumSGPRsForWavesPerEU: 107
; NumVGPRsForWavesPerEU: 256
; Occupancy: 5
; WaveLimiterHint : 1
; COMPUTE_PGM_RSRC2:SCRATCH_EN: 1
; COMPUTE_PGM_RSRC2:USER_SGPR: 15
; COMPUTE_PGM_RSRC2:TRAP_HANDLER: 0
; COMPUTE_PGM_RSRC2:TGID_X_EN: 1
; COMPUTE_PGM_RSRC2:TGID_Y_EN: 0
; COMPUTE_PGM_RSRC2:TGID_Z_EN: 0
; COMPUTE_PGM_RSRC2:TIDIG_COMP_CNT: 1
	.section	.text._ZL18flash_attn_ext_f16ILi80ELi80ELi8ELi4ELb1ELb0EEvPKcS1_S1_S1_S1_PKiPfP15HIP_vector_typeIfLj2EEffffjfiS5_IjLj3EEiiiiiiiiiiiliiliiiiil,"axG",@progbits,_ZL18flash_attn_ext_f16ILi80ELi80ELi8ELi4ELb1ELb0EEvPKcS1_S1_S1_S1_PKiPfP15HIP_vector_typeIfLj2EEffffjfiS5_IjLj3EEiiiiiiiiiiiliiliiiiil,comdat
	.globl	_ZL18flash_attn_ext_f16ILi80ELi80ELi8ELi4ELb1ELb0EEvPKcS1_S1_S1_S1_PKiPfP15HIP_vector_typeIfLj2EEffffjfiS5_IjLj3EEiiiiiiiiiiiliiliiiiil ; -- Begin function _ZL18flash_attn_ext_f16ILi80ELi80ELi8ELi4ELb1ELb0EEvPKcS1_S1_S1_S1_PKiPfP15HIP_vector_typeIfLj2EEffffjfiS5_IjLj3EEiiiiiiiiiiiliiliiiiil
	.p2align	8
	.type	_ZL18flash_attn_ext_f16ILi80ELi80ELi8ELi4ELb1ELb0EEvPKcS1_S1_S1_S1_PKiPfP15HIP_vector_typeIfLj2EEffffjfiS5_IjLj3EEiiiiiiiiiiiliiliiiiil,@function
_ZL18flash_attn_ext_f16ILi80ELi80ELi8ELi4ELb1ELb0EEvPKcS1_S1_S1_S1_PKiPfP15HIP_vector_typeIfLj2EEffffjfiS5_IjLj3EEiiiiiiiiiiiliiliiiiil: ; @_ZL18flash_attn_ext_f16ILi80ELi80ELi8ELi4ELb1ELb0EEvPKcS1_S1_S1_S1_PKiPfP15HIP_vector_typeIfLj2EEffffjfiS5_IjLj3EEiiiiiiiiiiiliiliiiiil
; %bb.0:
	v_mov_b32_e32 v0, 0x6cc
	s_add_u32 s8, s0, 0xd0
	s_addc_u32 s9, s1, 0
	s_mov_b32 s32, 0
	s_getpc_b64 s[0:1]
	s_add_u32 s0, s0, _ZL14no_device_codePKciS0_iS0_@rel32@lo+4
	s_addc_u32 s1, s1, _ZL14no_device_codePKciS0_iS0_@rel32@hi+12
	s_delay_alu instid0(SALU_CYCLE_1)
	s_swappc_b64 s[30:31], s[0:1]
	.section	.rodata,"a",@progbits
	.p2align	6, 0x0
	.amdhsa_kernel _ZL18flash_attn_ext_f16ILi80ELi80ELi8ELi4ELb1ELb0EEvPKcS1_S1_S1_S1_PKiPfP15HIP_vector_typeIfLj2EEffffjfiS5_IjLj3EEiiiiiiiiiiiliiliiiiil
		.amdhsa_group_segment_fixed_size 0
		.amdhsa_private_segment_fixed_size 16
		.amdhsa_kernarg_size 464
		.amdhsa_user_sgpr_count 15
		.amdhsa_user_sgpr_dispatch_ptr 0
		.amdhsa_user_sgpr_queue_ptr 0
		.amdhsa_user_sgpr_kernarg_segment_ptr 1
		.amdhsa_user_sgpr_dispatch_id 0
		.amdhsa_user_sgpr_private_segment_size 0
		.amdhsa_wavefront_size32 1
		.amdhsa_uses_dynamic_stack 0
		.amdhsa_enable_private_segment 1
		.amdhsa_system_sgpr_workgroup_id_x 1
		.amdhsa_system_sgpr_workgroup_id_y 0
		.amdhsa_system_sgpr_workgroup_id_z 0
		.amdhsa_system_sgpr_workgroup_info 0
		.amdhsa_system_vgpr_workitem_id 0
		.amdhsa_next_free_vgpr 37
		.amdhsa_next_free_sgpr 34
		.amdhsa_reserve_vcc 1
		.amdhsa_float_round_mode_32 0
		.amdhsa_float_round_mode_16_64 0
		.amdhsa_float_denorm_mode_32 3
		.amdhsa_float_denorm_mode_16_64 3
		.amdhsa_dx10_clamp 1
		.amdhsa_ieee_mode 1
		.amdhsa_fp16_overflow 0
		.amdhsa_workgroup_processor_mode 1
		.amdhsa_memory_ordered 1
		.amdhsa_forward_progress 0
		.amdhsa_shared_vgpr_count 0
		.amdhsa_exception_fp_ieee_invalid_op 0
		.amdhsa_exception_fp_denorm_src 0
		.amdhsa_exception_fp_ieee_div_zero 0
		.amdhsa_exception_fp_ieee_overflow 0
		.amdhsa_exception_fp_ieee_underflow 0
		.amdhsa_exception_fp_ieee_inexact 0
		.amdhsa_exception_int_div_zero 0
	.end_amdhsa_kernel
	.section	.text._ZL18flash_attn_ext_f16ILi80ELi80ELi8ELi4ELb1ELb0EEvPKcS1_S1_S1_S1_PKiPfP15HIP_vector_typeIfLj2EEffffjfiS5_IjLj3EEiiiiiiiiiiiliiliiiiil,"axG",@progbits,_ZL18flash_attn_ext_f16ILi80ELi80ELi8ELi4ELb1ELb0EEvPKcS1_S1_S1_S1_PKiPfP15HIP_vector_typeIfLj2EEffffjfiS5_IjLj3EEiiiiiiiiiiiliiliiiiil,comdat
.Lfunc_end10:
	.size	_ZL18flash_attn_ext_f16ILi80ELi80ELi8ELi4ELb1ELb0EEvPKcS1_S1_S1_S1_PKiPfP15HIP_vector_typeIfLj2EEffffjfiS5_IjLj3EEiiiiiiiiiiiliiliiiiil, .Lfunc_end10-_ZL18flash_attn_ext_f16ILi80ELi80ELi8ELi4ELb1ELb0EEvPKcS1_S1_S1_S1_PKiPfP15HIP_vector_typeIfLj2EEffffjfiS5_IjLj3EEiiiiiiiiiiiliiliiiiil
                                        ; -- End function
	.section	.AMDGPU.csdata,"",@progbits
; Kernel info:
; codeLenInByte = 52
; NumSgprs: 36
; NumVgprs: 37
; ScratchSize: 16
; MemoryBound: 0
; FloatMode: 240
; IeeeMode: 1
; LDSByteSize: 0 bytes/workgroup (compile time only)
; SGPRBlocks: 4
; VGPRBlocks: 4
; NumSGPRsForWavesPerEU: 36
; NumVGPRsForWavesPerEU: 37
; Occupancy: 16
; WaveLimiterHint : 1
; COMPUTE_PGM_RSRC2:SCRATCH_EN: 1
; COMPUTE_PGM_RSRC2:USER_SGPR: 15
; COMPUTE_PGM_RSRC2:TRAP_HANDLER: 0
; COMPUTE_PGM_RSRC2:TGID_X_EN: 1
; COMPUTE_PGM_RSRC2:TGID_Y_EN: 0
; COMPUTE_PGM_RSRC2:TGID_Z_EN: 0
; COMPUTE_PGM_RSRC2:TIDIG_COMP_CNT: 0
	.section	.text._ZL33flash_attn_stream_k_fixup_uniformILi80ELi8ELi4EEvPfPK15HIP_vector_typeIfLj2EEiiiiiiS1_IjLj3EES5_S5_,"axG",@progbits,_ZL33flash_attn_stream_k_fixup_uniformILi80ELi8ELi4EEvPfPK15HIP_vector_typeIfLj2EEiiiiiiS1_IjLj3EES5_S5_,comdat
	.globl	_ZL33flash_attn_stream_k_fixup_uniformILi80ELi8ELi4EEvPfPK15HIP_vector_typeIfLj2EEiiiiiiS1_IjLj3EES5_S5_ ; -- Begin function _ZL33flash_attn_stream_k_fixup_uniformILi80ELi8ELi4EEvPfPK15HIP_vector_typeIfLj2EEiiiiiiS1_IjLj3EES5_S5_
	.p2align	8
	.type	_ZL33flash_attn_stream_k_fixup_uniformILi80ELi8ELi4EEvPfPK15HIP_vector_typeIfLj2EEiiiiiiS1_IjLj3EES5_S5_,@function
_ZL33flash_attn_stream_k_fixup_uniformILi80ELi8ELi4EEvPfPK15HIP_vector_typeIfLj2EEiiiiiiS1_IjLj3EES5_S5_: ; @_ZL33flash_attn_stream_k_fixup_uniformILi80ELi8ELi4EEvPfPK15HIP_vector_typeIfLj2EEiiiiiiS1_IjLj3EES5_S5_
; %bb.0:
	s_clause 0x1
	s_load_b256 s[4:11], s[0:1], 0x1c
	s_load_b128 s[16:19], s[0:1], 0x3c
	s_waitcnt lgkmcnt(0)
	s_mul_hi_u32 s2, s7, s13
	s_delay_alu instid0(SALU_CYCLE_1) | instskip(NEXT) | instid1(SALU_CYCLE_1)
	s_add_i32 s2, s13, s2
	s_lshr_b32 s2, s2, s8
	s_delay_alu instid0(SALU_CYCLE_1) | instskip(SKIP_2) | instid1(SALU_CYCLE_1)
	s_mul_i32 s3, s2, s9
	s_load_b64 s[8:9], s[0:1], 0x10
	s_sub_i32 s3, s13, s3
	s_mul_hi_u32 s7, s3, s10
	s_delay_alu instid0(SALU_CYCLE_1) | instskip(NEXT) | instid1(SALU_CYCLE_1)
	s_add_i32 s7, s3, s7
	s_lshr_b32 s7, s7, s11
	s_delay_alu instid0(SALU_CYCLE_1) | instskip(NEXT) | instid1(SALU_CYCLE_1)
	s_mul_i32 s10, s7, s16
	s_sub_i32 s3, s3, s10
	s_delay_alu instid0(SALU_CYCLE_1) | instskip(NEXT) | instid1(SALU_CYCLE_1)
	s_mul_hi_u32 s10, s3, s17
	s_add_i32 s10, s3, s10
	s_delay_alu instid0(SALU_CYCLE_1) | instskip(NEXT) | instid1(SALU_CYCLE_1)
	s_lshr_b32 s11, s10, s18
	s_mul_i32 s10, s11, s19
	s_lshl_b32 s11, s11, 2
	s_sub_i32 s10, s3, s10
	s_delay_alu instid0(SALU_CYCLE_1) | instskip(NEXT) | instid1(SALU_CYCLE_1)
	s_lshl_b32 s3, s10, 3
	s_add_i32 s3, s3, s14
	s_waitcnt lgkmcnt(0)
	s_cmp_lt_i32 s3, s8
	s_cselect_b32 s3, -1, 0
	s_add_i32 s11, s11, s15
	s_delay_alu instid0(SALU_CYCLE_1) | instskip(SKIP_1) | instid1(SALU_CYCLE_1)
	s_cmp_lt_i32 s11, s5
	s_cselect_b32 s12, -1, 0
	s_and_b32 s3, s3, s12
	s_delay_alu instid0(SALU_CYCLE_1)
	s_and_not1_b32 vcc_lo, exec_lo, s3
	s_cbranch_vccnz .LBB11_6
; %bb.1:
	s_mul_i32 s8, s2, s8
	s_mul_i32 s7, s7, s5
	s_add_i32 s8, s8, s14
	s_add_i32 s5, s11, s7
	s_mul_i32 s8, s8, s9
	s_load_b128 s[0:3], s[0:1], 0x0
	s_mul_i32 s7, s9, s10
	s_add_i32 s5, s5, s8
	s_mulk_i32 s7, 0x280
	s_mulk_i32 s5, 0x50
	s_lshl_b32 s9, s14, 2
	v_add3_u32 v1, s5, s7, v0
	s_mul_i32 s5, s13, s6
	s_delay_alu instid0(SALU_CYCLE_1) | instskip(NEXT) | instid1(VALU_DEP_1)
	s_add_i32 s10, s5, s6
	v_ashrrev_i32_e32 v2, 31, v1
	s_delay_alu instid0(VALU_DEP_1) | instskip(SKIP_1) | instid1(VALU_DEP_1)
	v_lshlrev_b64 v[1:2], 2, v[1:2]
	s_waitcnt lgkmcnt(0)
	v_add_co_u32 v1, vcc_lo, s0, v1
	s_delay_alu instid0(VALU_DEP_2) | instskip(SKIP_4) | instid1(SALU_CYCLE_1)
	v_add_co_ci_u32_e32 v2, vcc_lo, s1, v2, vcc_lo
	s_add_i32 s0, s9, s15
	s_lshl_b32 s1, s10, 5
	global_load_b32 v5, v[1:2], off
	s_add_i32 s0, s0, s1
	s_sub_i32 s0, s0, 32
	s_delay_alu instid0(SALU_CYCLE_1) | instskip(NEXT) | instid1(SALU_CYCLE_1)
	s_ashr_i32 s1, s0, 31
	s_lshl_b64 s[0:1], s[0:1], 3
	s_delay_alu instid0(SALU_CYCLE_1)
	s_add_u32 s0, s2, s0
	s_addc_u32 s1, s3, s1
	s_add_i32 s7, s10, -2
	s_load_b32 s11, s[0:1], 0x4
	s_cmp_lt_i32 s7, s5
	s_cbranch_scc1 .LBB11_4
; %bb.2:
	s_load_b32 s12, s[0:1], 0x0
	s_lshl_b32 s16, s4, 7
	s_mulk_i32 s14, 0x140
	s_ashr_i32 s17, s16, 31
	s_waitcnt lgkmcnt(0)
	v_mov_b32_e32 v6, s11
	s_lshl_b64 s[0:1], s[16:17], 2
	s_delay_alu instid0(SALU_CYCLE_1)
	s_add_u32 s7, s2, s0
	s_addc_u32 s8, s3, s1
	s_add_i32 s13, s13, 1
	s_lshl_b32 s4, s4, 5
	s_mul_i32 s0, s6, s13
	s_mul_i32 s6, s15, 0x50
	s_lshl_b32 s1, s0, 5
	s_mulk_i32 s0, 0xa00
	s_add_i32 s6, s6, s14
	s_add_i32 s1, s15, s1
	;; [unrolled: 1-line block ×4, first 2 shown]
	v_add3_u32 v3, s6, v0, 0xffffec00
	v_mov_b32_e32 v0, s12
	s_add_i32 s0, s0, s9
	s_add_i32 s4, s10, -1
	s_sub_i32 s0, s0, 64
.LBB11_3:                               ; =>This Inner Loop Header: Depth=1
	s_delay_alu instid0(VALU_DEP_2) | instskip(SKIP_1) | instid1(SALU_CYCLE_1)
	v_ashrrev_i32_e32 v4, 31, v3
	s_ashr_i32 s1, s0, 31
	s_lshl_b64 s[10:11], s[0:1], 3
	s_delay_alu instid0(SALU_CYCLE_1) | instskip(NEXT) | instid1(VALU_DEP_1)
	s_add_u32 s10, s2, s10
	v_lshlrev_b64 v[7:8], 2, v[3:4]
	s_addc_u32 s11, s3, s11
	s_add_i32 s4, s4, -1
	s_sub_i32 s0, s0, 32
	s_cmp_le_i32 s4, s5
	s_load_b64 s[10:11], s[10:11], 0x0
	v_add_co_u32 v7, vcc_lo, s7, v7
	v_add_co_ci_u32_e32 v8, vcc_lo, s8, v8, vcc_lo
	global_load_b32 v4, v[7:8], off
	v_max_f32_e32 v7, v0, v0
	s_waitcnt lgkmcnt(0)
	v_max_f32_e64 v8, s10, s10
	s_delay_alu instid0(VALU_DEP_1) | instskip(NEXT) | instid1(VALU_DEP_1)
	v_max_f32_e32 v7, v7, v8
	v_sub_f32_e32 v8, s10, v7
	s_delay_alu instid0(VALU_DEP_1) | instskip(NEXT) | instid1(VALU_DEP_1)
	v_dual_sub_f32 v0, v0, v7 :: v_dual_mul_f32 v9, 0x3fb8aa3b, v8
	v_fma_f32 v10, 0x3fb8aa3b, v8, -v9
	v_rndne_f32_e32 v11, v9
	s_delay_alu instid0(VALU_DEP_3) | instskip(NEXT) | instid1(VALU_DEP_2)
	v_mul_f32_e32 v12, 0x3fb8aa3b, v0
	v_dual_fmac_f32 v10, 0x32a5705f, v8 :: v_dual_sub_f32 v9, v9, v11
	v_cvt_i32_f32_e32 v11, v11
	s_delay_alu instid0(VALU_DEP_3) | instskip(SKIP_1) | instid1(VALU_DEP_4)
	v_fma_f32 v13, 0x3fb8aa3b, v0, -v12
	v_rndne_f32_e32 v14, v12
	v_add_f32_e32 v9, v9, v10
	v_cmp_ngt_f32_e32 vcc_lo, 0xc2ce8ed0, v8
	s_delay_alu instid0(VALU_DEP_3) | instskip(NEXT) | instid1(VALU_DEP_3)
	v_sub_f32_e32 v10, v12, v14
	v_exp_f32_e32 v9, v9
	s_waitcnt_depctr 0xfff
	v_ldexp_f32 v9, v9, v11
	v_cvt_i32_f32_e32 v11, v14
	s_delay_alu instid0(VALU_DEP_2) | instskip(SKIP_1) | instid1(VALU_DEP_2)
	v_cndmask_b32_e32 v9, 0, v9, vcc_lo
	v_cmp_nlt_f32_e32 vcc_lo, 0x42b17218, v8
	v_cndmask_b32_e32 v9, 0x7f800000, v9, vcc_lo
	v_cmp_ngt_f32_e32 vcc_lo, 0xc2ce8ed0, v0
	v_fmac_f32_e32 v13, 0x32a5705f, v0
	s_delay_alu instid0(VALU_DEP_1) | instskip(NEXT) | instid1(VALU_DEP_1)
	v_add_f32_e32 v10, v10, v13
	v_exp_f32_e32 v10, v10
	s_waitcnt_depctr 0xfff
	v_ldexp_f32 v10, v10, v11
	s_delay_alu instid0(VALU_DEP_1)
	v_dual_mov_b32 v11, v6 :: v_dual_cndmask_b32 v10, 0, v10
	v_cmp_le_f32_e32 vcc_lo, 0xc1a00000, v8
	s_waitcnt vmcnt(1)
	v_dual_cndmask_b32 v8, 0, v9 :: v_dual_mov_b32 v9, v5
	v_cmp_nlt_f32_e32 vcc_lo, 0x42b17218, v0
	v_cndmask_b32_e32 v5, 0x7f800000, v10, vcc_lo
	s_delay_alu instid0(VALU_DEP_3) | instskip(SKIP_2) | instid1(VALU_DEP_3)
	v_mul_f32_e32 v10, s11, v8
	v_cmp_le_f32_e32 vcc_lo, 0xc1a00000, v0
	v_mov_b32_e32 v0, v7
	v_mov_b32_e32 v6, v10
	s_waitcnt vmcnt(0)
	v_dual_cndmask_b32 v12, 0, v5 :: v_dual_mul_f32 v5, v4, v8
	s_delay_alu instid0(VALU_DEP_1) | instskip(NEXT) | instid1(VALU_DEP_2)
	v_dual_fmac_f32 v6, v11, v12 :: v_dual_add_nc_u32 v3, 0xfffff600, v3
	v_fmac_f32_e32 v5, v9, v12
	s_cbranch_scc0 .LBB11_3
	s_branch .LBB11_5
.LBB11_4:
	s_waitcnt lgkmcnt(0)
	v_mov_b32_e32 v6, s11
.LBB11_5:
	s_waitcnt vmcnt(0)
	s_delay_alu instid0(VALU_DEP_1) | instskip(NEXT) | instid1(VALU_DEP_1)
	v_div_scale_f32 v0, null, v6, v6, v5
	v_rcp_f32_e32 v3, v0
	s_waitcnt_depctr 0xfff
	v_fma_f32 v4, -v0, v3, 1.0
	s_delay_alu instid0(VALU_DEP_1) | instskip(SKIP_1) | instid1(VALU_DEP_1)
	v_fmac_f32_e32 v3, v4, v3
	v_div_scale_f32 v4, vcc_lo, v5, v6, v5
	v_mul_f32_e32 v7, v4, v3
	s_delay_alu instid0(VALU_DEP_1) | instskip(NEXT) | instid1(VALU_DEP_1)
	v_fma_f32 v8, -v0, v7, v4
	v_fmac_f32_e32 v7, v8, v3
	s_delay_alu instid0(VALU_DEP_1) | instskip(NEXT) | instid1(VALU_DEP_1)
	v_fma_f32 v0, -v0, v7, v4
	v_div_fmas_f32 v0, v0, v3, v7
	s_delay_alu instid0(VALU_DEP_1)
	v_div_fixup_f32 v0, v0, v6, v5
	global_store_b32 v[1:2], v0, off
.LBB11_6:
	s_nop 0
	s_sendmsg sendmsg(MSG_DEALLOC_VGPRS)
	s_endpgm
	.section	.rodata,"a",@progbits
	.p2align	6, 0x0
	.amdhsa_kernel _ZL33flash_attn_stream_k_fixup_uniformILi80ELi8ELi4EEvPfPK15HIP_vector_typeIfLj2EEiiiiiiS1_IjLj3EES5_S5_
		.amdhsa_group_segment_fixed_size 0
		.amdhsa_private_segment_fixed_size 0
		.amdhsa_kernarg_size 76
		.amdhsa_user_sgpr_count 13
		.amdhsa_user_sgpr_dispatch_ptr 0
		.amdhsa_user_sgpr_queue_ptr 0
		.amdhsa_user_sgpr_kernarg_segment_ptr 1
		.amdhsa_user_sgpr_dispatch_id 0
		.amdhsa_user_sgpr_private_segment_size 0
		.amdhsa_wavefront_size32 1
		.amdhsa_uses_dynamic_stack 0
		.amdhsa_enable_private_segment 0
		.amdhsa_system_sgpr_workgroup_id_x 1
		.amdhsa_system_sgpr_workgroup_id_y 1
		.amdhsa_system_sgpr_workgroup_id_z 1
		.amdhsa_system_sgpr_workgroup_info 0
		.amdhsa_system_vgpr_workitem_id 0
		.amdhsa_next_free_vgpr 15
		.amdhsa_next_free_sgpr 20
		.amdhsa_reserve_vcc 1
		.amdhsa_float_round_mode_32 0
		.amdhsa_float_round_mode_16_64 0
		.amdhsa_float_denorm_mode_32 3
		.amdhsa_float_denorm_mode_16_64 3
		.amdhsa_dx10_clamp 1
		.amdhsa_ieee_mode 1
		.amdhsa_fp16_overflow 0
		.amdhsa_workgroup_processor_mode 1
		.amdhsa_memory_ordered 1
		.amdhsa_forward_progress 0
		.amdhsa_shared_vgpr_count 0
		.amdhsa_exception_fp_ieee_invalid_op 0
		.amdhsa_exception_fp_denorm_src 0
		.amdhsa_exception_fp_ieee_div_zero 0
		.amdhsa_exception_fp_ieee_overflow 0
		.amdhsa_exception_fp_ieee_underflow 0
		.amdhsa_exception_fp_ieee_inexact 0
		.amdhsa_exception_int_div_zero 0
	.end_amdhsa_kernel
	.section	.text._ZL33flash_attn_stream_k_fixup_uniformILi80ELi8ELi4EEvPfPK15HIP_vector_typeIfLj2EEiiiiiiS1_IjLj3EES5_S5_,"axG",@progbits,_ZL33flash_attn_stream_k_fixup_uniformILi80ELi8ELi4EEvPfPK15HIP_vector_typeIfLj2EEiiiiiiS1_IjLj3EES5_S5_,comdat
.Lfunc_end11:
	.size	_ZL33flash_attn_stream_k_fixup_uniformILi80ELi8ELi4EEvPfPK15HIP_vector_typeIfLj2EEiiiiiiS1_IjLj3EES5_S5_, .Lfunc_end11-_ZL33flash_attn_stream_k_fixup_uniformILi80ELi8ELi4EEvPfPK15HIP_vector_typeIfLj2EEiiiiiiS1_IjLj3EES5_S5_
                                        ; -- End function
	.section	.AMDGPU.csdata,"",@progbits
; Kernel info:
; codeLenInByte = 992
; NumSgprs: 22
; NumVgprs: 15
; ScratchSize: 0
; MemoryBound: 0
; FloatMode: 240
; IeeeMode: 1
; LDSByteSize: 0 bytes/workgroup (compile time only)
; SGPRBlocks: 2
; VGPRBlocks: 1
; NumSGPRsForWavesPerEU: 22
; NumVGPRsForWavesPerEU: 15
; Occupancy: 16
; WaveLimiterHint : 0
; COMPUTE_PGM_RSRC2:SCRATCH_EN: 0
; COMPUTE_PGM_RSRC2:USER_SGPR: 13
; COMPUTE_PGM_RSRC2:TRAP_HANDLER: 0
; COMPUTE_PGM_RSRC2:TGID_X_EN: 1
; COMPUTE_PGM_RSRC2:TGID_Y_EN: 1
; COMPUTE_PGM_RSRC2:TGID_Z_EN: 1
; COMPUTE_PGM_RSRC2:TIDIG_COMP_CNT: 0
	.section	.text._ZL33flash_attn_stream_k_fixup_generalILi80ELi8ELi4EEvPfPK15HIP_vector_typeIfLj2EEiiiiS1_IjLj3EES5_S5_S5_,"axG",@progbits,_ZL33flash_attn_stream_k_fixup_generalILi80ELi8ELi4EEvPfPK15HIP_vector_typeIfLj2EEiiiiS1_IjLj3EES5_S5_S5_,comdat
	.globl	_ZL33flash_attn_stream_k_fixup_generalILi80ELi8ELi4EEvPfPK15HIP_vector_typeIfLj2EEiiiiS1_IjLj3EES5_S5_S5_ ; -- Begin function _ZL33flash_attn_stream_k_fixup_generalILi80ELi8ELi4EEvPfPK15HIP_vector_typeIfLj2EEiiiiS1_IjLj3EES5_S5_S5_
	.p2align	8
	.type	_ZL33flash_attn_stream_k_fixup_generalILi80ELi8ELi4EEvPfPK15HIP_vector_typeIfLj2EEiiiiS1_IjLj3EES5_S5_S5_,@function
_ZL33flash_attn_stream_k_fixup_generalILi80ELi8ELi4EEvPfPK15HIP_vector_typeIfLj2EEiiiiS1_IjLj3EES5_S5_S5_: ; @_ZL33flash_attn_stream_k_fixup_generalILi80ELi8ELi4EEvPfPK15HIP_vector_typeIfLj2EEiiiiS1_IjLj3EES5_S5_S5_
; %bb.0:
	s_clause 0x1
	s_load_b128 s[4:7], s[0:1], 0x10
	s_load_b32 s20, s[0:1], 0x50
	s_mov_b32 s2, 0
	s_waitcnt lgkmcnt(0)
	s_mul_hi_i32 s3, s7, s13
	s_mul_i32 s12, s7, s13
	s_cmp_lg_u64 s[2:3], 0
	s_cbranch_scc0 .LBB12_21
; %bb.1:
	v_cvt_f32_ubyte0_e32 v1, 0
	v_cvt_f32_u32_e32 v2, s20
	s_sub_u32 s10, 0, s20
	s_subb_u32 s11, 0, 0
	s_delay_alu instid0(VALU_DEP_1) | instskip(NEXT) | instid1(VALU_DEP_1)
	v_fmamk_f32 v1, v1, 0x4f800000, v2
	v_rcp_f32_e32 v1, v1
	s_waitcnt_depctr 0xfff
	v_mul_f32_e32 v1, 0x5f7ffffc, v1
	s_delay_alu instid0(VALU_DEP_1) | instskip(NEXT) | instid1(VALU_DEP_1)
	v_mul_f32_e32 v2, 0x2f800000, v1
	v_trunc_f32_e32 v2, v2
	s_delay_alu instid0(VALU_DEP_1) | instskip(SKIP_1) | instid1(VALU_DEP_2)
	v_fmamk_f32 v1, v2, 0xcf800000, v1
	v_cvt_u32_f32_e32 v2, v2
	v_cvt_u32_f32_e32 v1, v1
	s_delay_alu instid0(VALU_DEP_2) | instskip(NEXT) | instid1(VALU_DEP_2)
	v_readfirstlane_b32 s8, v2
	v_readfirstlane_b32 s9, v1
	s_delay_alu instid0(VALU_DEP_2) | instskip(NEXT) | instid1(VALU_DEP_1)
	s_mul_i32 s16, s10, s8
	s_mul_hi_u32 s18, s10, s9
	s_mul_i32 s17, s11, s9
	s_add_i32 s16, s18, s16
	s_mul_i32 s19, s10, s9
	s_add_i32 s16, s16, s17
	s_mul_hi_u32 s18, s9, s19
	s_mul_hi_u32 s21, s8, s19
	s_mul_i32 s17, s8, s19
	s_mul_hi_u32 s19, s9, s16
	s_mul_i32 s9, s9, s16
	s_mul_hi_u32 s22, s8, s16
	s_add_u32 s9, s18, s9
	s_addc_u32 s18, 0, s19
	s_add_u32 s9, s9, s17
	s_mul_i32 s16, s8, s16
	s_addc_u32 s9, s18, s21
	s_addc_u32 s17, s22, 0
	s_add_u32 s9, s9, s16
	s_addc_u32 s16, 0, s17
	v_add_co_u32 v1, s9, v1, s9
	s_delay_alu instid0(VALU_DEP_1) | instskip(SKIP_1) | instid1(VALU_DEP_1)
	s_cmp_lg_u32 s9, 0
	s_addc_u32 s8, s8, s16
	v_readfirstlane_b32 s9, v1
	s_mul_i32 s16, s10, s8
	s_delay_alu instid0(VALU_DEP_1)
	s_mul_hi_u32 s17, s10, s9
	s_mul_i32 s11, s11, s9
	s_add_i32 s16, s17, s16
	s_mul_i32 s10, s10, s9
	s_add_i32 s16, s16, s11
	s_mul_hi_u32 s17, s8, s10
	s_mul_i32 s18, s8, s10
	s_mul_hi_u32 s10, s9, s10
	s_mul_hi_u32 s19, s9, s16
	s_mul_i32 s9, s9, s16
	s_mul_hi_u32 s11, s8, s16
	s_add_u32 s9, s10, s9
	s_addc_u32 s10, 0, s19
	s_add_u32 s9, s9, s18
	s_mul_i32 s16, s8, s16
	s_addc_u32 s9, s10, s17
	s_addc_u32 s10, s11, 0
	s_add_u32 s9, s9, s16
	s_addc_u32 s10, 0, s10
	v_add_co_u32 v1, s9, v1, s9
	s_delay_alu instid0(VALU_DEP_1) | instskip(SKIP_2) | instid1(SALU_CYCLE_1)
	s_cmp_lg_u32 s9, 0
	s_addc_u32 s16, s8, s10
	s_ashr_i32 s8, s3, 31
	s_add_u32 s10, s12, s8
	s_addc_u32 s11, s3, s8
	v_readfirstlane_b32 s3, v1
	s_mov_b32 s9, s8
	s_delay_alu instid0(SALU_CYCLE_1) | instskip(NEXT) | instid1(SALU_CYCLE_1)
	s_xor_b64 s[10:11], s[10:11], s[8:9]
	s_mul_i32 s18, s10, s16
	s_delay_alu instid0(VALU_DEP_1)
	s_mul_hi_u32 s19, s10, s3
	s_mul_hi_u32 s17, s10, s16
	;; [unrolled: 1-line block ×3, first 2 shown]
	s_mul_i32 s3, s11, s3
	s_add_u32 s18, s19, s18
	s_addc_u32 s17, 0, s17
	s_mul_hi_u32 s21, s11, s16
	s_add_u32 s3, s18, s3
	s_mul_i32 s16, s11, s16
	s_addc_u32 s3, s17, s22
	s_addc_u32 s17, s21, 0
	s_add_u32 s3, s3, s16
	s_addc_u32 s16, 0, s17
	s_mul_i32 s18, s20, s3
	s_add_u32 s17, s3, 1
	v_sub_co_u32 v1, s10, s10, s18
	s_mul_hi_u32 s18, s20, s3
	s_addc_u32 s19, s16, 0
	s_mul_i32 s21, s20, s16
	s_delay_alu instid0(VALU_DEP_1)
	v_sub_co_u32 v2, s22, v1, s20
	s_add_u32 s23, s3, 2
	s_addc_u32 s24, s16, 0
	s_add_i32 s18, s18, s21
	s_cmp_lg_u32 s10, 0
	v_readfirstlane_b32 s10, v2
	s_subb_u32 s11, s11, s18
	s_cmp_lg_u32 s22, 0
	s_subb_u32 s18, s11, 0
	s_delay_alu instid0(VALU_DEP_1) | instskip(SKIP_4) | instid1(SALU_CYCLE_1)
	s_cmp_ge_u32 s10, s20
	s_cselect_b32 s10, -1, 0
	s_cmp_eq_u32 s18, 0
	v_readfirstlane_b32 s18, v1
	s_cselect_b32 s10, s10, -1
	s_cmp_lg_u32 s10, 0
	s_cselect_b32 s10, s23, s17
	s_cselect_b32 s17, s24, s19
	s_cmp_ge_u32 s18, s20
	s_cselect_b32 s18, -1, 0
	s_cmp_eq_u32 s11, 0
	s_cselect_b32 s11, s18, -1
	s_delay_alu instid0(SALU_CYCLE_1) | instskip(SKIP_2) | instid1(SALU_CYCLE_1)
	s_cmp_lg_u32 s11, 0
	s_cselect_b32 s11, s17, s16
	s_cselect_b32 s10, s10, s3
	s_xor_b64 s[10:11], s[10:11], s[8:9]
	s_delay_alu instid0(SALU_CYCLE_1)
	s_sub_u32 s16, s10, s8
	s_load_b128 s[8:11], s[0:1], 0x44
	s_and_not1_b32 vcc_lo, exec_lo, s2
	s_cbranch_vccnz .LBB12_3
.LBB12_2:
	v_cvt_f32_u32_e32 v1, s20
	s_sub_i32 s3, 0, s20
	s_delay_alu instid0(VALU_DEP_1) | instskip(SKIP_2) | instid1(VALU_DEP_1)
	v_rcp_iflag_f32_e32 v1, v1
	s_waitcnt_depctr 0xfff
	v_mul_f32_e32 v1, 0x4f7ffffe, v1
	v_cvt_u32_f32_e32 v1, v1
	s_delay_alu instid0(VALU_DEP_1) | instskip(NEXT) | instid1(VALU_DEP_1)
	v_readfirstlane_b32 s2, v1
	s_mul_i32 s3, s3, s2
	s_delay_alu instid0(SALU_CYCLE_1) | instskip(NEXT) | instid1(SALU_CYCLE_1)
	s_mul_hi_u32 s3, s2, s3
	s_add_i32 s2, s2, s3
	s_delay_alu instid0(SALU_CYCLE_1) | instskip(NEXT) | instid1(SALU_CYCLE_1)
	s_mul_hi_u32 s2, s12, s2
	s_mul_i32 s3, s2, s20
	s_waitcnt lgkmcnt(0)
	s_add_i32 s11, s2, 1
	s_sub_i32 s3, s12, s3
	s_delay_alu instid0(SALU_CYCLE_1)
	s_sub_i32 s12, s3, s20
	s_cmp_ge_u32 s3, s20
	s_cselect_b32 s2, s11, s2
	s_cselect_b32 s3, s12, s3
	s_add_i32 s11, s2, 1
	s_cmp_ge_u32 s3, s20
	s_cselect_b32 s16, s11, s2
.LBB12_3:
	s_waitcnt lgkmcnt(0)
	s_add_i32 s11, s13, 1
	s_mov_b32 s2, 0
	s_mul_hi_i32 s3, s7, s11
	s_mul_i32 s11, s7, s11
	s_cmp_lg_u64 s[2:3], 0
	s_cbranch_scc0 .LBB12_22
; %bb.4:
	v_cvt_f32_ubyte0_e32 v1, 0
	v_cvt_f32_u32_e32 v2, s20
	s_sub_u32 s18, 0, s20
	s_subb_u32 s19, 0, 0
	s_delay_alu instid0(VALU_DEP_1) | instskip(NEXT) | instid1(VALU_DEP_1)
	v_fmamk_f32 v1, v1, 0x4f800000, v2
	v_rcp_f32_e32 v1, v1
	s_waitcnt_depctr 0xfff
	v_mul_f32_e32 v1, 0x5f7ffffc, v1
	s_delay_alu instid0(VALU_DEP_1) | instskip(NEXT) | instid1(VALU_DEP_1)
	v_mul_f32_e32 v2, 0x2f800000, v1
	v_trunc_f32_e32 v2, v2
	s_delay_alu instid0(VALU_DEP_1) | instskip(SKIP_1) | instid1(VALU_DEP_2)
	v_fmamk_f32 v1, v2, 0xcf800000, v1
	v_cvt_u32_f32_e32 v2, v2
	v_cvt_u32_f32_e32 v1, v1
	s_delay_alu instid0(VALU_DEP_2) | instskip(NEXT) | instid1(VALU_DEP_2)
	v_readfirstlane_b32 s12, v2
	v_readfirstlane_b32 s17, v1
	s_delay_alu instid0(VALU_DEP_2) | instskip(NEXT) | instid1(VALU_DEP_1)
	s_mul_i32 s21, s18, s12
	s_mul_hi_u32 s23, s18, s17
	s_mul_i32 s22, s19, s17
	s_add_i32 s21, s23, s21
	s_mul_i32 s24, s18, s17
	s_add_i32 s21, s21, s22
	s_mul_hi_u32 s23, s17, s24
	s_mul_hi_u32 s25, s12, s24
	s_mul_i32 s22, s12, s24
	s_mul_hi_u32 s24, s17, s21
	s_mul_i32 s17, s17, s21
	s_mul_hi_u32 s26, s12, s21
	s_add_u32 s17, s23, s17
	s_addc_u32 s23, 0, s24
	s_add_u32 s17, s17, s22
	s_mul_i32 s21, s12, s21
	s_addc_u32 s17, s23, s25
	s_addc_u32 s22, s26, 0
	s_add_u32 s17, s17, s21
	s_addc_u32 s21, 0, s22
	v_add_co_u32 v1, s17, v1, s17
	s_delay_alu instid0(VALU_DEP_1) | instskip(SKIP_1) | instid1(VALU_DEP_1)
	s_cmp_lg_u32 s17, 0
	s_addc_u32 s12, s12, s21
	v_readfirstlane_b32 s17, v1
	s_mul_i32 s21, s18, s12
	s_delay_alu instid0(VALU_DEP_1)
	s_mul_hi_u32 s22, s18, s17
	s_mul_i32 s19, s19, s17
	s_add_i32 s21, s22, s21
	s_mul_i32 s18, s18, s17
	s_add_i32 s21, s21, s19
	s_mul_hi_u32 s22, s12, s18
	s_mul_i32 s23, s12, s18
	s_mul_hi_u32 s18, s17, s18
	s_mul_hi_u32 s24, s17, s21
	s_mul_i32 s17, s17, s21
	s_mul_hi_u32 s19, s12, s21
	s_add_u32 s17, s18, s17
	s_addc_u32 s18, 0, s24
	s_add_u32 s17, s17, s23
	s_mul_i32 s21, s12, s21
	s_addc_u32 s17, s18, s22
	s_addc_u32 s18, s19, 0
	s_add_u32 s17, s17, s21
	s_addc_u32 s18, 0, s18
	v_add_co_u32 v1, s17, v1, s17
	s_delay_alu instid0(VALU_DEP_1) | instskip(SKIP_2) | instid1(SALU_CYCLE_1)
	s_cmp_lg_u32 s17, 0
	s_addc_u32 s12, s12, s18
	s_ashr_i32 s18, s3, 31
	s_add_u32 s22, s11, s18
	s_addc_u32 s23, s3, s18
	v_readfirstlane_b32 s3, v1
	s_mov_b32 s19, s18
	s_delay_alu instid0(SALU_CYCLE_1) | instskip(NEXT) | instid1(SALU_CYCLE_1)
	s_xor_b64 s[22:23], s[22:23], s[18:19]
	s_mul_i32 s21, s22, s12
	s_delay_alu instid0(VALU_DEP_1)
	s_mul_hi_u32 s24, s22, s3
	s_mul_hi_u32 s17, s22, s12
	;; [unrolled: 1-line block ×3, first 2 shown]
	s_mul_i32 s3, s23, s3
	s_add_u32 s21, s24, s21
	s_addc_u32 s17, 0, s17
	s_mul_hi_u32 s25, s23, s12
	s_add_u32 s3, s21, s3
	s_mul_i32 s12, s23, s12
	s_addc_u32 s3, s17, s26
	s_addc_u32 s17, s25, 0
	s_add_u32 s3, s3, s12
	s_addc_u32 s12, 0, s17
	s_mul_i32 s21, s20, s3
	s_add_u32 s17, s3, 1
	v_sub_co_u32 v1, s21, s22, s21
	s_mul_hi_u32 s22, s20, s3
	s_addc_u32 s24, s12, 0
	s_mul_i32 s25, s20, s12
	s_delay_alu instid0(VALU_DEP_1)
	v_sub_co_u32 v2, s26, v1, s20
	s_add_u32 s27, s3, 2
	s_addc_u32 s28, s12, 0
	s_add_i32 s22, s22, s25
	s_cmp_lg_u32 s21, 0
	v_readfirstlane_b32 s21, v2
	s_subb_u32 s22, s23, s22
	s_cmp_lg_u32 s26, 0
	s_subb_u32 s23, s22, 0
	s_delay_alu instid0(VALU_DEP_1) | instskip(SKIP_4) | instid1(SALU_CYCLE_1)
	s_cmp_ge_u32 s21, s20
	s_cselect_b32 s21, -1, 0
	s_cmp_eq_u32 s23, 0
	v_readfirstlane_b32 s23, v1
	s_cselect_b32 s21, s21, -1
	s_cmp_lg_u32 s21, 0
	s_cselect_b32 s17, s27, s17
	s_cselect_b32 s21, s28, s24
	s_cmp_ge_u32 s23, s20
	s_cselect_b32 s23, -1, 0
	s_cmp_eq_u32 s22, 0
	s_cselect_b32 s22, s23, -1
	s_delay_alu instid0(SALU_CYCLE_1) | instskip(SKIP_2) | instid1(SALU_CYCLE_1)
	s_cmp_lg_u32 s22, 0
	s_cselect_b32 s23, s21, s12
	s_cselect_b32 s22, s17, s3
	s_xor_b64 s[22:23], s[22:23], s[18:19]
	s_delay_alu instid0(SALU_CYCLE_1)
	s_sub_u32 s18, s22, s18
	s_and_not1_b32 vcc_lo, exec_lo, s2
	s_cbranch_vccnz .LBB12_6
.LBB12_5:
	v_cvt_f32_u32_e32 v1, s20
	s_sub_i32 s3, 0, s20
	s_delay_alu instid0(VALU_DEP_1) | instskip(SKIP_2) | instid1(VALU_DEP_1)
	v_rcp_iflag_f32_e32 v1, v1
	s_waitcnt_depctr 0xfff
	v_mul_f32_e32 v1, 0x4f7ffffe, v1
	v_cvt_u32_f32_e32 v1, v1
	s_delay_alu instid0(VALU_DEP_1) | instskip(NEXT) | instid1(VALU_DEP_1)
	v_readfirstlane_b32 s2, v1
	s_mul_i32 s3, s3, s2
	s_delay_alu instid0(SALU_CYCLE_1) | instskip(NEXT) | instid1(SALU_CYCLE_1)
	s_mul_hi_u32 s3, s2, s3
	s_add_i32 s2, s2, s3
	s_delay_alu instid0(SALU_CYCLE_1) | instskip(NEXT) | instid1(SALU_CYCLE_1)
	s_mul_hi_u32 s2, s11, s2
	s_mul_i32 s3, s2, s20
	s_delay_alu instid0(SALU_CYCLE_1)
	s_sub_i32 s3, s11, s3
	s_add_i32 s11, s2, 1
	s_sub_i32 s12, s3, s20
	s_cmp_ge_u32 s3, s20
	s_cselect_b32 s2, s11, s2
	s_cselect_b32 s3, s12, s3
	s_add_i32 s11, s2, 1
	s_cmp_ge_u32 s3, s20
	s_cselect_b32 s18, s11, s2
.LBB12_6:
	s_delay_alu instid0(SALU_CYCLE_1) | instskip(SKIP_3) | instid1(SALU_CYCLE_1)
	s_cmp_eq_u32 s16, s18
	s_mul_hi_u32 s2, s16, s8
	s_cselect_b32 s3, -1, 0
	s_add_i32 s2, s2, s16
	s_lshr_b32 s11, s2, s9
	s_delay_alu instid0(SALU_CYCLE_1) | instskip(NEXT) | instid1(SALU_CYCLE_1)
	s_mul_i32 s2, s11, s10
	s_cmp_eq_u32 s2, s16
	s_mul_hi_u32 s2, s18, s8
	s_cselect_b32 s12, -1, 0
	s_add_i32 s2, s2, s18
	s_delay_alu instid0(SALU_CYCLE_1) | instskip(NEXT) | instid1(SALU_CYCLE_1)
	s_lshr_b32 s2, s2, s9
	s_cmp_eq_u32 s11, s2
	s_mul_i32 s2, s2, s10
	s_cselect_b32 s17, -1, 0
	s_cmp_lg_u32 s2, s18
	s_cselect_b32 s2, -1, 0
	s_or_b32 s3, s3, s12
	s_and_b32 s2, s17, s2
	s_delay_alu instid0(SALU_CYCLE_1) | instskip(NEXT) | instid1(SALU_CYCLE_1)
	s_or_b32 s2, s3, s2
	s_and_b32 vcc_lo, exec_lo, s2
	s_cbranch_vccnz .LBB12_24
; %bb.7:
	s_load_b256 s[24:31], s[0:1], 0x20
	s_waitcnt lgkmcnt(0)
	s_mul_hi_u32 s2, s16, s24
	s_delay_alu instid0(SALU_CYCLE_1) | instskip(NEXT) | instid1(SALU_CYCLE_1)
	s_add_i32 s2, s2, s16
	s_lshr_b32 s17, s2, s25
	s_load_b32 s2, s[0:1], 0x40
	s_mul_i32 s3, s17, s26
	s_delay_alu instid0(SALU_CYCLE_1) | instskip(NEXT) | instid1(SALU_CYCLE_1)
	s_sub_i32 s3, s16, s3
	s_mul_hi_u32 s12, s3, s27
	s_delay_alu instid0(SALU_CYCLE_1) | instskip(NEXT) | instid1(SALU_CYCLE_1)
	s_add_i32 s12, s3, s12
	s_lshr_b32 s19, s12, s28
	s_delay_alu instid0(SALU_CYCLE_1) | instskip(NEXT) | instid1(SALU_CYCLE_1)
	s_mul_i32 s12, s19, s29
	s_sub_i32 s3, s3, s12
	s_delay_alu instid0(SALU_CYCLE_1) | instskip(NEXT) | instid1(SALU_CYCLE_1)
	s_mul_hi_u32 s12, s3, s30
	s_add_i32 s12, s3, s12
	s_delay_alu instid0(SALU_CYCLE_1)
	s_lshr_b32 s12, s12, s31
	s_waitcnt lgkmcnt(0)
	s_mul_i32 s2, s12, s2
	s_lshl_b32 s21, s12, 2
	s_sub_i32 s2, s3, s2
	s_mov_b32 s12, 0
	s_mul_hi_u32 s3, s2, s8
	s_delay_alu instid0(SALU_CYCLE_1) | instskip(NEXT) | instid1(SALU_CYCLE_1)
	s_add_i32 s2, s2, s3
	s_lshr_b32 s18, s2, s9
	s_delay_alu instid0(SALU_CYCLE_1) | instskip(NEXT) | instid1(SALU_CYCLE_1)
	s_lshl_b32 s2, s18, 3
	s_add_i32 s2, s2, s14
	s_delay_alu instid0(SALU_CYCLE_1) | instskip(SKIP_2) | instid1(SALU_CYCLE_1)
	s_cmp_lt_i32 s2, s4
	s_cselect_b32 s2, -1, 0
	s_add_i32 s21, s21, s15
	s_cmp_lt_i32 s21, s6
	s_cselect_b32 s3, -1, 0
	s_delay_alu instid0(SALU_CYCLE_1) | instskip(NEXT) | instid1(SALU_CYCLE_1)
	s_and_b32 s2, s2, s3
	s_and_not1_b32 vcc_lo, exec_lo, s2
	s_cbranch_vccnz .LBB12_24
; %bb.8:
	s_load_b128 s[0:3], s[0:1], 0x0
	s_lshl_b32 s22, s20, 7
	s_mov_b32 s23, s12
	s_lshl_b32 s24, s14, 2
	s_lshl_b64 s[22:23], s[22:23], 2
	s_mul_i32 s19, s19, s6
	s_mul_i32 s4, s17, s4
	s_add_i32 s6, s24, s15
	v_cvt_f32_ubyte0_e32 v3, 0
	v_cvt_f32_u32_e32 v4, s20
	s_waitcnt lgkmcnt(0)
	s_add_u32 s15, s2, s22
	s_addc_u32 s17, s3, s23
	s_add_i32 s4, s4, s14
	s_add_i32 s14, s21, s19
	s_mul_i32 s4, s4, s5
	s_mul_i32 s5, s5, s18
	s_add_i32 s4, s14, s4
	s_mulk_i32 s5, 0x280
	s_mulk_i32 s4, 0x50
	s_delay_alu instid0(SALU_CYCLE_1) | instskip(NEXT) | instid1(VALU_DEP_1)
	v_add3_u32 v1, s5, s4, v0
	v_ashrrev_i32_e32 v2, 31, v1
	s_delay_alu instid0(VALU_DEP_1) | instskip(NEXT) | instid1(VALU_DEP_1)
	v_lshlrev_b64 v[1:2], 2, v[1:2]
	v_add_co_u32 v1, vcc_lo, s0, v1
	s_delay_alu instid0(VALU_DEP_2) | instskip(SKIP_1) | instid1(SALU_CYCLE_1)
	v_add_co_ci_u32_e32 v2, vcc_lo, s1, v2, vcc_lo
	s_lshl_b32 s0, s13, 5
	s_add_i32 s0, s6, s0
	global_load_b32 v5, v[1:2], off
	s_ashr_i32 s1, s0, 31
	s_delay_alu instid0(SALU_CYCLE_1) | instskip(NEXT) | instid1(SALU_CYCLE_1)
	s_lshl_b64 s[0:1], s[0:1], 3
	s_add_u32 s0, s2, s0
	s_addc_u32 s1, s3, s1
	s_add_i32 s18, s13, -1
	s_load_b64 s[0:1], s[0:1], 0x0
	v_fmac_f32_e32 v4, 0x4f800000, v3
	s_sub_i32 s14, 0, s20
	s_delay_alu instid0(VALU_DEP_1)
	v_rcp_f32_e32 v3, v4
	s_waitcnt_depctr 0xfff
	v_mul_f32_e32 v6, 0x5f7ffffc, v3
	v_cvt_f32_u32_e32 v3, s20
	s_waitcnt lgkmcnt(0)
	v_mov_b32_e32 v8, s0
	s_delay_alu instid0(VALU_DEP_3) | instskip(NEXT) | instid1(VALU_DEP_3)
	v_mul_f32_e32 v4, 0x2f800000, v6
	v_rcp_iflag_f32_e32 v7, v3
	s_delay_alu instid0(VALU_DEP_1) | instskip(SKIP_1) | instid1(VALU_DEP_2)
	v_trunc_f32_e32 v9, v4
	v_mad_u64_u32 v[3:4], null, 0x50, s6, v[0:1]
	v_fmac_f32_e32 v6, 0xcf800000, v9
	s_waitcnt_depctr 0xfff
	v_dual_mul_f32 v10, 0x4f7ffffe, v7 :: v_dual_mov_b32 v7, s1
	v_cvt_u32_f32_e32 v4, v9
	v_cvt_u32_f32_e32 v0, v6
	s_delay_alu instid0(VALU_DEP_3)
	v_cvt_u32_f32_e32 v6, v10
.LBB12_9:                               ; =>This Inner Loop Header: Depth=1
	s_mul_hi_i32 s13, s18, s7
	s_mul_i32 s4, s18, s7
	s_cmp_lg_u64 s[12:13], 0
	s_mov_b32 s5, -1
                                        ; implicit-def: $sgpr0_sgpr1
	s_cbranch_scc0 .LBB12_11
; %bb.10:                               ;   in Loop: Header=BB12_9 Depth=1
	v_readfirstlane_b32 s0, v0
	v_readfirstlane_b32 s1, v4
	s_sub_u32 s5, 0, s20
	s_subb_u32 s19, 0, 0
	s_delay_alu instid0(VALU_DEP_2) | instskip(NEXT) | instid1(VALU_DEP_1)
	s_mul_hi_u32 s21, s5, s0
	s_mul_i32 s22, s5, s1
	s_mul_i32 s23, s19, s0
	s_add_i32 s21, s21, s22
	s_mul_i32 s22, s5, s0
	s_add_i32 s21, s21, s23
	s_mul_hi_u32 s23, s0, s22
	s_mul_i32 s24, s0, s21
	s_mul_hi_u32 s0, s0, s21
	s_add_u32 s23, s23, s24
	s_mul_i32 s25, s1, s22
	s_addc_u32 s0, 0, s0
	s_mul_hi_u32 s22, s1, s22
	s_mul_hi_u32 s24, s1, s21
	s_add_u32 s23, s23, s25
	s_addc_u32 s0, s0, s22
	s_mul_i32 s21, s1, s21
	s_addc_u32 s22, s24, 0
	s_add_u32 s0, s0, s21
	s_addc_u32 s21, 0, s22
	v_add_co_u32 v9, s0, v0, s0
	s_delay_alu instid0(VALU_DEP_1) | instskip(SKIP_1) | instid1(VALU_DEP_1)
	s_cmp_lg_u32 s0, 0
	s_addc_u32 s1, s1, s21
	v_readfirstlane_b32 s0, v9
	s_mul_i32 s21, s5, s1
	s_delay_alu instid0(VALU_DEP_1)
	s_mul_hi_u32 s22, s5, s0
	s_mul_i32 s19, s19, s0
	s_add_i32 s21, s22, s21
	s_mul_i32 s5, s5, s0
	s_add_i32 s21, s21, s19
	s_mul_hi_u32 s19, s1, s5
	s_mul_i32 s23, s1, s5
	s_mul_i32 s24, s0, s21
	s_mul_hi_u32 s5, s0, s5
	s_mul_hi_u32 s0, s0, s21
	s_add_u32 s5, s5, s24
	s_addc_u32 s0, 0, s0
	s_mul_hi_u32 s22, s1, s21
	s_add_u32 s5, s5, s23
	s_addc_u32 s0, s0, s19
	s_mul_i32 s5, s1, s21
	s_addc_u32 s19, s22, 0
	s_add_u32 s0, s0, s5
	s_addc_u32 s5, 0, s19
	v_add_co_u32 v9, s0, v9, s0
	s_delay_alu instid0(VALU_DEP_1) | instskip(SKIP_2) | instid1(SALU_CYCLE_1)
	s_cmp_lg_u32 s0, 0
	s_addc_u32 s5, s1, s5
	s_ashr_i32 s0, s13, 31
	s_add_u32 s22, s4, s0
	s_addc_u32 s23, s13, s0
	v_readfirstlane_b32 s13, v9
	s_mov_b32 s1, s0
	s_delay_alu instid0(SALU_CYCLE_1) | instskip(NEXT) | instid1(SALU_CYCLE_1)
	s_xor_b64 s[22:23], s[22:23], s[0:1]
	s_mul_i32 s19, s22, s5
	s_delay_alu instid0(VALU_DEP_1)
	s_mul_hi_u32 s21, s22, s13
	s_mul_hi_u32 s24, s22, s5
	s_add_u32 s19, s21, s19
	s_mul_i32 s25, s23, s13
	s_addc_u32 s21, 0, s24
	s_mul_hi_u32 s13, s23, s13
	s_mul_hi_u32 s24, s23, s5
	s_add_u32 s19, s19, s25
	s_addc_u32 s13, s21, s13
	s_mul_i32 s5, s23, s5
	s_addc_u32 s19, s24, 0
	s_add_u32 s5, s13, s5
	s_addc_u32 s13, 0, s19
	s_mul_i32 s21, s20, s5
	s_add_u32 s19, s5, 1
	v_sub_co_u32 v9, s21, s22, s21
	s_addc_u32 s22, s13, 0
	s_mul_i32 s25, s20, s13
	s_mul_hi_u32 s27, s20, s5
	s_delay_alu instid0(VALU_DEP_1)
	v_sub_co_u32 v10, s26, v9, s20
	s_add_u32 s24, s5, 2
	s_addc_u32 s28, s13, 0
	s_add_i32 s27, s27, s25
	s_cmp_lg_u32 s21, 0
	v_readfirstlane_b32 s21, v10
	s_subb_u32 s23, s23, s27
	s_cmp_lg_u32 s26, 0
	s_subb_u32 s25, s23, 0
	s_delay_alu instid0(VALU_DEP_1) | instskip(SKIP_4) | instid1(SALU_CYCLE_1)
	s_cmp_ge_u32 s21, s20
	s_cselect_b32 s21, -1, 0
	s_cmp_eq_u32 s25, 0
	v_readfirstlane_b32 s25, v9
	s_cselect_b32 s21, s21, -1
	s_cmp_lg_u32 s21, 0
	s_cselect_b32 s19, s24, s19
	s_cselect_b32 s21, s28, s22
	s_cmp_ge_u32 s25, s20
	s_cselect_b32 s22, -1, 0
	s_cmp_eq_u32 s23, 0
	s_cselect_b32 s22, s22, -1
	s_delay_alu instid0(SALU_CYCLE_1) | instskip(SKIP_4) | instid1(SALU_CYCLE_1)
	s_cmp_lg_u32 s22, 0
	s_cselect_b32 s23, s21, s13
	s_cselect_b32 s22, s19, s5
	s_mov_b32 s5, 0
	s_xor_b64 s[22:23], s[22:23], s[0:1]
	s_sub_u32 s0, s22, s0
.LBB12_11:                              ;   in Loop: Header=BB12_9 Depth=1
	s_and_not1_b32 vcc_lo, exec_lo, s5
	s_cbranch_vccnz .LBB12_13
; %bb.12:                               ;   in Loop: Header=BB12_9 Depth=1
	v_readfirstlane_b32 s0, v6
	s_delay_alu instid0(VALU_DEP_1) | instskip(NEXT) | instid1(SALU_CYCLE_1)
	s_mul_i32 s1, s14, s0
	s_mul_hi_u32 s1, s0, s1
	s_delay_alu instid0(SALU_CYCLE_1) | instskip(NEXT) | instid1(SALU_CYCLE_1)
	s_add_i32 s0, s0, s1
	s_mul_hi_u32 s0, s4, s0
	s_delay_alu instid0(SALU_CYCLE_1) | instskip(NEXT) | instid1(SALU_CYCLE_1)
	s_mul_i32 s1, s0, s20
	s_sub_i32 s1, s4, s1
	s_add_i32 s4, s0, 1
	s_sub_i32 s5, s1, s20
	s_cmp_ge_u32 s1, s20
	s_cselect_b32 s0, s4, s0
	s_cselect_b32 s1, s5, s1
	s_add_i32 s4, s0, 1
	s_cmp_ge_u32 s1, s20
	s_cselect_b32 s0, s4, s0
.LBB12_13:                              ;   in Loop: Header=BB12_9 Depth=1
	s_delay_alu instid0(SALU_CYCLE_1)
	s_cmp_lg_u32 s16, s0
	s_cbranch_scc0 .LBB12_17
; %bb.14:                               ;   in Loop: Header=BB12_9 Depth=1
	s_add_i32 s1, s18, s20
	s_mov_b32 s5, s12
	s_lshl_b32 s1, s1, 5
	s_mov_b32 s19, s16
	s_add_i32 s4, s1, s6
	s_mul_hi_u32 s1, s0, s8
	s_lshl_b64 s[4:5], s[4:5], 3
	s_delay_alu instid0(SALU_CYCLE_1) | instskip(SKIP_2) | instid1(SALU_CYCLE_1)
	s_add_u32 s4, s2, s4
	s_addc_u32 s5, s3, s5
	s_add_i32 s1, s1, s0
	s_lshr_b32 s1, s1, s9
	s_delay_alu instid0(SALU_CYCLE_1) | instskip(NEXT) | instid1(SALU_CYCLE_1)
	s_mul_i32 s13, s1, s10
	s_cmp_eq_u32 s13, s0
	s_cselect_b32 s13, -1, 0
	s_cmp_lt_u32 s1, s11
	s_cselect_b32 s1, -1, 0
	s_delay_alu instid0(SALU_CYCLE_1)
	s_or_b32 s1, s1, s13
	s_mov_b32 s13, -1
	s_and_b32 vcc_lo, exec_lo, s1
	s_mov_b32 s1, s18
	s_cbranch_vccnz .LBB12_16
; %bb.15:                               ;   in Loop: Header=BB12_9 Depth=1
	s_add_i32 s1, s18, -1
	s_mov_b32 s13, 0
	s_mov_b32 s19, s0
.LBB12_16:                              ;   in Loop: Header=BB12_9 Depth=1
	v_mad_u64_u32 v[9:10], null, 0xa00, s18, v[3:4]
	s_load_b64 s[4:5], s[4:5], 0x0
	s_delay_alu instid0(VALU_DEP_1) | instskip(NEXT) | instid1(VALU_DEP_1)
	v_ashrrev_i32_e32 v10, 31, v9
	v_lshlrev_b64 v[9:10], 2, v[9:10]
	s_delay_alu instid0(VALU_DEP_1) | instskip(NEXT) | instid1(VALU_DEP_2)
	v_add_co_u32 v9, vcc_lo, s15, v9
	v_add_co_ci_u32_e32 v10, vcc_lo, s17, v10, vcc_lo
	s_waitcnt lgkmcnt(0)
	v_max_f32_e64 v11, s4, s4
	global_load_b32 v10, v[9:10], off
	v_max_f32_e32 v9, v8, v8
	s_delay_alu instid0(VALU_DEP_1) | instskip(NEXT) | instid1(VALU_DEP_1)
	v_max_f32_e32 v9, v9, v11
	v_sub_f32_e32 v12, v8, v9
	s_delay_alu instid0(VALU_DEP_1) | instskip(NEXT) | instid1(VALU_DEP_1)
	v_dual_mul_f32 v14, 0x3fb8aa3b, v12 :: v_dual_sub_f32 v11, s4, v9
	v_rndne_f32_e32 v18, v14
	s_delay_alu instid0(VALU_DEP_2) | instskip(SKIP_2) | instid1(VALU_DEP_4)
	v_mul_f32_e32 v13, 0x3fb8aa3b, v11
	v_fma_f32 v17, 0x3fb8aa3b, v12, -v14
	v_cmp_ngt_f32_e32 vcc_lo, 0xc2ce8ed0, v11
	v_sub_f32_e32 v14, v14, v18
	s_delay_alu instid0(VALU_DEP_4) | instskip(SKIP_2) | instid1(VALU_DEP_3)
	v_fma_f32 v15, 0x3fb8aa3b, v11, -v13
	v_rndne_f32_e32 v16, v13
	v_fmac_f32_e32 v17, 0x32a5705f, v12
	v_fmac_f32_e32 v15, 0x32a5705f, v11
	s_delay_alu instid0(VALU_DEP_2) | instskip(NEXT) | instid1(VALU_DEP_1)
	v_dual_sub_f32 v13, v13, v16 :: v_dual_add_f32 v14, v14, v17
	v_add_f32_e32 v13, v13, v15
	s_delay_alu instid0(VALU_DEP_2) | instskip(SKIP_2) | instid1(VALU_DEP_3)
	v_exp_f32_e32 v14, v14
	v_cvt_i32_f32_e32 v15, v16
	v_cvt_i32_f32_e32 v16, v18
	v_exp_f32_e32 v13, v13
	s_waitcnt_depctr 0xfff
	v_ldexp_f32 v14, v14, v16
	v_ldexp_f32 v13, v13, v15
	s_delay_alu instid0(VALU_DEP_1) | instskip(SKIP_1) | instid1(VALU_DEP_4)
	v_cndmask_b32_e32 v13, 0, v13, vcc_lo
	v_cmp_ngt_f32_e32 vcc_lo, 0xc2ce8ed0, v12
	v_cndmask_b32_e32 v14, 0, v14, vcc_lo
	v_cmp_nlt_f32_e32 vcc_lo, 0x42b17218, v11
	s_delay_alu instid0(VALU_DEP_4) | instskip(SKIP_1) | instid1(VALU_DEP_4)
	v_cndmask_b32_e32 v13, 0x7f800000, v13, vcc_lo
	v_cmp_nlt_f32_e32 vcc_lo, 0x42b17218, v12
	v_cndmask_b32_e32 v14, 0x7f800000, v14, vcc_lo
	v_cmp_le_f32_e32 vcc_lo, 0xc1a00000, v11
	s_delay_alu instid0(VALU_DEP_4) | instskip(SKIP_1) | instid1(VALU_DEP_4)
	v_cndmask_b32_e32 v11, 0, v13, vcc_lo
	v_cmp_le_f32_e32 vcc_lo, 0xc1a00000, v12
	v_cndmask_b32_e32 v12, 0, v14, vcc_lo
	s_waitcnt vmcnt(0)
	s_delay_alu instid0(VALU_DEP_3) | instskip(NEXT) | instid1(VALU_DEP_1)
	v_mul_f32_e32 v10, v10, v11
	v_dual_mul_f32 v11, s5, v11 :: v_dual_fmac_f32 v10, v5, v12
	s_delay_alu instid0(VALU_DEP_1)
	v_fmac_f32_e32 v11, v7, v12
	s_cbranch_execz .LBB12_18
	s_branch .LBB12_19
.LBB12_17:                              ;   in Loop: Header=BB12_9 Depth=1
                                        ; implicit-def: $sgpr13
                                        ; implicit-def: $vgpr10
                                        ; implicit-def: $vgpr9
                                        ; implicit-def: $vgpr11
                                        ; implicit-def: $sgpr1
                                        ; implicit-def: $sgpr19
.LBB12_18:                              ;   in Loop: Header=BB12_9 Depth=1
	s_waitcnt vmcnt(0)
	v_dual_mov_b32 v11, v7 :: v_dual_mov_b32 v10, v5
	v_mov_b32_e32 v9, v8
	s_add_i32 s1, s18, -1
	s_mov_b32 s13, 0
	s_mov_b32 s19, s16
.LBB12_19:                              ;   in Loop: Header=BB12_9 Depth=1
	s_and_not1_b32 vcc_lo, exec_lo, s13
	s_cbranch_vccz .LBB12_23
; %bb.20:                               ;   in Loop: Header=BB12_9 Depth=1
	v_dual_mov_b32 v7, v11 :: v_dual_mov_b32 v8, v9
	s_waitcnt vmcnt(0)
	v_mov_b32_e32 v5, v10
	s_mov_b32 s16, s19
	s_mov_b32 s18, s1
	s_branch .LBB12_9
.LBB12_21:
                                        ; implicit-def: $sgpr16_sgpr17
	s_load_b128 s[8:11], s[0:1], 0x44
	s_branch .LBB12_2
.LBB12_22:
                                        ; implicit-def: $sgpr18_sgpr19
	s_branch .LBB12_5
.LBB12_23:
	v_div_scale_f32 v0, null, v11, v11, v10
	s_delay_alu instid0(VALU_DEP_1) | instskip(SKIP_2) | instid1(VALU_DEP_1)
	v_rcp_f32_e32 v3, v0
	s_waitcnt_depctr 0xfff
	v_fma_f32 v4, -v0, v3, 1.0
	v_fmac_f32_e32 v3, v4, v3
	v_div_scale_f32 v4, vcc_lo, v10, v11, v10
	s_waitcnt vmcnt(0)
	s_delay_alu instid0(VALU_DEP_1) | instskip(NEXT) | instid1(VALU_DEP_1)
	v_mul_f32_e32 v5, v4, v3
	v_fma_f32 v6, -v0, v5, v4
	s_delay_alu instid0(VALU_DEP_1) | instskip(NEXT) | instid1(VALU_DEP_1)
	v_fmac_f32_e32 v5, v6, v3
	v_fma_f32 v0, -v0, v5, v4
	s_delay_alu instid0(VALU_DEP_1) | instskip(NEXT) | instid1(VALU_DEP_1)
	v_div_fmas_f32 v0, v0, v3, v5
	v_div_fixup_f32 v0, v0, v11, v10
	global_store_b32 v[1:2], v0, off
.LBB12_24:
	s_nop 0
	s_sendmsg sendmsg(MSG_DEALLOC_VGPRS)
	s_endpgm
	.section	.rodata,"a",@progbits
	.p2align	6, 0x0
	.amdhsa_kernel _ZL33flash_attn_stream_k_fixup_generalILi80ELi8ELi4EEvPfPK15HIP_vector_typeIfLj2EEiiiiS1_IjLj3EES5_S5_S5_
		.amdhsa_group_segment_fixed_size 0
		.amdhsa_private_segment_fixed_size 0
		.amdhsa_kernarg_size 336
		.amdhsa_user_sgpr_count 13
		.amdhsa_user_sgpr_dispatch_ptr 0
		.amdhsa_user_sgpr_queue_ptr 0
		.amdhsa_user_sgpr_kernarg_segment_ptr 1
		.amdhsa_user_sgpr_dispatch_id 0
		.amdhsa_user_sgpr_private_segment_size 0
		.amdhsa_wavefront_size32 1
		.amdhsa_uses_dynamic_stack 0
		.amdhsa_enable_private_segment 0
		.amdhsa_system_sgpr_workgroup_id_x 1
		.amdhsa_system_sgpr_workgroup_id_y 1
		.amdhsa_system_sgpr_workgroup_id_z 1
		.amdhsa_system_sgpr_workgroup_info 0
		.amdhsa_system_vgpr_workitem_id 0
		.amdhsa_next_free_vgpr 19
		.amdhsa_next_free_sgpr 32
		.amdhsa_reserve_vcc 1
		.amdhsa_float_round_mode_32 0
		.amdhsa_float_round_mode_16_64 0
		.amdhsa_float_denorm_mode_32 3
		.amdhsa_float_denorm_mode_16_64 3
		.amdhsa_dx10_clamp 1
		.amdhsa_ieee_mode 1
		.amdhsa_fp16_overflow 0
		.amdhsa_workgroup_processor_mode 1
		.amdhsa_memory_ordered 1
		.amdhsa_forward_progress 0
		.amdhsa_shared_vgpr_count 0
		.amdhsa_exception_fp_ieee_invalid_op 0
		.amdhsa_exception_fp_denorm_src 0
		.amdhsa_exception_fp_ieee_div_zero 0
		.amdhsa_exception_fp_ieee_overflow 0
		.amdhsa_exception_fp_ieee_underflow 0
		.amdhsa_exception_fp_ieee_inexact 0
		.amdhsa_exception_int_div_zero 0
	.end_amdhsa_kernel
	.section	.text._ZL33flash_attn_stream_k_fixup_generalILi80ELi8ELi4EEvPfPK15HIP_vector_typeIfLj2EEiiiiS1_IjLj3EES5_S5_S5_,"axG",@progbits,_ZL33flash_attn_stream_k_fixup_generalILi80ELi8ELi4EEvPfPK15HIP_vector_typeIfLj2EEiiiiS1_IjLj3EES5_S5_S5_,comdat
.Lfunc_end12:
	.size	_ZL33flash_attn_stream_k_fixup_generalILi80ELi8ELi4EEvPfPK15HIP_vector_typeIfLj2EEiiiiS1_IjLj3EES5_S5_S5_, .Lfunc_end12-_ZL33flash_attn_stream_k_fixup_generalILi80ELi8ELi4EEvPfPK15HIP_vector_typeIfLj2EEiiiiS1_IjLj3EES5_S5_S5_
                                        ; -- End function
	.section	.AMDGPU.csdata,"",@progbits
; Kernel info:
; codeLenInByte = 3224
; NumSgprs: 34
; NumVgprs: 19
; ScratchSize: 0
; MemoryBound: 0
; FloatMode: 240
; IeeeMode: 1
; LDSByteSize: 0 bytes/workgroup (compile time only)
; SGPRBlocks: 4
; VGPRBlocks: 2
; NumSGPRsForWavesPerEU: 34
; NumVGPRsForWavesPerEU: 19
; Occupancy: 16
; WaveLimiterHint : 0
; COMPUTE_PGM_RSRC2:SCRATCH_EN: 0
; COMPUTE_PGM_RSRC2:USER_SGPR: 13
; COMPUTE_PGM_RSRC2:TRAP_HANDLER: 0
; COMPUTE_PGM_RSRC2:TGID_X_EN: 1
; COMPUTE_PGM_RSRC2:TGID_Y_EN: 1
; COMPUTE_PGM_RSRC2:TGID_Z_EN: 1
; COMPUTE_PGM_RSRC2:TIDIG_COMP_CNT: 0
	.section	.text._ZL26flash_attn_combine_resultsILi80EEvPKfPK15HIP_vector_typeIfLj2EEPfi,"axG",@progbits,_ZL26flash_attn_combine_resultsILi80EEvPKfPK15HIP_vector_typeIfLj2EEPfi,comdat
	.globl	_ZL26flash_attn_combine_resultsILi80EEvPKfPK15HIP_vector_typeIfLj2EEPfi ; -- Begin function _ZL26flash_attn_combine_resultsILi80EEvPKfPK15HIP_vector_typeIfLj2EEPfi
	.p2align	8
	.type	_ZL26flash_attn_combine_resultsILi80EEvPKfPK15HIP_vector_typeIfLj2EEPfi,@function
_ZL26flash_attn_combine_resultsILi80EEvPKfPK15HIP_vector_typeIfLj2EEPfi: ; @_ZL26flash_attn_combine_resultsILi80EEvPKfPK15HIP_vector_typeIfLj2EEPfi
; %bb.0:
	s_clause 0x3
	s_load_b64 s[2:3], s[0:1], 0x20
	s_load_b32 s12, s[0:1], 0x18
	s_load_b128 s[8:11], s[0:1], 0x0
	s_load_b64 s[16:17], s[0:1], 0x10
	v_lshlrev_b32_e32 v7, 2, v0
	s_mov_b32 s4, exec_lo
	s_waitcnt lgkmcnt(0)
	s_mul_i32 s0, s2, s15
	s_lshl_b32 s1, s12, 1
	s_add_i32 s0, s0, s13
	s_delay_alu instid0(SALU_CYCLE_1) | instskip(NEXT) | instid1(SALU_CYCLE_1)
	s_mul_i32 s7, s0, s3
	s_add_i32 s7, s7, s14
	s_delay_alu instid0(SALU_CYCLE_1)
	s_mul_i32 s2, s7, s12
	v_cmpx_gt_i32_e64 s1, v0
	s_cbranch_execz .LBB13_3
; %bb.1:
	s_ashr_i32 s3, s2, 31
	v_dual_mov_b32 v4, v0 :: v_dual_add_nc_u32 v3, 0, v7
	s_lshl_b64 s[14:15], s[2:3], 3
	s_delay_alu instid0(SALU_CYCLE_1) | instskip(SKIP_2) | instid1(VALU_DEP_1)
	s_add_u32 s0, s10, s14
	s_addc_u32 s3, s11, s15
	v_add_co_u32 v1, s0, s0, v7
	v_add_co_ci_u32_e64 v2, null, s3, 0, s0
	s_mov_b32 s3, 0
	.p2align	6
.LBB13_2:                               ; =>This Inner Loop Header: Depth=1
	global_load_b32 v5, v[1:2], off
	v_add_nc_u32_e32 v4, 0x50, v4
	v_add_co_u32 v1, vcc_lo, 0x140, v1
	v_add_co_ci_u32_e32 v2, vcc_lo, 0, v2, vcc_lo
	s_delay_alu instid0(VALU_DEP_3) | instskip(NEXT) | instid1(VALU_DEP_1)
	v_cmp_le_i32_e64 s0, s1, v4
	s_or_b32 s3, s0, s3
	s_waitcnt vmcnt(0)
	ds_store_b32 v3, v5
	v_add_nc_u32_e32 v3, 0x140, v3
	s_and_not1_b32 exec_lo, exec_lo, s3
	s_cbranch_execnz .LBB13_2
.LBB13_3:
	s_or_b32 exec_lo, exec_lo, s4
	v_mov_b32_e32 v1, 0
	s_waitcnt lgkmcnt(0)
	s_barrier
	buffer_gl0_inv
	s_cmp_lt_i32 s12, 2
	ds_load_b32 v8, v1
	s_cbranch_scc1 .LBB13_11
; %bb.4:
	s_add_i32 s1, s12, -2
	s_add_i32 s0, s12, -1
	s_cmp_lt_u32 s1, 7
	s_cbranch_scc1 .LBB13_8
; %bb.5:
	s_mov_b32 s3, 0
	s_add_i32 s1, 0, 8
	s_and_b32 s4, s0, -8
	.p2align	6
.LBB13_6:                               ; =>This Inner Loop Header: Depth=1
	v_mov_b32_e32 v9, s1
	s_mov_b32 s5, s3
	s_add_i32 s3, s3, 8
	s_add_i32 s1, s1, 64
	s_cmp_eq_u32 s4, s3
	ds_load_2addr_b32 v[1:2], v9 offset1:2
	ds_load_2addr_b32 v[3:4], v9 offset0:4 offset1:6
	ds_load_2addr_b32 v[5:6], v9 offset0:8 offset1:10
	;; [unrolled: 1-line block ×3, first 2 shown]
	s_waitcnt lgkmcnt(3)
	v_max3_f32 v1, v8, v1, v2
	s_waitcnt lgkmcnt(2)
	s_delay_alu instid0(VALU_DEP_1) | instskip(SKIP_1) | instid1(VALU_DEP_1)
	v_max3_f32 v1, v1, v3, v4
	s_waitcnt lgkmcnt(1)
	v_max3_f32 v1, v1, v5, v6
	s_waitcnt lgkmcnt(0)
	s_delay_alu instid0(VALU_DEP_1)
	v_max3_f32 v8, v1, v9, v10
	s_cbranch_scc0 .LBB13_6
; %bb.7:
	s_add_i32 s1, s5, 9
	s_and_b32 s0, s0, 7
	s_delay_alu instid0(SALU_CYCLE_1)
	s_cmp_eq_u32 s0, 0
	s_cbranch_scc0 .LBB13_9
	s_branch .LBB13_11
.LBB13_8:
	s_mov_b32 s1, 1
	s_and_b32 s0, s0, 7
	s_delay_alu instid0(SALU_CYCLE_1)
	s_cmp_eq_u32 s0, 0
	s_cbranch_scc1 .LBB13_11
.LBB13_9:
	s_lshl_b32 s1, s1, 3
	s_delay_alu instid0(SALU_CYCLE_1)
	s_add_i32 s1, s1, 0
.LBB13_10:                              ; =>This Inner Loop Header: Depth=1
	s_waitcnt lgkmcnt(0)
	s_delay_alu instid0(VALU_DEP_1)
	v_dual_mov_b32 v1, s1 :: v_dual_max_f32 v2, v8, v8
	s_add_i32 s0, s0, -1
	s_add_i32 s1, s1, 8
	s_cmp_lg_u32 s0, 0
	ds_load_b32 v1, v1
	s_waitcnt lgkmcnt(0)
	v_max_f32_e32 v1, v1, v1
	s_delay_alu instid0(VALU_DEP_1)
	v_max_f32_e32 v8, v2, v1
	s_cbranch_scc1 .LBB13_10
.LBB13_11:
	s_cmp_lt_i32 s12, 1
	s_cbranch_scc1 .LBB13_16
; %bb.12:
	s_mul_i32 s10, s2, 0x50
	v_mov_b32_e32 v9, 0
	s_ashr_i32 s11, s10, 31
	s_cmp_lt_u32 s12, 8
	s_mov_b32 s14, 0
	s_cbranch_scc1 .LBB13_17
; %bb.13:
	s_lshl_b64 s[0:1], s[10:11], 2
	v_dual_mov_b32 v6, 0 :: v_dual_add_nc_u32 v3, 0x140, v0
	s_add_u32 s15, s8, s0
	s_addc_u32 s18, s9, s1
	v_add_co_u32 v1, s0, s15, v7
	s_delay_alu instid0(VALU_DEP_1) | instskip(SKIP_1) | instid1(VALU_DEP_3)
	v_add_co_ci_u32_e64 v2, null, s18, 0, s0
	v_dual_mov_b32 v10, 0 :: v_dual_mov_b32 v9, 0
	v_add_co_u32 v1, vcc_lo, 0x140, v1
	s_delay_alu instid0(VALU_DEP_3)
	v_add_co_ci_u32_e32 v2, vcc_lo, 0, v2, vcc_lo
	s_and_b32 s13, s12, 0x7ffffff8
	s_mov_b32 s19, 0
.LBB13_14:                              ; =>This Inner Loop Header: Depth=1
	v_dual_mov_b32 v4, v6 :: v_dual_add_nc_u32 v5, 0xfffffec0, v3
	s_clause 0x1
	global_load_b32 v27, v[1:2], off
	global_load_b32 v28, v[1:2], off offset:320
	s_add_i32 s19, s19, 8
	v_lshlrev_b64 v[11:12], 2, v[5:6]
	v_lshlrev_b64 v[13:14], 2, v[3:4]
	v_add_nc_u32_e32 v5, 0xffffffb0, v3
	s_delay_alu instid0(VALU_DEP_3) | instskip(NEXT) | instid1(VALU_DEP_4)
	v_add_co_u32 v11, vcc_lo, s15, v11
	v_add_co_ci_u32_e32 v12, vcc_lo, s18, v12, vcc_lo
	s_delay_alu instid0(VALU_DEP_3)
	v_lshlrev_b64 v[15:16], 2, v[5:6]
	v_add_co_u32 v13, vcc_lo, s15, v13
	global_load_b32 v29, v[11:12], off
	v_add_nc_u32_e32 v5, 0x50, v3
	v_add_co_ci_u32_e32 v14, vcc_lo, s18, v14, vcc_lo
	v_add_co_u32 v15, vcc_lo, s15, v15
	v_add_co_ci_u32_e32 v16, vcc_lo, s18, v16, vcc_lo
	global_load_b32 v31, v[13:14], off
	v_lshlrev_b64 v[11:12], 2, v[5:6]
	v_add_nc_u32_e32 v5, 0xa0, v3
	global_load_b32 v30, v[15:16], off
	v_lshlrev_b64 v[17:18], 2, v[5:6]
	v_add_nc_u32_e32 v5, 0xf0, v3
	v_add_co_u32 v11, vcc_lo, s15, v11
	v_add_co_ci_u32_e32 v12, vcc_lo, s18, v12, vcc_lo
	s_delay_alu instid0(VALU_DEP_3)
	v_lshlrev_b64 v[4:5], 2, v[5:6]
	v_add_nc_u32_e32 v3, 0x280, v3
	global_load_b32 v32, v[11:12], off
	v_add_co_u32 v11, vcc_lo, s15, v17
	v_add_co_ci_u32_e32 v12, vcc_lo, s18, v18, vcc_lo
	v_add_co_u32 v4, vcc_lo, s15, v4
	v_add_co_ci_u32_e32 v5, vcc_lo, s18, v5, vcc_lo
	s_clause 0x1
	global_load_b32 v33, v[11:12], off
	global_load_b32 v4, v[4:5], off
	v_mov_b32_e32 v5, s14
	ds_load_2addr_b64 v[11:14], v5 offset1:1
	ds_load_2addr_b64 v[15:18], v5 offset0:2 offset1:3
	ds_load_2addr_b64 v[19:22], v5 offset0:4 offset1:5
	ds_load_2addr_b64 v[23:26], v5 offset0:6 offset1:7
	s_add_i32 s14, s14, 64
	s_cmp_eq_u32 s13, s19
	s_waitcnt lgkmcnt(3)
	v_sub_f32_e32 v5, v11, v8
	v_sub_f32_e32 v11, v13, v8
	s_waitcnt lgkmcnt(2)
	v_sub_f32_e32 v13, v15, v8
	v_sub_f32_e32 v15, v17, v8
	;; [unrolled: 3-line block ×3, first 2 shown]
	s_waitcnt lgkmcnt(0)
	s_delay_alu instid0(VALU_DEP_1) | instskip(SKIP_2) | instid1(VALU_DEP_3)
	v_dual_sub_f32 v21, v23, v8 :: v_dual_mul_f32 v38, 0x3fb8aa3b, v19
	v_mul_f32_e32 v34, 0x3fb8aa3b, v11
	v_cmp_ngt_f32_e32 vcc_lo, 0xc2ce8ed0, v11
	v_fma_f32 v51, 0x3fb8aa3b, v19, -v38
	s_delay_alu instid0(VALU_DEP_3) | instskip(SKIP_2) | instid1(VALU_DEP_4)
	v_fma_f32 v43, 0x3fb8aa3b, v11, -v34
	v_rndne_f32_e32 v44, v34
	v_rndne_f32_e32 v52, v38
	v_fmac_f32_e32 v51, 0x32a5705f, v19
	s_delay_alu instid0(VALU_DEP_3) | instskip(SKIP_1) | instid1(VALU_DEP_4)
	v_dual_fmac_f32 v43, 0x32a5705f, v11 :: v_dual_sub_f32 v34, v34, v44
	v_cvt_i32_f32_e32 v44, v44
	v_sub_f32_e32 v38, v38, v52
	v_cvt_i32_f32_e32 v52, v52
	s_delay_alu instid0(VALU_DEP_4)
	v_add_f32_e32 v34, v34, v43
	v_mul_f32_e32 v36, 0x3fb8aa3b, v15
	v_cmp_ngt_f32_e64 s6, 0xc2ce8ed0, v5
	v_cmp_ngt_f32_e64 s1, 0xc2ce8ed0, v15
	v_add_f32_e32 v38, v38, v51
	v_exp_f32_e32 v34, v34
	v_fma_f32 v47, 0x3fb8aa3b, v15, -v36
	v_rndne_f32_e32 v48, v36
	v_cmp_ngt_f32_e64 s3, 0xc2ce8ed0, v19
	v_exp_f32_e32 v38, v38
	s_delay_alu instid0(VALU_DEP_2) | instskip(SKIP_1) | instid1(TRANS32_DEP_2)
	v_dual_fmac_f32 v47, 0x32a5705f, v15 :: v_dual_sub_f32 v36, v36, v48
	v_cvt_i32_f32_e32 v48, v48
	v_ldexp_f32 v34, v34, v44
	v_sub_f32_e32 v23, v25, v8
	s_delay_alu instid0(VALU_DEP_4) | instskip(SKIP_1) | instid1(VALU_DEP_4)
	v_dual_mul_f32 v25, 0x3fb8aa3b, v5 :: v_dual_add_f32 v36, v36, v47
	v_cmp_ngt_f32_e64 s2, 0xc2ce8ed0, v17
	v_cndmask_b32_e32 v34, 0, v34, vcc_lo
	v_cmp_nlt_f32_e32 vcc_lo, 0x42b17218, v5
	s_delay_alu instid0(VALU_DEP_4)
	v_fma_f32 v41, 0x3fb8aa3b, v5, -v25
	v_rndne_f32_e32 v42, v25
	v_mul_f32_e32 v40, 0x3fb8aa3b, v23
	v_exp_f32_e32 v36, v36
	v_cmp_ngt_f32_e64 s0, 0xc2ce8ed0, v13
	v_fmac_f32_e32 v41, 0x32a5705f, v5
	v_sub_f32_e32 v25, v25, v42
	v_cvt_i32_f32_e32 v42, v42
	v_fma_f32 v55, 0x3fb8aa3b, v23, -v40
	v_rndne_f32_e32 v56, v40
	v_ldexp_f32 v38, v38, v52
	v_add_f32_e32 v25, v25, v41
	v_cmp_ngt_f32_e64 s5, 0xc2ce8ed0, v23
	v_ldexp_f32 v36, v36, v48
	v_dual_fmac_f32 v55, 0x32a5705f, v23 :: v_dual_sub_f32 v40, v40, v56
	s_delay_alu instid0(VALU_DEP_4) | instskip(SKIP_1) | instid1(VALU_DEP_3)
	v_exp_f32_e32 v25, v25
	v_cvt_i32_f32_e32 v56, v56
	v_cndmask_b32_e64 v36, 0, v36, s1
	v_cndmask_b32_e64 v38, 0, v38, s3
	v_add_f32_e32 v40, v40, v55
	v_cmp_ngt_f32_e64 s4, 0xc2ce8ed0, v21
	s_delay_alu instid0(VALU_DEP_2) | instskip(NEXT) | instid1(TRANS32_DEP_2)
	v_exp_f32_e32 v40, v40
	v_ldexp_f32 v25, v25, v42
	s_delay_alu instid0(VALU_DEP_1) | instskip(SKIP_4) | instid1(VALU_DEP_3)
	v_cndmask_b32_e64 v25, 0, v25, s6
	s_waitcnt_depctr 0xfff
	v_ldexp_f32 v40, v40, v56
	v_cndmask_b32_e32 v5, 0x7f800000, v25, vcc_lo
	v_cmp_nlt_f32_e32 vcc_lo, 0x42b17218, v11
	v_cndmask_b32_e64 v40, 0, v40, s5
	s_delay_alu instid0(VALU_DEP_3) | instskip(SKIP_2) | instid1(VALU_DEP_3)
	v_dual_fmac_f32 v10, v5, v12 :: v_dual_cndmask_b32 v11, 0x7f800000, v34
	v_mul_f32_e32 v35, 0x3fb8aa3b, v13
	v_cmp_nlt_f32_e32 vcc_lo, 0x42b17218, v13
	v_fmac_f32_e32 v10, v11, v14
	s_delay_alu instid0(VALU_DEP_3) | instskip(SKIP_1) | instid1(VALU_DEP_2)
	v_fma_f32 v45, 0x3fb8aa3b, v13, -v35
	v_rndne_f32_e32 v46, v35
	v_fmac_f32_e32 v45, 0x32a5705f, v13
	s_delay_alu instid0(VALU_DEP_2) | instskip(SKIP_1) | instid1(VALU_DEP_2)
	v_sub_f32_e32 v35, v35, v46
	v_cvt_i32_f32_e32 v46, v46
	v_add_f32_e32 v35, v35, v45
	s_delay_alu instid0(VALU_DEP_1) | instskip(SKIP_2) | instid1(VALU_DEP_1)
	v_exp_f32_e32 v35, v35
	s_waitcnt_depctr 0xfff
	v_ldexp_f32 v35, v35, v46
	v_cndmask_b32_e64 v35, 0, v35, s0
	v_cmp_nlt_f32_e64 s0, 0x42b17218, v23
	s_waitcnt vmcnt(5)
	v_fmac_f32_e32 v9, v29, v5
	s_delay_alu instid0(VALU_DEP_3) | instskip(SKIP_2) | instid1(VALU_DEP_3)
	v_cndmask_b32_e32 v5, 0x7f800000, v35, vcc_lo
	v_mul_f32_e32 v37, 0x3fb8aa3b, v17
	v_cmp_nlt_f32_e32 vcc_lo, 0x42b17218, v15
	v_dual_fmac_f32 v9, v27, v11 :: v_dual_fmac_f32 v10, v5, v16
	s_delay_alu instid0(VALU_DEP_3)
	v_fma_f32 v49, 0x3fb8aa3b, v17, -v37
	v_rndne_f32_e32 v50, v37
	v_cndmask_b32_e32 v11, 0x7f800000, v36, vcc_lo
	v_mul_f32_e32 v39, 0x3fb8aa3b, v21
	v_fmac_f32_e32 v9, v28, v5
	v_fmac_f32_e32 v49, 0x32a5705f, v17
	v_sub_f32_e32 v37, v37, v50
	v_fmac_f32_e32 v10, v11, v18
	v_fma_f32 v53, 0x3fb8aa3b, v21, -v39
	v_rndne_f32_e32 v54, v39
	v_cvt_i32_f32_e32 v50, v50
	v_add_f32_e32 v37, v37, v49
	v_cmp_nlt_f32_e32 vcc_lo, 0x42b17218, v17
	v_fmac_f32_e32 v53, 0x32a5705f, v21
	v_sub_f32_e32 v39, v39, v54
	v_cvt_i32_f32_e32 v54, v54
	v_exp_f32_e32 v37, v37
	s_waitcnt vmcnt(3)
	v_fmac_f32_e32 v9, v30, v11
	v_add_f32_e32 v39, v39, v53
	s_delay_alu instid0(VALU_DEP_1) | instskip(SKIP_2) | instid1(VALU_DEP_1)
	v_exp_f32_e32 v39, v39
	s_waitcnt_depctr 0xfff
	v_ldexp_f32 v37, v37, v50
	v_cndmask_b32_e64 v37, 0, v37, s2
	v_ldexp_f32 v39, v39, v54
	s_delay_alu instid0(VALU_DEP_2) | instskip(SKIP_1) | instid1(VALU_DEP_3)
	v_cndmask_b32_e32 v5, 0x7f800000, v37, vcc_lo
	v_cmp_nlt_f32_e32 vcc_lo, 0x42b17218, v19
	v_cndmask_b32_e64 v39, 0, v39, s4
	s_delay_alu instid0(VALU_DEP_3) | instskip(SKIP_3) | instid1(VALU_DEP_2)
	v_dual_fmac_f32 v10, v5, v20 :: v_dual_cndmask_b32 v11, 0x7f800000, v38
	v_fmac_f32_e32 v9, v31, v5
	v_cmp_nlt_f32_e32 vcc_lo, 0x42b17218, v21
	s_waitcnt vmcnt(2)
	v_dual_fmac_f32 v10, v11, v22 :: v_dual_fmac_f32 v9, v32, v11
	v_cndmask_b32_e32 v5, 0x7f800000, v39, vcc_lo
	v_cndmask_b32_e64 v11, 0x7f800000, v40, s0
	v_add_co_u32 v1, vcc_lo, 0xa00, v1
	v_add_co_ci_u32_e32 v2, vcc_lo, 0, v2, vcc_lo
	s_delay_alu instid0(VALU_DEP_4) | instskip(SKIP_1) | instid1(VALU_DEP_1)
	v_fmac_f32_e32 v10, v5, v24
	s_waitcnt vmcnt(1)
	v_dual_fmac_f32 v9, v33, v5 :: v_dual_fmac_f32 v10, v11, v26
	s_waitcnt vmcnt(0)
	s_delay_alu instid0(VALU_DEP_1)
	v_fmac_f32_e32 v9, v4, v11
	s_cbranch_scc0 .LBB13_14
; %bb.15:
	s_and_b32 s1, s12, 7
	s_delay_alu instid0(SALU_CYCLE_1)
	s_cmp_eq_u32 s1, 0
	s_cbranch_scc0 .LBB13_18
	s_branch .LBB13_20
.LBB13_16:
	v_mov_b32_e32 v0, 0x7fc00000
	s_branch .LBB13_21
.LBB13_17:
	v_mov_b32_e32 v10, 0
	s_mov_b32 s13, 0
	s_and_b32 s1, s12, 7
	s_delay_alu instid0(SALU_CYCLE_1)
	s_cmp_eq_u32 s1, 0
	s_cbranch_scc1 .LBB13_20
.LBB13_18:
	v_mad_u64_u32 v[1:2], null, 0x50, s13, v[0:1]
	v_mov_b32_e32 v2, 0
	s_lshl_b64 s[2:3], s[10:11], 2
	s_delay_alu instid0(SALU_CYCLE_1) | instskip(SKIP_1) | instid1(VALU_DEP_1)
	s_add_u32 s0, s8, s2
	s_addc_u32 s2, s9, s3
	v_lshlrev_b64 v[0:1], 2, v[1:2]
	s_delay_alu instid0(VALU_DEP_1) | instskip(NEXT) | instid1(VALU_DEP_2)
	v_add_co_u32 v0, vcc_lo, s0, v0
	v_add_co_ci_u32_e32 v1, vcc_lo, s2, v1, vcc_lo
	s_lshl_b32 s0, s13, 3
	s_delay_alu instid0(SALU_CYCLE_1)
	s_add_i32 s2, s0, 0
	s_set_inst_prefetch_distance 0x1
	.p2align	6
.LBB13_19:                              ; =>This Inner Loop Header: Depth=1
	global_load_b32 v4, v[0:1], off
	v_mov_b32_e32 v2, s2
	s_add_i32 s1, s1, -1
	s_add_i32 s2, s2, 8
	s_cmp_lg_u32 s1, 0
	ds_load_b64 v[2:3], v2
	s_waitcnt lgkmcnt(0)
	v_sub_f32_e32 v2, v2, v8
	s_delay_alu instid0(VALU_DEP_1) | instskip(NEXT) | instid1(VALU_DEP_1)
	v_mul_f32_e32 v5, 0x3fb8aa3b, v2
	v_fma_f32 v6, 0x3fb8aa3b, v2, -v5
	v_rndne_f32_e32 v11, v5
	s_delay_alu instid0(VALU_DEP_1) | instskip(NEXT) | instid1(VALU_DEP_1)
	v_dual_fmac_f32 v6, 0x32a5705f, v2 :: v_dual_sub_f32 v5, v5, v11
	v_add_f32_e32 v5, v5, v6
	v_cvt_i32_f32_e32 v6, v11
	v_cmp_ngt_f32_e32 vcc_lo, 0xc2ce8ed0, v2
	v_cmp_nlt_f32_e64 s0, 0x42b17218, v2
	s_delay_alu instid0(VALU_DEP_4) | instskip(SKIP_2) | instid1(VALU_DEP_1)
	v_exp_f32_e32 v5, v5
	s_waitcnt_depctr 0xfff
	v_ldexp_f32 v5, v5, v6
	v_cndmask_b32_e32 v5, 0, v5, vcc_lo
	v_add_co_u32 v0, vcc_lo, 0x140, v0
	v_add_co_ci_u32_e32 v1, vcc_lo, 0, v1, vcc_lo
	s_delay_alu instid0(VALU_DEP_3) | instskip(SKIP_1) | instid1(VALU_DEP_1)
	v_cndmask_b32_e64 v2, 0x7f800000, v5, s0
	s_waitcnt vmcnt(0)
	v_dual_fmac_f32 v10, v2, v3 :: v_dual_fmac_f32 v9, v4, v2
	s_cbranch_scc1 .LBB13_19
.LBB13_20:
	s_set_inst_prefetch_distance 0x2
	s_delay_alu instid0(VALU_DEP_1) | instskip(NEXT) | instid1(VALU_DEP_1)
	v_div_scale_f32 v0, null, v10, v10, v9
	v_rcp_f32_e32 v1, v0
	s_waitcnt_depctr 0xfff
	v_fma_f32 v2, -v0, v1, 1.0
	s_delay_alu instid0(VALU_DEP_1) | instskip(SKIP_1) | instid1(VALU_DEP_1)
	v_fmac_f32_e32 v1, v2, v1
	v_div_scale_f32 v2, vcc_lo, v9, v10, v9
	v_mul_f32_e32 v3, v2, v1
	s_delay_alu instid0(VALU_DEP_1) | instskip(NEXT) | instid1(VALU_DEP_1)
	v_fma_f32 v4, -v0, v3, v2
	v_fmac_f32_e32 v3, v4, v1
	s_delay_alu instid0(VALU_DEP_1) | instskip(NEXT) | instid1(VALU_DEP_1)
	v_fma_f32 v0, -v0, v3, v2
	v_div_fmas_f32 v0, v0, v1, v3
	s_delay_alu instid0(VALU_DEP_1)
	v_div_fixup_f32 v0, v0, v10, v9
.LBB13_21:
	s_mul_i32 s0, s7, 0x50
	s_delay_alu instid0(SALU_CYCLE_1) | instskip(NEXT) | instid1(SALU_CYCLE_1)
	s_ashr_i32 s1, s0, 31
	s_lshl_b64 s[0:1], s[0:1], 2
	s_delay_alu instid0(SALU_CYCLE_1)
	s_add_u32 s0, s16, s0
	s_addc_u32 s1, s17, s1
	global_store_b32 v7, v0, s[0:1]
	s_nop 0
	s_sendmsg sendmsg(MSG_DEALLOC_VGPRS)
	s_endpgm
	.section	.rodata,"a",@progbits
	.p2align	6, 0x0
	.amdhsa_kernel _ZL26flash_attn_combine_resultsILi80EEvPKfPK15HIP_vector_typeIfLj2EEPfi
		.amdhsa_group_segment_fixed_size 0
		.amdhsa_private_segment_fixed_size 0
		.amdhsa_kernarg_size 288
		.amdhsa_user_sgpr_count 13
		.amdhsa_user_sgpr_dispatch_ptr 0
		.amdhsa_user_sgpr_queue_ptr 0
		.amdhsa_user_sgpr_kernarg_segment_ptr 1
		.amdhsa_user_sgpr_dispatch_id 0
		.amdhsa_user_sgpr_private_segment_size 0
		.amdhsa_wavefront_size32 1
		.amdhsa_uses_dynamic_stack 0
		.amdhsa_enable_private_segment 0
		.amdhsa_system_sgpr_workgroup_id_x 1
		.amdhsa_system_sgpr_workgroup_id_y 1
		.amdhsa_system_sgpr_workgroup_id_z 1
		.amdhsa_system_sgpr_workgroup_info 0
		.amdhsa_system_vgpr_workitem_id 0
		.amdhsa_next_free_vgpr 57
		.amdhsa_next_free_sgpr 20
		.amdhsa_reserve_vcc 1
		.amdhsa_float_round_mode_32 0
		.amdhsa_float_round_mode_16_64 0
		.amdhsa_float_denorm_mode_32 3
		.amdhsa_float_denorm_mode_16_64 3
		.amdhsa_dx10_clamp 1
		.amdhsa_ieee_mode 1
		.amdhsa_fp16_overflow 0
		.amdhsa_workgroup_processor_mode 1
		.amdhsa_memory_ordered 1
		.amdhsa_forward_progress 0
		.amdhsa_shared_vgpr_count 0
		.amdhsa_exception_fp_ieee_invalid_op 0
		.amdhsa_exception_fp_denorm_src 0
		.amdhsa_exception_fp_ieee_div_zero 0
		.amdhsa_exception_fp_ieee_overflow 0
		.amdhsa_exception_fp_ieee_underflow 0
		.amdhsa_exception_fp_ieee_inexact 0
		.amdhsa_exception_int_div_zero 0
	.end_amdhsa_kernel
	.section	.text._ZL26flash_attn_combine_resultsILi80EEvPKfPK15HIP_vector_typeIfLj2EEPfi,"axG",@progbits,_ZL26flash_attn_combine_resultsILi80EEvPKfPK15HIP_vector_typeIfLj2EEPfi,comdat
.Lfunc_end13:
	.size	_ZL26flash_attn_combine_resultsILi80EEvPKfPK15HIP_vector_typeIfLj2EEPfi, .Lfunc_end13-_ZL26flash_attn_combine_resultsILi80EEvPKfPK15HIP_vector_typeIfLj2EEPfi
                                        ; -- End function
	.section	.AMDGPU.csdata,"",@progbits
; Kernel info:
; codeLenInByte = 2380
; NumSgprs: 22
; NumVgprs: 57
; ScratchSize: 0
; MemoryBound: 0
; FloatMode: 240
; IeeeMode: 1
; LDSByteSize: 0 bytes/workgroup (compile time only)
; SGPRBlocks: 2
; VGPRBlocks: 7
; NumSGPRsForWavesPerEU: 22
; NumVGPRsForWavesPerEU: 57
; Occupancy: 16
; WaveLimiterHint : 1
; COMPUTE_PGM_RSRC2:SCRATCH_EN: 0
; COMPUTE_PGM_RSRC2:USER_SGPR: 13
; COMPUTE_PGM_RSRC2:TRAP_HANDLER: 0
; COMPUTE_PGM_RSRC2:TGID_X_EN: 1
; COMPUTE_PGM_RSRC2:TGID_Y_EN: 1
; COMPUTE_PGM_RSRC2:TGID_Z_EN: 1
; COMPUTE_PGM_RSRC2:TIDIG_COMP_CNT: 0
	.section	.text._ZL18flash_attn_ext_f16ILi96ELi96ELi8ELi4ELb0ELb0EEvPKcS1_S1_S1_S1_PKiPfP15HIP_vector_typeIfLj2EEffffjfiS5_IjLj3EEiiiiiiiiiiiliiliiiiil,"axG",@progbits,_ZL18flash_attn_ext_f16ILi96ELi96ELi8ELi4ELb0ELb0EEvPKcS1_S1_S1_S1_PKiPfP15HIP_vector_typeIfLj2EEffffjfiS5_IjLj3EEiiiiiiiiiiiliiliiiiil,comdat
	.globl	_ZL18flash_attn_ext_f16ILi96ELi96ELi8ELi4ELb0ELb0EEvPKcS1_S1_S1_S1_PKiPfP15HIP_vector_typeIfLj2EEffffjfiS5_IjLj3EEiiiiiiiiiiiliiliiiiil ; -- Begin function _ZL18flash_attn_ext_f16ILi96ELi96ELi8ELi4ELb0ELb0EEvPKcS1_S1_S1_S1_PKiPfP15HIP_vector_typeIfLj2EEffffjfiS5_IjLj3EEiiiiiiiiiiiliiliiiiil
	.p2align	8
	.type	_ZL18flash_attn_ext_f16ILi96ELi96ELi8ELi4ELb0ELb0EEvPKcS1_S1_S1_S1_PKiPfP15HIP_vector_typeIfLj2EEffffjfiS5_IjLj3EEiiiiiiiiiiiliiliiiiil,@function
_ZL18flash_attn_ext_f16ILi96ELi96ELi8ELi4ELb0ELb0EEvPKcS1_S1_S1_S1_PKiPfP15HIP_vector_typeIfLj2EEffffjfiS5_IjLj3EEiiiiiiiiiiiliiliiiiil: ; @_ZL18flash_attn_ext_f16ILi96ELi96ELi8ELi4ELb0ELb0EEvPKcS1_S1_S1_S1_PKiPfP15HIP_vector_typeIfLj2EEffffjfiS5_IjLj3EEiiiiiiiiiiiliiliiiiil
; %bb.0:
	s_clause 0x2
	s_load_b64 s[2:3], s[0:1], 0x80
	s_load_b128 s[8:11], s[0:1], 0x64
	s_load_b32 s37, s[0:1], 0xd0
	v_cvt_f32_ubyte0_e32 v2, 0
	s_mov_b32 s36, s15
	s_waitcnt lgkmcnt(0)
	s_abs_i32 s4, s3
	s_abs_i32 s7, s9
	v_cvt_f32_u32_e32 v1, s4
	s_sub_i32 s6, 0, s4
	v_cvt_f32_u32_e32 v3, s37
	s_delay_alu instid0(VALU_DEP_2) | instskip(SKIP_2) | instid1(VALU_DEP_1)
	v_rcp_iflag_f32_e32 v1, v1
	s_waitcnt_depctr 0xfff
	v_mul_f32_e32 v1, 0x4f7ffffe, v1
	v_cvt_u32_f32_e32 v1, v1
	s_delay_alu instid0(VALU_DEP_1) | instskip(NEXT) | instid1(VALU_DEP_1)
	v_readfirstlane_b32 s5, v1
	s_mul_i32 s6, s6, s5
	s_delay_alu instid0(SALU_CYCLE_1) | instskip(NEXT) | instid1(SALU_CYCLE_1)
	s_mul_hi_u32 s6, s5, s6
	s_add_i32 s5, s5, s6
	s_xor_b32 s6, s9, s3
	s_mul_hi_u32 s5, s7, s5
	s_ashr_i32 s6, s6, 31
	s_mul_i32 s12, s5, s4
	s_delay_alu instid0(SALU_CYCLE_1)
	s_sub_i32 s7, s7, s12
	s_add_i32 s12, s5, 1
	s_sub_i32 s13, s7, s4
	s_cmp_ge_u32 s7, s4
	s_cselect_b32 s5, s12, s5
	s_cselect_b32 s7, s13, s7
	s_add_i32 s12, s5, 1
	s_cmp_ge_u32 s7, s4
	s_cselect_b32 s4, s12, s5
	s_add_i32 s2, s2, 63
	s_xor_b32 s4, s4, s6
	s_add_i32 s5, s8, 7
	s_sub_i32 s33, s4, s6
	s_ashr_i32 s7, s2, 31
	s_add_i32 s4, s33, 3
	s_lshr_b32 s76, s5, 3
	s_lshr_b32 s5, s7, 26
	s_ashr_i32 s6, s4, 31
	s_add_i32 s2, s2, s5
	s_lshr_b32 s5, s6, 30
	s_ashr_i32 s80, s2, 6
	s_add_i32 s4, s4, s5
	s_mul_i32 s75, s76, s80
	s_ashr_i32 s2, s4, 2
	s_delay_alu instid0(SALU_CYCLE_1) | instskip(SKIP_2) | instid1(SALU_CYCLE_1)
	s_mul_i32 s78, s75, s2
	s_mov_b32 s2, 0
	s_mul_i32 s77, s78, s3
	s_mul_i32 s4, s77, s10
	s_delay_alu instid0(SALU_CYCLE_1) | instskip(SKIP_2) | instid1(SALU_CYCLE_1)
	s_ashr_i32 s5, s4, 31
	s_mul_hi_u32 s3, s4, s15
	s_mul_i32 s6, s5, s15
	s_add_i32 s3, s3, s6
	s_mul_i32 s6, s4, s15
	s_cmp_lg_u64 s[2:3], 0
	s_cbranch_scc0 .LBB14_427
; %bb.1:
	v_fmamk_f32 v1, v2, 0x4f800000, v3
	s_sub_u32 s12, 0, s37
	s_subb_u32 s13, 0, 0
	s_delay_alu instid0(VALU_DEP_1) | instskip(SKIP_2) | instid1(VALU_DEP_1)
	v_rcp_f32_e32 v1, v1
	s_waitcnt_depctr 0xfff
	v_mul_f32_e32 v1, 0x5f7ffffc, v1
	v_mul_f32_e32 v4, 0x2f800000, v1
	s_delay_alu instid0(VALU_DEP_1) | instskip(NEXT) | instid1(VALU_DEP_1)
	v_trunc_f32_e32 v4, v4
	v_fmamk_f32 v1, v4, 0xcf800000, v1
	v_cvt_u32_f32_e32 v4, v4
	s_delay_alu instid0(VALU_DEP_2) | instskip(NEXT) | instid1(VALU_DEP_2)
	v_cvt_u32_f32_e32 v1, v1
	v_readfirstlane_b32 s7, v4
	s_delay_alu instid0(VALU_DEP_2) | instskip(NEXT) | instid1(VALU_DEP_2)
	v_readfirstlane_b32 s10, v1
	s_mul_i32 s14, s12, s7
	s_delay_alu instid0(VALU_DEP_1)
	s_mul_hi_u32 s16, s12, s10
	s_mul_i32 s15, s13, s10
	s_add_i32 s14, s16, s14
	s_mul_i32 s17, s12, s10
	s_add_i32 s14, s14, s15
	s_mul_hi_u32 s16, s10, s17
	s_mul_hi_u32 s18, s7, s17
	s_mul_i32 s15, s7, s17
	s_mul_hi_u32 s17, s10, s14
	s_mul_i32 s10, s10, s14
	s_mul_hi_u32 s19, s7, s14
	s_add_u32 s10, s16, s10
	s_addc_u32 s16, 0, s17
	s_add_u32 s10, s10, s15
	s_mul_i32 s14, s7, s14
	s_addc_u32 s10, s16, s18
	s_addc_u32 s15, s19, 0
	s_add_u32 s10, s10, s14
	s_addc_u32 s14, 0, s15
	v_add_co_u32 v1, s10, v1, s10
	s_delay_alu instid0(VALU_DEP_1) | instskip(SKIP_1) | instid1(VALU_DEP_1)
	s_cmp_lg_u32 s10, 0
	s_addc_u32 s7, s7, s14
	v_readfirstlane_b32 s10, v1
	s_mul_i32 s14, s12, s7
	s_delay_alu instid0(VALU_DEP_1)
	s_mul_hi_u32 s15, s12, s10
	s_mul_i32 s13, s13, s10
	s_add_i32 s14, s15, s14
	s_mul_i32 s12, s12, s10
	s_add_i32 s14, s14, s13
	s_mul_hi_u32 s15, s7, s12
	s_mul_i32 s16, s7, s12
	s_mul_hi_u32 s12, s10, s12
	s_mul_hi_u32 s17, s10, s14
	s_mul_i32 s10, s10, s14
	s_mul_hi_u32 s13, s7, s14
	s_add_u32 s10, s12, s10
	s_addc_u32 s12, 0, s17
	s_add_u32 s10, s10, s16
	s_mul_i32 s14, s7, s14
	s_addc_u32 s10, s12, s15
	s_addc_u32 s12, s13, 0
	s_add_u32 s10, s10, s14
	s_addc_u32 s12, 0, s12
	v_add_co_u32 v1, s10, v1, s10
	s_delay_alu instid0(VALU_DEP_1) | instskip(SKIP_2) | instid1(SALU_CYCLE_1)
	s_cmp_lg_u32 s10, 0
	s_addc_u32 s7, s7, s12
	s_ashr_i32 s12, s3, 31
	s_add_u32 s14, s6, s12
	s_addc_u32 s15, s3, s12
	v_readfirstlane_b32 s3, v1
	s_mov_b32 s13, s12
	s_delay_alu instid0(SALU_CYCLE_1) | instskip(NEXT) | instid1(SALU_CYCLE_1)
	s_xor_b64 s[14:15], s[14:15], s[12:13]
	s_mul_i32 s16, s14, s7
	s_delay_alu instid0(VALU_DEP_1)
	s_mul_hi_u32 s17, s14, s3
	s_mul_hi_u32 s10, s14, s7
	;; [unrolled: 1-line block ×3, first 2 shown]
	s_mul_i32 s3, s15, s3
	s_add_u32 s16, s17, s16
	s_addc_u32 s10, 0, s10
	s_mul_hi_u32 s18, s15, s7
	s_add_u32 s3, s16, s3
	s_mul_i32 s7, s15, s7
	s_addc_u32 s3, s10, s19
	s_addc_u32 s10, s18, 0
	s_add_u32 s3, s3, s7
	s_addc_u32 s7, 0, s10
	s_mul_i32 s16, s37, s3
	s_add_u32 s10, s3, 1
	v_sub_co_u32 v1, s14, s14, s16
	s_mul_hi_u32 s16, s37, s3
	s_addc_u32 s17, s7, 0
	s_mul_i32 s18, s37, s7
	s_delay_alu instid0(VALU_DEP_1)
	v_sub_co_u32 v4, s19, v1, s37
	s_add_u32 s20, s3, 2
	s_addc_u32 s21, s7, 0
	s_add_i32 s16, s16, s18
	s_cmp_lg_u32 s14, 0
	v_readfirstlane_b32 s14, v4
	s_subb_u32 s15, s15, s16
	s_cmp_lg_u32 s19, 0
	s_subb_u32 s16, s15, 0
	s_delay_alu instid0(VALU_DEP_1) | instskip(SKIP_4) | instid1(SALU_CYCLE_1)
	s_cmp_ge_u32 s14, s37
	s_cselect_b32 s14, -1, 0
	s_cmp_eq_u32 s16, 0
	v_readfirstlane_b32 s16, v1
	s_cselect_b32 s14, s14, -1
	s_cmp_lg_u32 s14, 0
	s_cselect_b32 s10, s20, s10
	s_cselect_b32 s14, s21, s17
	s_cmp_ge_u32 s16, s37
	s_cselect_b32 s16, -1, 0
	s_cmp_eq_u32 s15, 0
	s_cselect_b32 s15, s16, -1
	s_delay_alu instid0(SALU_CYCLE_1) | instskip(SKIP_2) | instid1(SALU_CYCLE_1)
	s_cmp_lg_u32 s15, 0
	s_cselect_b32 s15, s14, s7
	s_cselect_b32 s14, s10, s3
	s_xor_b64 s[14:15], s[14:15], s[12:13]
	s_delay_alu instid0(SALU_CYCLE_1)
	s_sub_u32 s58, s14, s12
	s_load_b64 s[56:57], s[0:1], 0x74
	v_cvt_f32_u32_e32 v1, s37
	s_and_not1_b32 vcc_lo, exec_lo, s2
	s_cbranch_vccnz .LBB14_3
.LBB14_2:
	s_delay_alu instid0(VALU_DEP_1) | instskip(SKIP_3) | instid1(VALU_DEP_1)
	v_rcp_iflag_f32_e32 v4, v1
	s_sub_i32 s3, 0, s37
	s_waitcnt_depctr 0xfff
	v_mul_f32_e32 v4, 0x4f7ffffe, v4
	v_cvt_u32_f32_e32 v4, v4
	s_delay_alu instid0(VALU_DEP_1) | instskip(NEXT) | instid1(VALU_DEP_1)
	v_readfirstlane_b32 s2, v4
	s_mul_i32 s3, s3, s2
	s_delay_alu instid0(SALU_CYCLE_1) | instskip(NEXT) | instid1(SALU_CYCLE_1)
	s_mul_hi_u32 s3, s2, s3
	s_add_i32 s2, s2, s3
	s_delay_alu instid0(SALU_CYCLE_1) | instskip(NEXT) | instid1(SALU_CYCLE_1)
	s_mul_hi_u32 s2, s6, s2
	s_mul_i32 s3, s2, s37
	s_delay_alu instid0(SALU_CYCLE_1)
	s_sub_i32 s3, s6, s3
	s_add_i32 s6, s2, 1
	s_sub_i32 s7, s3, s37
	s_cmp_ge_u32 s3, s37
	s_cselect_b32 s2, s6, s2
	s_cselect_b32 s3, s7, s3
	s_add_i32 s6, s2, 1
	s_cmp_ge_u32 s3, s37
	s_cselect_b32 s58, s6, s2
.LBB14_3:
	s_add_i32 s6, s36, 1
                                        ; implicit-def: $vgpr255 : SGPR spill to VGPR lane
	s_delay_alu instid0(SALU_CYCLE_1) | instskip(SKIP_4) | instid1(SALU_CYCLE_1)
	s_mul_i32 s2, s5, s6
	s_mul_hi_u32 s3, s4, s6
	s_mul_i32 s4, s4, s6
	s_add_i32 s3, s3, s2
	s_mov_b32 s2, 0
	s_cmp_lg_u64 s[2:3], 0
	s_cbranch_scc0 .LBB14_428
; %bb.4:
	v_fmamk_f32 v2, v2, 0x4f800000, v3
	s_sub_u32 s7, 0, s37
	s_subb_u32 s10, 0, 0
	s_delay_alu instid0(VALU_DEP_1) | instskip(SKIP_2) | instid1(VALU_DEP_1)
	v_rcp_f32_e32 v2, v2
	s_waitcnt_depctr 0xfff
	v_mul_f32_e32 v2, 0x5f7ffffc, v2
	v_mul_f32_e32 v3, 0x2f800000, v2
	s_delay_alu instid0(VALU_DEP_1) | instskip(NEXT) | instid1(VALU_DEP_1)
	v_trunc_f32_e32 v3, v3
	v_fmamk_f32 v2, v3, 0xcf800000, v2
	v_cvt_u32_f32_e32 v3, v3
	s_delay_alu instid0(VALU_DEP_2) | instskip(NEXT) | instid1(VALU_DEP_2)
	v_cvt_u32_f32_e32 v2, v2
	v_readfirstlane_b32 s5, v3
	s_delay_alu instid0(VALU_DEP_2) | instskip(NEXT) | instid1(VALU_DEP_2)
	v_readfirstlane_b32 s6, v2
	s_mul_i32 s12, s7, s5
	s_delay_alu instid0(VALU_DEP_1)
	s_mul_hi_u32 s14, s7, s6
	s_mul_i32 s13, s10, s6
	s_add_i32 s12, s14, s12
	s_mul_i32 s15, s7, s6
	s_add_i32 s12, s12, s13
	s_mul_hi_u32 s14, s6, s15
	s_mul_hi_u32 s16, s5, s15
	s_mul_i32 s13, s5, s15
	s_mul_hi_u32 s15, s6, s12
	s_mul_i32 s6, s6, s12
	s_mul_hi_u32 s17, s5, s12
	s_add_u32 s6, s14, s6
	s_addc_u32 s14, 0, s15
	s_add_u32 s6, s6, s13
	s_mul_i32 s12, s5, s12
	s_addc_u32 s6, s14, s16
	s_addc_u32 s13, s17, 0
	s_add_u32 s6, s6, s12
	s_addc_u32 s12, 0, s13
	v_add_co_u32 v2, s6, v2, s6
	s_delay_alu instid0(VALU_DEP_1) | instskip(SKIP_1) | instid1(VALU_DEP_1)
	s_cmp_lg_u32 s6, 0
	s_addc_u32 s5, s5, s12
	v_readfirstlane_b32 s6, v2
	s_mul_i32 s12, s7, s5
	s_delay_alu instid0(VALU_DEP_1)
	s_mul_hi_u32 s13, s7, s6
	s_mul_i32 s10, s10, s6
	s_add_i32 s12, s13, s12
	s_mul_i32 s7, s7, s6
	s_add_i32 s12, s12, s10
	s_mul_hi_u32 s13, s5, s7
	s_mul_i32 s14, s5, s7
	s_mul_hi_u32 s7, s6, s7
	s_mul_hi_u32 s15, s6, s12
	s_mul_i32 s6, s6, s12
	s_mul_hi_u32 s10, s5, s12
	s_add_u32 s6, s7, s6
	s_addc_u32 s7, 0, s15
	s_add_u32 s6, s6, s14
	s_mul_i32 s12, s5, s12
	s_addc_u32 s6, s7, s13
	s_addc_u32 s7, s10, 0
	s_add_u32 s6, s6, s12
	s_addc_u32 s7, 0, s7
	v_add_co_u32 v2, s6, v2, s6
	s_delay_alu instid0(VALU_DEP_1) | instskip(SKIP_2) | instid1(SALU_CYCLE_1)
	s_cmp_lg_u32 s6, 0
	s_addc_u32 s5, s5, s7
	s_ashr_i32 s6, s3, 31
	s_add_u32 s12, s4, s6
	s_addc_u32 s13, s3, s6
	v_readfirstlane_b32 s3, v2
	s_mov_b32 s7, s6
	s_delay_alu instid0(SALU_CYCLE_1) | instskip(NEXT) | instid1(SALU_CYCLE_1)
	s_xor_b64 s[12:13], s[12:13], s[6:7]
	s_mul_i32 s14, s12, s5
	s_delay_alu instid0(VALU_DEP_1)
	s_mul_hi_u32 s15, s12, s3
	s_mul_hi_u32 s10, s12, s5
	;; [unrolled: 1-line block ×3, first 2 shown]
	s_mul_i32 s3, s13, s3
	s_add_u32 s14, s15, s14
	s_addc_u32 s10, 0, s10
	s_mul_hi_u32 s16, s13, s5
	s_add_u32 s3, s14, s3
	s_mul_i32 s5, s13, s5
	s_addc_u32 s3, s10, s17
	s_addc_u32 s10, s16, 0
	s_add_u32 s3, s3, s5
	s_addc_u32 s5, 0, s10
	s_mul_i32 s14, s37, s3
	s_add_u32 s10, s3, 1
	v_sub_co_u32 v2, s12, s12, s14
	s_mul_hi_u32 s14, s37, s3
	s_addc_u32 s15, s5, 0
	s_mul_i32 s16, s37, s5
	s_delay_alu instid0(VALU_DEP_1)
	v_sub_co_u32 v3, s17, v2, s37
	s_add_u32 s18, s3, 2
	s_addc_u32 s19, s5, 0
	s_add_i32 s14, s14, s16
	s_cmp_lg_u32 s12, 0
	v_readfirstlane_b32 s12, v3
	s_subb_u32 s13, s13, s14
	s_cmp_lg_u32 s17, 0
	s_subb_u32 s14, s13, 0
	s_delay_alu instid0(VALU_DEP_1) | instskip(SKIP_4) | instid1(SALU_CYCLE_1)
	s_cmp_ge_u32 s12, s37
	s_cselect_b32 s12, -1, 0
	s_cmp_eq_u32 s14, 0
	v_readfirstlane_b32 s14, v2
	s_cselect_b32 s12, s12, -1
	s_cmp_lg_u32 s12, 0
	s_cselect_b32 s10, s18, s10
	s_cselect_b32 s12, s19, s15
	s_cmp_ge_u32 s14, s37
	s_cselect_b32 s14, -1, 0
	s_cmp_eq_u32 s13, 0
	s_cselect_b32 s13, s14, -1
	s_delay_alu instid0(SALU_CYCLE_1) | instskip(SKIP_2) | instid1(SALU_CYCLE_1)
	s_cmp_lg_u32 s13, 0
	s_cselect_b32 s13, s12, s5
	s_cselect_b32 s12, s10, s3
	s_xor_b64 s[12:13], s[12:13], s[6:7]
	s_delay_alu instid0(SALU_CYCLE_1) | instskip(NEXT) | instid1(SALU_CYCLE_1)
	s_sub_u32 s6, s12, s6
	v_writelane_b32 v255, s6, 0
	v_writelane_b32 v255, s7, 1
	s_load_b64 s[34:35], s[0:1], 0x5c
	s_and_not1_b32 vcc_lo, exec_lo, s2
	s_cbranch_vccnz .LBB14_6
.LBB14_5:
	v_rcp_iflag_f32_e32 v1, v1
	s_sub_i32 s3, 0, s37
	s_waitcnt_depctr 0xfff
	v_mul_f32_e32 v1, 0x4f7ffffe, v1
	s_delay_alu instid0(VALU_DEP_1) | instskip(NEXT) | instid1(VALU_DEP_1)
	v_cvt_u32_f32_e32 v1, v1
	v_readfirstlane_b32 s2, v1
	s_delay_alu instid0(VALU_DEP_1) | instskip(NEXT) | instid1(SALU_CYCLE_1)
	s_mul_i32 s3, s3, s2
	s_mul_hi_u32 s3, s2, s3
	s_delay_alu instid0(SALU_CYCLE_1) | instskip(NEXT) | instid1(SALU_CYCLE_1)
	s_add_i32 s2, s2, s3
	s_mul_hi_u32 s2, s4, s2
	s_delay_alu instid0(SALU_CYCLE_1) | instskip(NEXT) | instid1(SALU_CYCLE_1)
	s_mul_i32 s3, s2, s37
	s_sub_i32 s3, s4, s3
	s_add_i32 s4, s2, 1
	s_sub_i32 s5, s3, s37
	s_cmp_ge_u32 s3, s37
	s_cselect_b32 s2, s4, s2
	s_cselect_b32 s3, s5, s3
	s_add_i32 s4, s2, 1
	s_cmp_ge_u32 s3, s37
	s_cselect_b32 s2, s4, s2
	s_delay_alu instid0(SALU_CYCLE_1)
	v_writelane_b32 v255, s2, 0
	v_writelane_b32 v255, s3, 1
.LBB14_6:
	s_abs_i32 s81, s80
	v_bfe_u32 v210, v0, 10, 10
	v_cvt_f32_u32_e32 v1, s81
	s_clause 0x6
	s_load_b512 s[16:31], s[0:1], 0x0
	s_load_b32 s2, s[0:1], 0x40
	s_load_b64 s[4:5], s[0:1], 0x8c
	s_load_b64 s[38:39], s[0:1], 0xb8
	s_load_b128 s[44:47], s[0:1], 0x98
	s_load_b64 s[50:51], s[0:1], 0xa8
	s_load_b64 s[52:53], s[0:1], 0xc8
	s_sub_i32 s1, 0, s81
	s_abs_i32 s3, s58
	v_rcp_iflag_f32_e32 v1, v1
	s_ashr_i32 s59, s11, 3
	s_waitcnt lgkmcnt(0)
	s_ashr_i32 s41, s56, 3
	s_ashr_i32 s0, s58, 31
	;; [unrolled: 1-line block ×3, first 2 shown]
	v_and_b32_e32 v209, 0x3ff, v0
	v_add_nc_u32_e32 v251, 4, v210
	v_and_b32_e32 v245, 1, v210
	v_and_b32_e32 v180, 3, v210
	v_lshrrev_b32_e32 v187, 2, v210
	s_waitcnt_depctr 0xfff
	v_dual_mul_f32 v1, 0x4f7ffffe, v1 :: v_dual_lshlrev_b32 v244, 3, v210
	v_add_nc_u32_e32 v84, 8, v210
	v_add_nc_u32_e32 v83, 12, v210
	v_cvt_f16_f32_e32 v0, s2
	s_delay_alu instid0(VALU_DEP_4)
	v_cvt_u32_f32_e32 v1, v1
	v_writelane_b32 v255, s4, 2
	s_ashr_i32 s12, s4, 2
	s_ashr_i32 s82, s39, 1
	s_ashr_i32 s10, s46, 2
	v_readfirstlane_b32 s83, v1
	v_writelane_b32 v255, s5, 3
	v_add_nc_u32_e32 v82, 16, v210
	v_add_nc_u32_e32 v81, 20, v210
	;; [unrolled: 1-line block ×3, first 2 shown]
	s_mul_i32 s1, s1, s83
	v_readlane_b32 s4, v255, 0
	s_mul_hi_u32 s1, s83, s1
	v_pack_b32_f16 v179, v0, v0
	s_add_i32 s55, s83, s1
	v_add_nc_u32_e32 v79, 28, v210
	s_mul_hi_u32 s1, s3, s55
	s_mov_b32 s65, 0
	s_mul_i32 s1, s1, s81
	v_readlane_b32 s5, v255, 1
	s_sub_i32 s1, s3, s1
	s_delay_alu instid0(SALU_CYCLE_1) | instskip(SKIP_2) | instid1(SALU_CYCLE_1)
	s_sub_i32 s3, s1, s81
	s_cmp_ge_u32 s1, s81
	s_cselect_b32 s1, s3, s1
	s_sub_i32 s3, s1, s81
	s_cmp_ge_u32 s1, s81
	s_cselect_b32 s1, s3, s1
	s_sub_i32 s3, s4, s58
	s_xor_b32 s1, s1, s0
	s_delay_alu instid0(SALU_CYCLE_1) | instskip(NEXT) | instid1(SALU_CYCLE_1)
	s_sub_i32 s14, s1, s0
	s_add_i32 s0, s3, s14
	s_delay_alu instid0(SALU_CYCLE_1)
	s_min_i32 s99, s80, s0
	s_cmp_gt_i32 s4, s58
	s_cselect_b32 s3, -1, 0
	s_cmp_le_i32 s4, s58
	s_cselect_b32 s1, -1, 0
	s_cmp_gt_i32 s80, s0
	s_cselect_b32 s0, -1, 0
	s_delay_alu instid0(SALU_CYCLE_1) | instskip(NEXT) | instid1(SALU_CYCLE_1)
	s_or_b32 s0, s0, s1
	s_and_b32 vcc_lo, exec_lo, s0
	s_cbranch_vccz .LBB14_9
; %bb.7:
	s_and_not1_b32 vcc_lo, exec_lo, s3
	s_cbranch_vccz .LBB14_375
.LBB14_8:
	s_endpgm
.LBB14_9:
	v_lshrrev_b32_e32 v0, 2, v209
	v_and_b32_e32 v1, 0x3f0, v244
	v_lshlrev_b32_e32 v12, 2, v209
	v_lshlrev_b32_e32 v24, 4, v210
	v_and_b32_e32 v18, 8, v244
	v_dual_mov_b32 v234, 0 :: v_dual_add_nc_u32 v9, v0, v244
	v_lshrrev_b32_e32 v0, 3, v209
	v_and_b32_e32 v13, 12, v12
	v_and_or_b32 v7, v209, 12, v1
	v_and_b32_e32 v14, 28, v12
	v_lshrrev_b32_e32 v188, 4, v209
	v_lshl_add_u32 v11, v210, 2, v0
	v_and_b32_e32 v85, 15, v209
	v_mul_lo_u32 v4, s12, v9
	v_mul_u32_u24_e32 v15, 0xd0, v9
	v_lshrrev_b32_e32 v17, 2, v7
	v_mul_u32_u24_e32 v16, 0xd0, v11
	v_and_b32_e32 v26, 16, v24
	v_mul_lo_u32 v10, s10, v9
	v_mul_u32_u24_e32 v9, 0x1a0, v18
	v_lshlrev_b32_e32 v18, 2, v13
	v_lshlrev_b32_e32 v20, 2, v14
	v_mul_u32_u24_e32 v19, 0x90, v17
	v_mad_u32_u24 v17, 0x90, v17, 0
	v_lshlrev_b32_e32 v21, 1, v188
	v_lshlrev_b32_e32 v22, 1, v26
	v_add3_u32 v37, 0, v15, v18
	v_add3_u32 v191, 0, v16, v20
	v_lshlrev_b32_e32 v16, 2, v85
	v_add3_u32 v15, 0, 64, v9
	v_lshrrev_b32_e32 v38, 1, v210
	v_add3_u32 v192, v17, v21, v22
	v_add3_u32 v17, 0, 0x80, v9
	;; [unrolled: 1-line block ×4, first 2 shown]
	v_add_nc_u32_e32 v15, 2, v38
	v_add_nc_u32_e32 v9, 0, v21
	v_add3_u32 v195, v17, v16, 0x1a00
	v_add_nc_u32_e32 v39, 4, v38
	v_add_nc_u32_e32 v41, 8, v38
	v_lshlrev_b32_e32 v16, 1, v15
	v_and_b32_e32 v18, 15, v15
	v_add3_u32 v196, v9, v19, v22
	v_lshlrev_b32_e32 v9, 1, v39
	v_and_b32_e32 v19, 15, v39
	v_add_nc_u32_e32 v43, 12, v38
	v_and_or_b32 v40, 0xe0, v16, v18
	v_add_nc_u32_e32 v16, 6, v38
	v_add_nc_u32_e32 v18, 10, v38
	v_lshlrev_b32_e32 v22, 1, v41
	v_and_b32_e32 v23, 15, v41
	v_and_or_b32 v42, 0xe0, v9, v19
	v_lshlrev_b32_e32 v20, 1, v16
	v_and_b32_e32 v21, 15, v16
	v_add_nc_u32_e32 v19, 14, v38
	v_lshlrev_b32_e32 v9, 1, v43
	v_lshlrev_b32_e32 v25, 1, v18
	v_and_b32_e32 v27, 15, v18
	v_and_or_b32 v44, 0xe0, v20, v21
	v_and_b32_e32 v21, 15, v43
	v_and_or_b32 v45, 0xe0, v22, v23
	v_add_nc_u32_e32 v20, 18, v38
	v_add_nc_u32_e32 v47, 20, v38
	v_lshlrev_b32_e32 v22, 1, v19
	v_and_b32_e32 v23, 15, v19
	v_and_or_b32 v48, 0xe0, v9, v21
	v_add_nc_u32_e32 v21, 22, v38
	v_add_nc_u32_e32 v17, v188, v210
	v_and_or_b32 v46, 0xe0, v25, v27
	v_lshlrev_b32_e32 v25, 1, v20
	v_and_b32_e32 v27, 15, v20
	v_lshlrev_b32_e32 v28, 1, v47
	v_and_b32_e32 v29, 15, v47
	v_and_or_b32 v49, 0xe0, v22, v23
	v_add_nc_u32_e32 v52, 24, v38
	v_lshlrev_b32_e32 v9, 1, v21
	v_add_nc_u32_e32 v22, 26, v38
	v_and_b32_e32 v23, 15, v21
	v_add_nc_u32_e32 v53, 28, v38
	s_cmp_eq_u64 s[24:25], 0
	v_and_or_b32 v50, 0xe0, v25, v27
	v_and_or_b32 v51, 0xe0, v28, v29
	v_lshlrev_b32_e32 v25, 1, v52
	v_and_b32_e32 v27, 15, v52
	v_lshlrev_b32_e32 v28, 1, v22
	v_and_b32_e32 v29, 15, v22
	;; [unrolled: 2-line block ×3, first 2 shown]
	v_and_or_b32 v54, 0xe0, v9, v23
	v_add_nc_u32_e32 v23, 30, v38
	v_add_nc_u32_e32 v58, 4, v17
	s_cselect_b32 s61, -1, 0
	s_cmp_lg_u64 s[26:27], 0
	v_and_or_b32 v55, 0xe0, v25, v27
	s_cselect_b32 s88, -1, 0
	s_lshl_b32 s64, s36, 5
	v_and_or_b32 v56, 0xe0, v28, v29
	s_lshl_b64 s[4:5], s[64:65], 3
	v_and_or_b32 v57, 0xe0, v30, v31
	v_lshlrev_b32_e32 v9, 1, v23
	v_and_b32_e32 v25, 15, v23
	v_lshlrev_b32_e32 v29, 1, v58
	v_and_b32_e32 v30, 15, v58
	v_add_nc_u32_e32 v60, 8, v17
	v_add_nc_u32_e32 v64, 16, v17
	s_ashr_i32 s83, s82, 31
	s_ashr_i32 s13, s12, 31
	s_lshl_b32 s0, s12, 4
	s_ashr_i32 s11, s10, 31
	s_lshl_b32 s1, s10, 4
	s_add_u32 s3, s30, s4
	s_addc_u32 s4, s31, s5
	s_abs_i32 s84, s38
	v_lshlrev_b32_e32 v27, 1, v17
	v_and_b32_e32 v28, 15, v17
	v_and_or_b32 v59, 0xe0, v9, v25
	v_and_or_b32 v63, 0x3e0, v29, v30
	v_lshlrev_b32_e32 v9, 1, v60
	v_and_b32_e32 v25, 15, v60
	v_lshlrev_b32_e32 v30, 1, v64
	v_cvt_f32_u32_e32 v31, s84
	s_abs_i32 s85, s77
	v_and_or_b32 v61, 0x1e0, v27, v28
	v_and_or_b32 v66, 0x3e0, v9, v25
	;; [unrolled: 1-line block ×3, first 2 shown]
	v_rcp_iflag_f32_e32 v25, v31
	v_cvt_f32_u32_e32 v28, s85
	v_mul_lo_u32 v0, s12, v11
	s_abs_i32 s87, s75
	v_writelane_b32 v255, s37, 4
	v_cvt_f32_u32_e32 v31, s87
	v_rcp_iflag_f32_e32 v28, v28
	v_or_b32_e32 v74, v244, v209
	v_add_nc_u32_e32 v69, 24, v17
	v_writelane_b32 v255, s36, 5
	v_dual_mul_f32 v25, 0x4f7ffffe, v25 :: v_dual_add_nc_u32 v6, s0, v0
	v_rcp_iflag_f32_e32 v31, v31
	v_add_nc_u32_e32 v199, 0x80, v37
	v_add_nc_u32_e32 v200, 0x1a80, v37
	v_lshlrev_b32_e32 v37, 3, v74
	v_lshl_add_u32 v74, v210, 1, v188
	s_mov_b32 s2, s38
	v_lshlrev_b32_e32 v30, 1, v69
	v_writelane_b32 v255, s2, 6
	v_and_b32_e32 v32, 15, v69
	v_cvt_u32_f32_e32 v33, v25
	v_mul_f32_e32 v25, 0x4f7ffffe, v28
	v_add_nc_u32_e32 v201, 0, v12
	v_mul_u32_u24_e32 v75, 52, v210
	v_add_nc_u32_e32 v77, 8, v74
	v_writelane_b32 v255, s3, 7
	v_and_or_b32 v72, 0x3e0, v30, v32
	v_mul_f32_e32 v30, 0x4f7ffffe, v31
	v_add_co_u32 v86, s3, s3, v37
	v_lshl_add_u32 v202, v75, 2, v201
	v_lshrrev_b32_e32 v205, 2, v77
	v_add_nc_u32_e32 v37, 16, v38
	v_add_nc_u32_e32 v38, 24, v74
	v_or_b32_e32 v75, v24, v85
	v_or_b32_e32 v77, v24, v209
	v_add_nc_u32_e32 v24, v24, v209
	v_mad_u32_u24 v197, 0xd0, v1, 0
	v_ashrrev_i32_e32 v1, 31, v0
	v_lshrrev_b32_e32 v208, 2, v38
	v_mul_u32_u24_e32 v38, 0xd0, v77
	v_mul_u32_u24_e32 v24, 0xd0, v24
	v_add_nc_u32_e32 v62, 12, v17
	v_lshlrev_b64 v[115:116], 2, v[0:1]
	v_lshrrev_b32_e32 v0, 2, v17
	s_clause 0x1
	scratch_store_b32 off, v38, off
	scratch_store_b32 off, v24, off offset:4
	v_mul_u32_u24_e32 v24, 52, v40
	v_lshlrev_b32_e32 v27, 1, v62
	scratch_store_b32 off, v0, off offset:8 ; 4-byte Folded Spill
	v_and_b32_e32 v29, 15, v62
	s_abs_i32 s86, s78
	v_lshl_add_u32 v24, v24, 2, v201
	v_add_nc_u32_e32 v65, 20, v17
	v_mad_u32_u24 v76, v74, 52, v85
	v_and_or_b32 v67, 0x3e0, v27, v29
	v_cvt_f32_u32_e32 v29, s86
	scratch_store_b32 off, v24, off offset:156 ; 4-byte Folded Spill
	v_lshrrev_b32_e32 v24, 2, v39
	v_add_nc_u32_e32 v78, 16, v74
	v_lshrrev_b32_e32 v206, 2, v74
	v_rcp_iflag_f32_e32 v29, v29
	v_and_b32_e32 v207, 3, v74
	scratch_store_b32 off, v24, off offset:160 ; 4-byte Folded Spill
	v_mul_u32_u24_e32 v24, 52, v44
	v_bfe_u32 v74, v210, 1, 4
	v_lshlrev_b32_e32 v9, 1, v65
	v_and_b32_e32 v27, 15, v65
	v_lshrrev_b32_e32 v244, 2, v78
	v_lshl_add_u32 v24, v24, 2, v201
	v_and_or_b32 v78, 0x60, v210, v74
	v_mad_u32_u24 v75, v75, 52, v188
	v_and_or_b32 v70, 0x3e0, v9, v27
	v_mul_f32_e32 v27, 0x4f7ffffe, v29
	scratch_store_b32 off, v24, off offset:212 ; 4-byte Folded Spill
	v_lshrrev_b32_e32 v24, 2, v41
	v_lshl_add_u32 v211, v75, 2, 0
	v_mul_u32_u24_e32 v75, 0xd0, v78
	v_cvt_u32_f32_e32 v31, v25
	v_mul_lo_u32 v25, s10, v11
	scratch_store_b32 off, v24, off offset:216 ; 4-byte Folded Spill
	v_mul_u32_u24_e32 v24, 52, v46
	v_cvt_u32_f32_e32 v11, v27
	v_mul_lo_u32 v0, v207, s41
	v_lshl_add_u32 v203, v76, 2, 0
	v_lshlrev_b32_e32 v76, 1, v37
	v_lshl_add_u32 v24, v24, 2, v201
	v_readfirstlane_b32 s6, v11
	v_ashrrev_i32_e32 v11, 31, v10
	v_add_co_ci_u32_e64 v87, null, s4, 0, s3
	scratch_store_b32 off, v24, off offset:268 ; 4-byte Folded Spill
	v_lshrrev_b32_e32 v24, 2, v43
	v_lshlrev_b64 v[99:100], 2, v[10:11]
	v_and_or_b32 v74, 0xe0, v76, v74
	v_mul_u32_u24_e32 v38, 52, v78
	v_readfirstlane_b32 s7, v31
	scratch_store_b32 off, v24, off offset:272 ; 4-byte Folded Spill
	v_mul_u32_u24_e32 v24, 52, v49
	v_lshl_add_u32 v31, s10, 5, v10
	v_lshl_add_u32 v38, v38, 2, v201
	v_add3_u32 v124, v0, v85, 32
	v_lshrrev_b32_e32 v0, 2, v15
	v_lshl_add_u32 v24, v24, 2, v201
	v_add_co_u32 v10, vcc_lo, v99, s20
	v_and_b32_e32 v1, 3, v209
	s_clause 0x1
	scratch_store_b32 off, v0, off offset:40
	scratch_store_b32 off, v24, off offset:324
	v_lshrrev_b32_e32 v24, 2, v37
	v_mul_u32_u24_e32 v37, 0xd0, v74
	scratch_store_b64 off, v[86:87], off offset:144 ; 8-byte Folded Spill
	v_and_b32_e32 v0, 3, v15
	v_add_co_ci_u32_e32 v11, vcc_lo, s21, v100, vcc_lo
	scratch_store_b32 off, v24, off offset:328 ; 4-byte Folded Spill
	v_mul_u32_u24_e32 v24, 52, v50
	v_add_co_u32 v10, vcc_lo, 0x80, v10
	s_clause 0x1
	scratch_store_b32 off, v38, off offset:24
	scratch_store_b64 off, v[0:1], off offset:12
	v_lshl_add_u32 v24, v24, 2, v201
	v_lshrrev_b32_e32 v0, 2, v16
	v_add_nc_u32_e32 v71, 28, v17
	s_sub_i32 s3, 0, s85
	s_sub_i32 s4, 0, s87
	scratch_store_b32 off, v24, off offset:364 ; 4-byte Folded Spill
	v_lshrrev_b32_e32 v24, 2, v47
	scratch_store_b32 off, v0, off offset:204 ; 4-byte Folded Spill
	v_and_b32_e32 v0, 3, v16
	v_lshlrev_b32_e32 v28, 1, v71
	v_and_b32_e32 v29, 15, v71
	scratch_store_b32 off, v24, off offset:368 ; 4-byte Folded Spill
	v_mul_u32_u24_e32 v24, 52, v54
	scratch_store_b64 off, v[0:1], off offset:176 ; 8-byte Folded Spill
	v_lshrrev_b32_e32 v0, 2, v18
	v_and_or_b32 v73, 0x3e0, v28, v29
	v_cvt_u32_f32_e32 v28, v30
	v_lshl_add_u32 v24, v24, 2, v201
	s_mul_i32 s3, s3, s7
	scratch_store_b32 off, v0, off offset:260 ; 4-byte Folded Spill
	v_and_b32_e32 v0, 3, v18
	s_mul_hi_u32 s3, s7, s3
	scratch_store_b32 off, v24, off offset:396 ; 4-byte Folded Spill
	v_lshrrev_b32_e32 v24, 2, v52
	v_readfirstlane_b32 s5, v28
	scratch_store_b64 off, v[0:1], off offset:232 ; 8-byte Folded Spill
	v_lshrrev_b32_e32 v0, 2, v19
	s_add_i32 s90, s7, s3
	scratch_store_b32 off, v24, off offset:400 ; 4-byte Folded Spill
	v_mul_u32_u24_e32 v24, 52, v56
	s_sub_i32 s3, 0, s86
	scratch_store_b32 off, v0, off offset:316 ; 4-byte Folded Spill
	v_and_b32_e32 v0, 3, v19
	s_mul_i32 s3, s3, s6
	v_lshl_add_u32 v24, v24, 2, v201
	v_mul_u32_u24_e32 v38, 0xd0, v40
	s_mul_hi_u32 s3, s6, s3
	scratch_store_b64 off, v[0:1], off offset:288 ; 8-byte Folded Spill
	v_lshrrev_b32_e32 v0, 2, v20
	scratch_store_b32 off, v24, off offset:428 ; 4-byte Folded Spill
	v_lshrrev_b32_e32 v24, 2, v53
	scratch_store_b32 off, v37, off offset:348 ; 4-byte Folded Spill
	s_mul_i32 s4, s4, s5
	scratch_store_b32 off, v0, off offset:356 ; 4-byte Folded Spill
	v_and_b32_e32 v0, 3, v20
	scratch_store_b32 off, v24, off offset:432 ; 4-byte Folded Spill
	v_mul_u32_u24_e32 v24, 52, v59
	s_add_i32 s92, s6, s3
	s_mul_hi_u32 s3, s5, s4
	scratch_store_b64 off, v[0:1], off offset:340 ; 8-byte Folded Spill
	v_lshrrev_b32_e32 v0, 2, v21
	v_lshl_add_u32 v24, v24, 2, v201
	s_add_i32 s79, s5, s3
	v_ashrrev_i32_e32 v32, 31, v31
	v_ashrrev_i32_e32 v5, 31, v4
	s_clause 0x1
	scratch_store_b32 off, v0, off offset:388
	scratch_store_b32 off, v24, off offset:460
	v_mul_u32_u24_e32 v24, 0xd0, v61
	scratch_store_b32 off, v75, off offset:20 ; 4-byte Folded Spill
	v_and_b32_e32 v0, 3, v21
	v_lshlrev_b64 v[101:102], 2, v[31:32]
	v_lshlrev_b64 v[103:104], 2, v[4:5]
	v_lshl_add_u32 v2, s12, 5, v4
	v_mul_u32_u24_e32 v39, 0xd0, v42
	scratch_store_b64 off, v[0:1], off offset:372 ; 8-byte Folded Spill
	v_lshrrev_b32_e32 v0, 2, v22
	s_sub_i32 s2, 0, s84
	v_ashrrev_i32_e32 v3, 31, v2
	v_mul_lo_u32 v9, s2, v33
	v_mul_u32_u24_e32 v198, 0xd0, v26
	scratch_store_b32 off, v0, off offset:420 ; 4-byte Folded Spill
	v_and_b32_e32 v0, 3, v22
	v_lshlrev_b64 v[113:114], 2, v[2:3]
	v_ashrrev_i32_e32 v26, 31, v25
	v_add_nc_u32_e32 v29, s1, v25
	v_ashrrev_i32_e32 v7, 31, v6
	scratch_store_b64 off, v[0:1], off offset:404 ; 8-byte Folded Spill
	v_lshrrev_b32_e32 v0, 2, v23
	v_lshlrev_b64 v[105:106], 2, v[25:26]
	v_mul_hi_u32 v9, v33, v9
	v_ashrrev_i32_e32 v30, 31, v29
	v_add_nc_u32_e32 v8, s0, v6
	scratch_store_b32 off, v0, off offset:452 ; 4-byte Folded Spill
	v_and_b32_e32 v0, 3, v23
	v_lshlrev_b64 v[117:118], 2, v[6:7]
	v_lshlrev_b64 v[107:108], 2, v[29:30]
	v_add_nc_u32_e32 v27, s0, v8
	v_add_nc_u32_e32 v190, v33, v9
	scratch_store_b64 off, v[0:1], off offset:436 ; 8-byte Folded Spill
	v_add_co_u32 v0, s3, s22, v12
	s_clause 0x1
	scratch_store_b32 off, v10, off offset:44
	scratch_store_b32 off, v38, off offset:152
	v_mul_u32_u24_e32 v38, 52, v42
	scratch_store_b32 off, v0, off offset:140 ; 4-byte Folded Spill
	v_add_co_ci_u32_e32 v10, vcc_lo, 0, v11, vcc_lo
	v_add_nc_u32_e32 v33, s1, v29
	v_lshl_add_u32 v38, v38, 2, v201
	v_ashrrev_i32_e32 v9, 31, v8
	v_ashrrev_i32_e32 v28, 31, v27
	s_lshl_b64 s[4:5], s[82:83], 1
	v_ashrrev_i32_e32 v34, 31, v33
	scratch_store_b32 off, v38, off offset:188 ; 4-byte Folded Spill
	v_mul_u32_u24_e32 v38, 0xd0, v44
	v_add_nc_u32_e32 v35, s1, v33
	v_lshlrev_b64 v[119:120], 2, v[8:9]
	v_lshlrev_b64 v[109:110], 2, v[33:34]
	;; [unrolled: 1-line block ×3, first 2 shown]
	scratch_store_b32 off, v38, off offset:208 ; 4-byte Folded Spill
	v_mul_u32_u24_e32 v38, 52, v45
	v_ashrrev_i32_e32 v36, 31, v35
	v_writelane_b32 v255, s4, 8
	v_mad_u64_u32 v[133:134], null, v180, s41, v[209:210]
	s_delay_alu instid0(VALU_DEP_4) | instskip(NEXT) | instid1(VALU_DEP_4)
	v_lshl_add_u32 v38, v38, 2, v201
	v_lshlrev_b64 v[111:112], 2, v[35:36]
	v_writelane_b32 v255, s5, 9
	v_cmp_eq_u32_e64 s0, 0, v245
	v_cmp_eq_u32_e64 s1, 1, v245
	scratch_store_b32 off, v38, off offset:244 ; 4-byte Folded Spill
	v_mul_u32_u24_e32 v38, 0xd0, v46
	v_writelane_b32 v255, s41, 10
	v_cmp_gt_u32_e64 s2, 16, v209
	v_lshlrev_b32_e32 v227, 2, v13
	v_lshlrev_b32_e32 v228, 2, v14
	scratch_store_b32 off, v38, off offset:264 ; 4-byte Folded Spill
	v_mul_u32_u24_e32 v38, 52, v48
	v_mul_u32_u24_e32 v132, 0xd0, v85
	v_lshlrev_b32_e32 v131, 1, v209
	v_mul_u32_u24_e32 v128, 0x90, v210
	v_xor_b32_e32 v224, 1, v188
	v_lshl_add_u32 v38, v38, 2, v201
	v_add_nc_u32_e32 v225, 0xd00, v191
	v_add_nc_u32_e32 v226, 0x1a00, v191
	;; [unrolled: 1-line block ×3, first 2 shown]
	v_mad_u32_u24 v237, 0xd0, v85, 0
	scratch_store_b32 off, v38, off offset:300 ; 4-byte Folded Spill
	v_mul_u32_u24_e32 v38, 0xd0, v49
	v_add_nc_u32_e32 v238, 0x3400, v192
	v_add_nc_u32_e32 v222, 0x1a00, v193
	;; [unrolled: 1-line block ×4, first 2 shown]
	scratch_store_b32 off, v38, off offset:320 ; 4-byte Folded Spill
	v_mul_u32_u24_e32 v38, 52, v74
	v_and_b32_e32 v123, 3, v17
	v_lshrrev_b32_e32 v127, 2, v251
	v_lshrrev_b32_e32 v219, 2, v84
	;; [unrolled: 1-line block ×3, first 2 shown]
	v_lshl_add_u32 v37, v38, 2, v201
	v_mul_u32_u24_e32 v38, 0xd0, v51
	v_lshrrev_b32_e32 v221, 2, v82
	v_lshrrev_b32_e32 v245, 2, v81
	;; [unrolled: 1-line block ×3, first 2 shown]
	scratch_store_b32 off, v37, off offset:352 ; 4-byte Folded Spill
	v_mul_u32_u24_e32 v37, 0xd0, v50
	v_lshrrev_b32_e32 v242, 2, v79
	v_add_nc_u32_e32 v217, 0x3400, v196
	v_add_co_ci_u32_e64 v248, null, s23, 0, s3
	scratch_store_b32 off, v37, off offset:360 ; 4-byte Folded Spill
	v_mul_u32_u24_e32 v37, 52, v51
	v_lshlrev_b32_e32 v126, 4, v1
	v_mbcnt_lo_u32_b32 v252, -1, 0
	v_bfe_u32 v218, v210, 1, 2
	v_writelane_b32 v255, s55, 11
	v_lshl_add_u32 v37, v37, 2, v201
	s_mul_i32 s54, s8, s9
	s_ashr_i32 s89, s77, 31
	s_ashr_i32 s91, s78, 31
	;; [unrolled: 1-line block ×3, first 2 shown]
	scratch_store_b32 off, v37, off offset:384 ; 4-byte Folded Spill
	v_mul_u32_u24_e32 v37, 0xd0, v54
	s_lshl_b64 s[68:69], s[10:11], 8
	s_lshl_b64 s[70:71], s[12:13], 8
	scratch_store_b32 off, v10, off offset:48 ; 4-byte Folded Spill
	v_add_co_u32 v10, vcc_lo, v101, s20
	scratch_store_b32 off, v37, off offset:392 ; 4-byte Folded Spill
	v_mul_u32_u24_e32 v37, 52, v55
	v_add_co_ci_u32_e32 v11, vcc_lo, s21, v102, vcc_lo
	v_add_co_u32 v10, vcc_lo, 0x80, v10
	s_delay_alu instid0(VALU_DEP_3)
	v_lshl_add_u32 v37, v37, 2, v201
	s_mov_b32 s36, s65
	s_mov_b32 s37, s65
	scratch_store_b32 off, v10, off offset:52 ; 4-byte Folded Spill
	v_add_co_ci_u32_e32 v10, vcc_lo, 0, v11, vcc_lo
	scratch_store_b32 off, v37, off offset:416 ; 4-byte Folded Spill
	v_mul_u32_u24_e32 v37, 0xd0, v56
	v_add_co_u32 v4, vcc_lo, v103, s18
	v_add_co_ci_u32_e32 v5, vcc_lo, s19, v104, vcc_lo
	scratch_store_b32 off, v37, off offset:424 ; 4-byte Folded Spill
	v_mul_u32_u24_e32 v37, 52, v57
	v_add_co_u32 v2, vcc_lo, 0x80, v4
	scratch_store_b32 off, v10, off offset:56 ; 4-byte Folded Spill
	s_mov_b32 s38, s65
	v_lshl_add_u32 v37, v37, 2, v201
	scratch_store_b32 off, v2, off offset:60 ; 4-byte Folded Spill
	v_add_co_ci_u32_e32 v2, vcc_lo, 0, v5, vcc_lo
	s_mov_b32 s39, s65
	scratch_store_b32 off, v37, off offset:448 ; 4-byte Folded Spill
	v_mad_u32_u24 v37, v61, 52, v85
	scratch_store_b32 off, v2, off offset:64 ; 4-byte Folded Spill
	v_add_co_u32 v2, vcc_lo, v113, s18
	v_add_co_ci_u32_e32 v3, vcc_lo, s19, v114, vcc_lo
	v_lshl_add_u32 v37, v37, 2, 0
	scratch_store_b32 off, v24, off offset:28 ; 4-byte Folded Spill
	v_mad_u32_u24 v24, v63, 52, v85
	v_add_co_u32 v2, vcc_lo, 0x80, v2
	scratch_store_b32 off, v37, off offset:32 ; 4-byte Folded Spill
	v_lshrrev_b32_e32 v37, 2, v58
	v_lshl_add_u32 v24, v24, 2, 0
	scratch_store_b32 off, v2, off offset:68 ; 4-byte Folded Spill
	v_add_co_ci_u32_e32 v2, vcc_lo, 0, v3, vcc_lo
	s_clause 0x1
	scratch_store_b32 off, v37, off offset:36
	scratch_store_b32 off, v24, off offset:168
	v_mul_u32_u24_e32 v37, 0xd0, v63
	scratch_store_b32 off, v38, off offset:380 ; 4-byte Folded Spill
	v_mul_u32_u24_e32 v38, 0xd0, v55
	v_lshrrev_b32_e32 v24, 2, v60
	v_add_co_u32 v0, vcc_lo, s20, v105
	s_clause 0x2
	scratch_store_b32 off, v37, off offset:164
	scratch_store_b32 off, v38, off offset:412
	;; [unrolled: 1-line block ×3, first 2 shown]
	v_mul_u32_u24_e32 v38, 0xd0, v57
	scratch_store_b32 off, v39, off offset:184 ; 4-byte Folded Spill
	v_mul_u32_u24_e32 v24, 0xd0, v66
	v_mad_u32_u24 v37, v66, 52, v85
	s_clause 0x2
	scratch_store_b32 off, v2, off offset:72
	scratch_store_b32 off, v0, off offset:76
	;; [unrolled: 1-line block ×3, first 2 shown]
	v_mul_u32_u24_e32 v38, 0xd0, v59
	scratch_store_b32 off, v24, off offset:192 ; 4-byte Folded Spill
	v_lshl_add_u32 v37, v37, 2, 0
	v_add_co_ci_u32_e32 v0, vcc_lo, s21, v106, vcc_lo
	scratch_store_b32 off, v38, off offset:456 ; 4-byte Folded Spill
	v_mad_u32_u24 v24, v67, 52, v85
	scratch_store_b32 off, v37, off offset:196 ; 4-byte Folded Spill
	v_lshrrev_b32_e32 v37, 2, v62
	scratch_store_b32 off, v0, off offset:80 ; 4-byte Folded Spill
	v_add_co_u32 v0, vcc_lo, s20, v107
	v_lshl_add_u32 v24, v24, 2, 0
	scratch_store_b32 off, v37, off offset:200 ; 4-byte Folded Spill
	v_mul_u32_u24_e32 v37, 0xd0, v67
	scratch_store_b32 off, v0, off offset:84 ; 4-byte Folded Spill
	v_add_co_ci_u32_e32 v0, vcc_lo, s21, v108, vcc_lo
	s_clause 0x1
	scratch_store_b32 off, v24, off offset:224
	scratch_store_b32 off, v37, off offset:220
	v_lshrrev_b32_e32 v24, 2, v64
	scratch_store_b32 off, v0, off offset:88 ; 4-byte Folded Spill
	v_add_co_u32 v0, vcc_lo, s20, v109
	v_mul_u32_u24_e32 v39, 0xd0, v45
	scratch_store_b32 off, v24, off offset:228 ; 4-byte Folded Spill
	v_mad_u32_u24 v37, v68, 52, v85
	scratch_store_b32 off, v0, off offset:92 ; 4-byte Folded Spill
	v_add_co_ci_u32_e32 v0, vcc_lo, s21, v110, vcc_lo
	scratch_store_b32 off, v39, off offset:240 ; 4-byte Folded Spill
	v_mul_u32_u24_e32 v24, 0xd0, v68
	v_lshl_add_u32 v37, v37, 2, 0
	scratch_store_b32 off, v0, off offset:96 ; 4-byte Folded Spill
	v_add_co_u32 v0, vcc_lo, s20, v111
	scratch_store_b32 off, v24, off offset:248 ; 4-byte Folded Spill
	v_mad_u32_u24 v24, v70, 52, v85
	v_mul_u32_u24_e32 v38, 0xd0, v70
	scratch_store_b32 off, v0, off offset:100 ; 4-byte Folded Spill
	v_add_co_ci_u32_e32 v0, vcc_lo, s21, v112, vcc_lo
	scratch_store_b32 off, v37, off offset:252 ; 4-byte Folded Spill
	v_lshrrev_b32_e32 v37, 2, v65
	v_lshl_add_u32 v24, v24, 2, 0
	scratch_store_b32 off, v0, off offset:104 ; 4-byte Folded Spill
	v_add_co_u32 v0, vcc_lo, s18, v115
	scratch_store_b32 off, v37, off offset:256 ; 4-byte Folded Spill
	v_mul_u32_u24_e32 v39, 0xd0, v48
	v_mad_u32_u24 v37, v72, 52, v85
	scratch_store_b32 off, v0, off offset:108 ; 4-byte Folded Spill
	v_add_co_ci_u32_e32 v0, vcc_lo, s19, v116, vcc_lo
	scratch_store_b32 off, v38, off offset:276 ; 4-byte Folded Spill
	s_mov_b32 s40, s65
	s_mov_b32 s41, s65
	scratch_store_b32 off, v0, off offset:112 ; 4-byte Folded Spill
	v_add_co_u32 v0, vcc_lo, s18, v117
	scratch_store_b32 off, v24, off offset:280 ; 4-byte Folded Spill
	v_lshrrev_b32_e32 v24, 2, v69
	s_mov_b32 s42, s65
	scratch_store_b32 off, v0, off offset:116 ; 4-byte Folded Spill
	v_add_co_ci_u32_e32 v0, vcc_lo, s19, v118, vcc_lo
	scratch_store_b32 off, v24, off offset:284 ; 4-byte Folded Spill
	v_mul_u32_u24_e32 v24, 0xd0, v72
	s_mov_b32 s43, s65
	scratch_store_b32 off, v0, off offset:120 ; 4-byte Folded Spill
	v_add_co_u32 v0, vcc_lo, s18, v119
	s_clause 0x1
	scratch_store_b32 off, v39, off offset:296
	scratch_store_b32 off, v0, off offset:124
	v_add_co_ci_u32_e32 v0, vcc_lo, s19, v120, vcc_lo
	scratch_store_b32 off, v24, off offset:304 ; 4-byte Folded Spill
	v_lshl_add_u32 v24, v37, 2, 0
	v_lshrrev_b32_e32 v37, 2, v71
	scratch_store_b32 off, v0, off offset:128 ; 4-byte Folded Spill
	v_add_co_u32 v0, vcc_lo, s18, v121
	scratch_store_b32 off, v24, off offset:308 ; 4-byte Folded Spill
	v_mad_u32_u24 v24, v73, 52, v85
	scratch_store_b32 off, v0, off offset:132 ; 4-byte Folded Spill
	v_add_co_ci_u32_e32 v0, vcc_lo, s19, v122, vcc_lo
	v_lshl_add_u32 v24, v24, 2, 0
	scratch_store_b32 off, v37, off offset:312 ; 4-byte Folded Spill
	v_mul_u32_u24_e32 v37, 0xd0, v73
	s_clause 0x1
	scratch_store_b32 off, v0, off offset:136
	scratch_store_b32 off, v24, off offset:336
	v_and_b32_e32 v24, 7, v209
	scratch_store_b32 off, v37, off offset:332 ; 4-byte Folded Spill
	v_lshlrev_b32_e32 v229, 4, v24
	s_branch .LBB14_12
.LBB14_10:                              ;   in Loop: Header=BB14_12 Depth=1
	s_or_b32 exec_lo, exec_lo, s5
	s_waitcnt_vscnt null, 0x0
	s_barrier
.LBB14_11:                              ;   in Loop: Header=BB14_12 Depth=1
	s_add_i32 s3, s58, s80
	s_mov_b32 s14, 0
	s_abs_i32 s4, s3
	s_waitcnt_vscnt null, 0x0
	buffer_gl0_inv
	s_mul_hi_u32 s5, s4, s55
	s_delay_alu instid0(SALU_CYCLE_1) | instskip(NEXT) | instid1(SALU_CYCLE_1)
	s_mul_i32 s5, s5, s81
	s_sub_i32 s4, s4, s5
	s_ashr_i32 s5, s3, 31
	s_sub_i32 s6, s4, s81
	s_cmp_ge_u32 s4, s81
	s_cselect_b32 s4, s6, s4
	s_delay_alu instid0(SALU_CYCLE_1) | instskip(SKIP_2) | instid1(SALU_CYCLE_1)
	s_sub_i32 s6, s4, s81
	s_cmp_ge_u32 s4, s81
	s_cselect_b32 s4, s6, s4
	s_xor_b32 s4, s4, s5
	s_delay_alu instid0(SALU_CYCLE_1) | instskip(NEXT) | instid1(SALU_CYCLE_1)
	s_sub_i32 s4, s5, s4
	s_add_i32 s58, s3, s4
	v_readlane_b32 s4, v255, 0
	v_readlane_b32 s5, v255, 1
	s_delay_alu instid0(VALU_DEP_2) | instskip(SKIP_1) | instid1(SALU_CYCLE_1)
	s_mov_b32 s6, s4
	s_sub_i32 s4, s4, s58
	s_min_i32 s99, s80, s4
	s_cmp_gt_i32 s6, s58
	s_cselect_b32 s3, -1, 0
	s_cmp_le_i32 s80, s4
	s_cselect_b32 s4, -1, 0
	s_delay_alu instid0(SALU_CYCLE_1) | instskip(NEXT) | instid1(SALU_CYCLE_1)
	s_and_b32 s4, s4, s3
	s_and_b32 vcc_lo, exec_lo, s4
	s_cbranch_vccz .LBB14_374
.LBB14_12:                              ; =>This Loop Header: Depth=1
                                        ;     Child Loop BB14_250 Depth 2
                                        ;     Child Loop BB14_69 Depth 2
	s_abs_i32 s3, s58
	s_ashr_i32 s5, s58, 31
	s_mul_hi_u32 s4, s3, s90
	s_xor_b32 s5, s5, s89
	s_mul_i32 s6, s4, s85
	s_delay_alu instid0(SALU_CYCLE_1)
	s_sub_i32 s3, s3, s6
	s_add_i32 s6, s4, 1
	s_sub_i32 s7, s3, s85
	s_cmp_ge_u32 s3, s85
	s_cselect_b32 s4, s6, s4
	s_cselect_b32 s3, s7, s3
	s_add_i32 s6, s4, 1
	s_cmp_ge_u32 s3, s85
	s_cselect_b32 s3, s6, s4
	s_delay_alu instid0(SALU_CYCLE_1) | instskip(NEXT) | instid1(SALU_CYCLE_1)
	s_xor_b32 s3, s3, s5
	s_sub_i32 s3, s3, s5
	s_delay_alu instid0(SALU_CYCLE_1) | instskip(NEXT) | instid1(SALU_CYCLE_1)
	s_mul_i32 s4, s3, s77
	s_sub_i32 s5, s58, s4
	s_delay_alu instid0(SALU_CYCLE_1) | instskip(SKIP_4) | instid1(SALU_CYCLE_1)
	s_abs_i32 s4, s5
	s_ashr_i32 s7, s5, 31
	s_mul_hi_u32 s6, s4, s92
	s_xor_b32 s7, s7, s91
	s_mul_i32 s15, s6, s86
	s_sub_i32 s4, s4, s15
	s_add_i32 s15, s6, 1
	s_sub_i32 s46, s4, s86
	s_cmp_ge_u32 s4, s86
	s_cselect_b32 s6, s15, s6
	s_cselect_b32 s4, s46, s4
	s_add_i32 s15, s6, 1
	s_cmp_ge_u32 s4, s86
	s_cselect_b32 s4, s15, s6
	s_delay_alu instid0(SALU_CYCLE_1) | instskip(NEXT) | instid1(SALU_CYCLE_1)
	s_xor_b32 s4, s4, s7
	s_sub_i32 s4, s4, s7
	s_delay_alu instid0(SALU_CYCLE_1) | instskip(NEXT) | instid1(SALU_CYCLE_1)
	s_mul_i32 s6, s4, s78
	s_sub_i32 s6, s5, s6
	s_delay_alu instid0(SALU_CYCLE_1) | instskip(SKIP_4) | instid1(SALU_CYCLE_1)
	s_abs_i32 s5, s6
	s_ashr_i32 s15, s6, 31
	s_mul_hi_u32 s7, s5, s79
	s_xor_b32 s15, s15, s93
	s_mul_i32 s46, s7, s87
	;; [unrolled: 21-line block ×3, first 2 shown]
	s_sub_i32 s7, s7, s46
	s_add_i32 s46, s15, 1
	s_sub_i32 s49, s7, s81
	s_cmp_ge_u32 s7, s81
	s_cselect_b32 s15, s46, s15
	s_cselect_b32 s7, s49, s7
	s_add_i32 s46, s15, 1
	s_cmp_ge_u32 s7, s81
	s_cselect_b32 s7, s46, s15
	s_and_not1_b32 vcc_lo, exec_lo, s88
	s_xor_b32 s7, s7, s6
	s_delay_alu instid0(SALU_CYCLE_1)
	s_sub_i32 s46, s7, s6
	s_cbranch_vccnz .LBB14_14
; %bb.13:                               ;   in Loop: Header=BB14_12 Depth=1
	s_mul_i32 s6, s3, s76
	s_delay_alu instid0(SALU_CYCLE_1) | instskip(NEXT) | instid1(SALU_CYCLE_1)
	s_add_i32 s6, s46, s6
	s_ashr_i32 s7, s6, 31
	s_delay_alu instid0(SALU_CYCLE_1) | instskip(NEXT) | instid1(SALU_CYCLE_1)
	s_lshl_b64 s[6:7], s[6:7], 2
	s_add_u32 s6, s26, s6
	s_addc_u32 s7, s27, s7
	global_load_b32 v0, v234, s[6:7]
	s_waitcnt vmcnt(0)
	v_readfirstlane_b32 s6, v0
	s_delay_alu instid0(VALU_DEP_1) | instskip(NEXT) | instid1(SALU_CYCLE_1)
	s_ashr_i32 s7, s6, 31
	s_lshr_b32 s7, s7, 26
	s_delay_alu instid0(SALU_CYCLE_1) | instskip(NEXT) | instid1(SALU_CYCLE_1)
	s_add_i32 s6, s6, s7
	s_ashr_i32 s6, s6, 6
	s_delay_alu instid0(SALU_CYCLE_1)
	s_min_i32 s99, s99, s6
.LBB14_14:                              ;   in Loop: Header=BB14_12 Depth=1
	s_mul_i32 s6, s4, s33
	s_lshl_b32 s94, s5, 2
	s_mul_i32 s5, s3, s57
	s_add_i32 s6, s94, s6
	s_ashr_i32 s7, s5, 31
	s_mul_i32 s15, s6, s56
	s_add_u32 s5, s16, s5
	s_addc_u32 s7, s17, s7
	s_ashr_i32 s49, s15, 31
	v_readlane_b32 s66, v255, 2
	s_add_u32 s63, s5, s15
	v_readlane_b32 s67, v255, 3
	s_addc_u32 s15, s7, s49
	s_mul_i32 s5, s3, s45
	s_mul_hi_u32 s7, s3, s44
	s_ashr_i32 s55, s3, 31
	s_add_i32 s5, s7, s5
	s_mul_i32 s7, s55, s44
	s_mul_i32 s100, s3, s44
	s_add_i32 s101, s5, s7
	s_mul_i32 s102, s4, s67
	s_add_u32 s5, s18, s100
	s_addc_u32 s7, s19, s101
	s_ashr_i32 s103, s102, 31
	s_add_u32 s97, s5, s102
	s_addc_u32 s98, s7, s103
	s_abs_i32 s5, s3
	s_mul_i32 s7, s3, s51
	v_mul_hi_u32 v0, s5, v190
	s_mul_hi_u32 s60, s3, s50
	s_mul_i32 s104, s3, s50
	v_or_b32_e32 v176, s94, v180
	s_delay_alu instid0(VALU_DEP_2) | instskip(NEXT) | instid1(VALU_DEP_1)
	v_mul_lo_u32 v0, v0, s84
	v_sub_nc_u32_e32 v0, s5, v0
	s_mul_i32 s5, s54, s3
	s_mul_i32 s3, s55, s50
	s_add_i32 s5, s6, s5
	s_delay_alu instid0(VALU_DEP_1) | instskip(SKIP_2) | instid1(SALU_CYCLE_1)
	v_subrev_nc_u32_e32 v1, s84, v0
	v_cmp_le_u32_e32 vcc_lo, s84, v0
	s_mul_i32 s64, s5, 48
	s_lshl_b64 s[66:67], s[64:65], 3
	s_mul_i32 s64, s4, s47
	v_cndmask_b32_e32 v0, v0, v1, vcc_lo
	s_add_u32 s62, s28, s66
	s_addc_u32 s49, s29, s67
	s_add_i32 s5, s60, s7
	s_delay_alu instid0(VALU_DEP_1)
	v_subrev_nc_u32_e32 v1, s84, v0
	v_cmp_le_u32_e32 vcc_lo, s84, v0
	s_add_i32 vcc_hi, s5, s3
	s_add_u32 s3, s20, s104
	s_addc_u32 s4, s21, vcc_hi
	s_ashr_i32 s60, s64, 31
	v_cndmask_b32_e32 v0, v0, v1, vcc_lo
	s_add_u32 s95, s3, s64
	s_addc_u32 s96, s4, s60
	s_ashr_i32 s7, s6, 31
	s_delay_alu instid0(VALU_DEP_1) | instskip(SKIP_1) | instid1(SALU_CYCLE_1)
	v_xor_b32_e32 v0, s55, v0
	s_lshl_b64 s[4:5], s[6:7], 2
	s_add_u32 s3, s24, s4
	s_addc_u32 s4, s25, s5
	s_delay_alu instid0(VALU_DEP_1)
	v_subrev_nc_u32_e32 v0, s55, v0
	s_and_b32 s5, s61, exec_lo
	s_cselect_b32 s73, 0, s4
	s_cselect_b32 s72, 0, s3
	s_cmp_lg_u32 s14, 0
	v_ashrrev_i32_e32 v1, 31, v0
	v_mul_lo_u32 v2, v0, s53
	v_mul_hi_u32 v3, v0, s52
	v_mul_lo_u32 v88, v0, s52
	s_delay_alu instid0(VALU_DEP_4) | instskip(NEXT) | instid1(VALU_DEP_3)
	v_mul_lo_u32 v1, v1, s52
	v_add_nc_u32_e32 v0, v3, v2
	s_delay_alu instid0(VALU_DEP_3) | instskip(NEXT) | instid1(VALU_DEP_2)
	v_add_co_u32 v247, vcc_lo, s22, v88
	v_add_nc_u32_e32 v89, v0, v1
	s_delay_alu instid0(VALU_DEP_1)
	v_add_co_ci_u32_e32 v253, vcc_lo, s23, v89, vcc_lo
	v_cmp_gt_i32_e32 vcc_lo, s33, v176
	s_cbranch_scc0 .LBB14_65
; %bb.15:                               ;   in Loop: Header=BB14_12 Depth=1
	s_lshl_b32 s66, s46, 3
	s_xor_b32 s4, vcc_lo, -1
	v_add_nc_u32_e32 v0, s66, v187
	s_delay_alu instid0(VALU_DEP_1) | instskip(NEXT) | instid1(VALU_DEP_1)
	v_cmp_le_i32_e64 s3, s8, v0
	s_or_b32 s3, s3, s4
	s_delay_alu instid0(SALU_CYCLE_1) | instskip(NEXT) | instid1(SALU_CYCLE_1)
	s_and_saveexec_b32 s5, s3
	s_xor_b32 s3, exec_lo, s5
	s_cbranch_execz .LBB14_17
; %bb.16:                               ;   in Loop: Header=BB14_12 Depth=1
	ds_store_b32 v202, v234
                                        ; implicit-def: $vgpr0
.LBB14_17:                              ;   in Loop: Header=BB14_12 Depth=1
	s_and_not1_saveexec_b32 s3, s3
	s_cbranch_execz .LBB14_19
; %bb.18:                               ;   in Loop: Header=BB14_12 Depth=1
	v_mad_u64_u32 v[1:2], null, v0, s59, v[133:134]
	s_delay_alu instid0(VALU_DEP_1) | instskip(NEXT) | instid1(VALU_DEP_1)
	v_ashrrev_i32_e32 v2, 31, v1
	v_lshlrev_b64 v[0:1], 3, v[1:2]
	s_delay_alu instid0(VALU_DEP_1) | instskip(NEXT) | instid1(VALU_DEP_2)
	v_add_co_u32 v0, vcc_lo, s63, v0
	v_add_co_ci_u32_e32 v1, vcc_lo, s15, v1, vcc_lo
	global_load_b64 v[0:1], v[0:1], off
	s_waitcnt vmcnt(0)
	v_cvt_f16_f32_e32 v0, v0
	v_cvt_f16_f32_e32 v1, v1
	s_delay_alu instid0(VALU_DEP_1) | instskip(NEXT) | instid1(VALU_DEP_1)
	v_pack_b32_f16 v0, v0, v1
	v_pk_mul_f16 v0, v179, v0
	ds_store_b32 v202, v0
.LBB14_19:                              ;   in Loop: Header=BB14_12 Depth=1
	s_or_b32 exec_lo, exec_lo, s3
	v_add_nc_u32_e32 v0, s66, v127
	s_delay_alu instid0(VALU_DEP_1) | instskip(SKIP_1) | instid1(SALU_CYCLE_1)
	v_cmp_le_i32_e32 vcc_lo, s8, v0
	s_or_b32 s3, vcc_lo, s4
	s_and_saveexec_b32 s5, s3
	s_delay_alu instid0(SALU_CYCLE_1)
	s_xor_b32 s3, exec_lo, s5
	s_cbranch_execz .LBB14_21
; %bb.20:                               ;   in Loop: Header=BB14_12 Depth=1
	ds_store_b32 v202, v234 offset:832
                                        ; implicit-def: $vgpr0
.LBB14_21:                              ;   in Loop: Header=BB14_12 Depth=1
	s_and_not1_saveexec_b32 s3, s3
	s_cbranch_execz .LBB14_23
; %bb.22:                               ;   in Loop: Header=BB14_12 Depth=1
	v_mad_u64_u32 v[1:2], null, v0, s59, v[133:134]
	s_delay_alu instid0(VALU_DEP_1) | instskip(NEXT) | instid1(VALU_DEP_1)
	v_ashrrev_i32_e32 v2, 31, v1
	v_lshlrev_b64 v[0:1], 3, v[1:2]
	s_delay_alu instid0(VALU_DEP_1) | instskip(NEXT) | instid1(VALU_DEP_2)
	v_add_co_u32 v0, vcc_lo, s63, v0
	v_add_co_ci_u32_e32 v1, vcc_lo, s15, v1, vcc_lo
	global_load_b64 v[0:1], v[0:1], off
	s_waitcnt vmcnt(0)
	v_cvt_f16_f32_e32 v0, v0
	v_cvt_f16_f32_e32 v1, v1
	s_delay_alu instid0(VALU_DEP_1) | instskip(NEXT) | instid1(VALU_DEP_1)
	v_pack_b32_f16 v0, v0, v1
	v_pk_mul_f16 v0, v179, v0
	ds_store_b32 v202, v0 offset:832
.LBB14_23:                              ;   in Loop: Header=BB14_12 Depth=1
	s_or_b32 exec_lo, exec_lo, s3
	v_add_nc_u32_e32 v0, s66, v219
	s_delay_alu instid0(VALU_DEP_1) | instskip(SKIP_1) | instid1(SALU_CYCLE_1)
	v_cmp_le_i32_e32 vcc_lo, s8, v0
	s_or_b32 s3, vcc_lo, s4
	s_and_saveexec_b32 s5, s3
	s_delay_alu instid0(SALU_CYCLE_1)
	s_xor_b32 s3, exec_lo, s5
	s_cbranch_execz .LBB14_25
; %bb.24:                               ;   in Loop: Header=BB14_12 Depth=1
	ds_store_b32 v202, v234 offset:1664
                                        ; implicit-def: $vgpr0
.LBB14_25:                              ;   in Loop: Header=BB14_12 Depth=1
	s_and_not1_saveexec_b32 s3, s3
	s_cbranch_execz .LBB14_27
; %bb.26:                               ;   in Loop: Header=BB14_12 Depth=1
	v_mad_u64_u32 v[1:2], null, v0, s59, v[133:134]
	s_delay_alu instid0(VALU_DEP_1) | instskip(NEXT) | instid1(VALU_DEP_1)
	v_ashrrev_i32_e32 v2, 31, v1
	v_lshlrev_b64 v[0:1], 3, v[1:2]
	s_delay_alu instid0(VALU_DEP_1) | instskip(NEXT) | instid1(VALU_DEP_2)
	v_add_co_u32 v0, vcc_lo, s63, v0
	v_add_co_ci_u32_e32 v1, vcc_lo, s15, v1, vcc_lo
	global_load_b64 v[0:1], v[0:1], off
	s_waitcnt vmcnt(0)
	v_cvt_f16_f32_e32 v0, v0
	v_cvt_f16_f32_e32 v1, v1
	s_delay_alu instid0(VALU_DEP_1) | instskip(NEXT) | instid1(VALU_DEP_1)
	v_pack_b32_f16 v0, v0, v1
	v_pk_mul_f16 v0, v179, v0
	ds_store_b32 v202, v0 offset:1664
.LBB14_27:                              ;   in Loop: Header=BB14_12 Depth=1
	;; [unrolled: 32-line block ×7, first 2 shown]
	s_or_b32 exec_lo, exec_lo, s3
	v_or_b32_e32 v1, s94, v207
	v_add_nc_u32_e32 v0, s66, v206
	s_delay_alu instid0(VALU_DEP_2) | instskip(NEXT) | instid1(VALU_DEP_2)
	v_cmp_gt_i32_e32 vcc_lo, s33, v1
	v_cmp_le_i32_e64 s3, s8, v0
	s_xor_b32 s4, vcc_lo, -1
	s_delay_alu instid0(VALU_DEP_1) | instid1(SALU_CYCLE_1)
	s_or_b32 s3, s3, s4
	s_delay_alu instid0(SALU_CYCLE_1) | instskip(NEXT) | instid1(SALU_CYCLE_1)
	s_and_saveexec_b32 s5, s3
	s_xor_b32 s3, exec_lo, s5
	s_cbranch_execz .LBB14_49
; %bb.48:                               ;   in Loop: Header=BB14_12 Depth=1
	ds_store_b32 v203, v234 offset:128
                                        ; implicit-def: $vgpr0
.LBB14_49:                              ;   in Loop: Header=BB14_12 Depth=1
	s_and_not1_saveexec_b32 s3, s3
	s_cbranch_execz .LBB14_51
; %bb.50:                               ;   in Loop: Header=BB14_12 Depth=1
	v_mad_u64_u32 v[1:2], null, v0, s59, v[124:125]
	s_delay_alu instid0(VALU_DEP_1) | instskip(NEXT) | instid1(VALU_DEP_1)
	v_ashrrev_i32_e32 v2, 31, v1
	v_lshlrev_b64 v[0:1], 3, v[1:2]
	s_delay_alu instid0(VALU_DEP_1) | instskip(NEXT) | instid1(VALU_DEP_2)
	v_add_co_u32 v0, vcc_lo, s63, v0
	v_add_co_ci_u32_e32 v1, vcc_lo, s15, v1, vcc_lo
	global_load_b64 v[0:1], v[0:1], off
	s_waitcnt vmcnt(0)
	v_cvt_f16_f32_e32 v0, v0
	v_cvt_f16_f32_e32 v1, v1
	s_delay_alu instid0(VALU_DEP_1) | instskip(NEXT) | instid1(VALU_DEP_1)
	v_pack_b32_f16 v0, v0, v1
	v_pk_mul_f16 v0, v179, v0
	ds_store_b32 v203, v0 offset:128
.LBB14_51:                              ;   in Loop: Header=BB14_12 Depth=1
	s_or_b32 exec_lo, exec_lo, s3
	v_add_nc_u32_e32 v0, s66, v205
	s_delay_alu instid0(VALU_DEP_1) | instskip(SKIP_1) | instid1(SALU_CYCLE_1)
	v_cmp_le_i32_e32 vcc_lo, s8, v0
	s_or_b32 s3, vcc_lo, s4
	s_and_saveexec_b32 s5, s3
	s_delay_alu instid0(SALU_CYCLE_1)
	s_xor_b32 s3, exec_lo, s5
	s_cbranch_execz .LBB14_53
; %bb.52:                               ;   in Loop: Header=BB14_12 Depth=1
	ds_store_b32 v203, v234 offset:1792
                                        ; implicit-def: $vgpr0
.LBB14_53:                              ;   in Loop: Header=BB14_12 Depth=1
	s_and_not1_saveexec_b32 s3, s3
	s_cbranch_execz .LBB14_55
; %bb.54:                               ;   in Loop: Header=BB14_12 Depth=1
	v_mad_u64_u32 v[1:2], null, v0, s59, v[124:125]
	s_delay_alu instid0(VALU_DEP_1) | instskip(NEXT) | instid1(VALU_DEP_1)
	v_ashrrev_i32_e32 v2, 31, v1
	v_lshlrev_b64 v[0:1], 3, v[1:2]
	s_delay_alu instid0(VALU_DEP_1) | instskip(NEXT) | instid1(VALU_DEP_2)
	v_add_co_u32 v0, vcc_lo, s63, v0
	v_add_co_ci_u32_e32 v1, vcc_lo, s15, v1, vcc_lo
	global_load_b64 v[0:1], v[0:1], off
	s_waitcnt vmcnt(0)
	v_cvt_f16_f32_e32 v0, v0
	v_cvt_f16_f32_e32 v1, v1
	s_delay_alu instid0(VALU_DEP_1) | instskip(NEXT) | instid1(VALU_DEP_1)
	v_pack_b32_f16 v0, v0, v1
	v_pk_mul_f16 v0, v179, v0
	ds_store_b32 v203, v0 offset:1792
.LBB14_55:                              ;   in Loop: Header=BB14_12 Depth=1
	s_or_b32 exec_lo, exec_lo, s3
	v_add_nc_u32_e32 v0, s66, v244
	s_delay_alu instid0(VALU_DEP_1) | instskip(SKIP_1) | instid1(SALU_CYCLE_1)
	v_cmp_le_i32_e32 vcc_lo, s8, v0
	s_or_b32 s3, vcc_lo, s4
	s_and_saveexec_b32 s5, s3
	s_delay_alu instid0(SALU_CYCLE_1)
	;; [unrolled: 32-line block ×3, first 2 shown]
	s_xor_b32 s3, exec_lo, s4
	s_cbranch_execz .LBB14_61
; %bb.60:                               ;   in Loop: Header=BB14_12 Depth=1
	ds_store_b32 v203, v234 offset:5120
                                        ; implicit-def: $vgpr0
.LBB14_61:                              ;   in Loop: Header=BB14_12 Depth=1
	s_and_not1_saveexec_b32 s3, s3
	s_cbranch_execz .LBB14_63
; %bb.62:                               ;   in Loop: Header=BB14_12 Depth=1
	v_mad_u64_u32 v[1:2], null, v0, s59, v[124:125]
	s_delay_alu instid0(VALU_DEP_1) | instskip(NEXT) | instid1(VALU_DEP_1)
	v_ashrrev_i32_e32 v2, 31, v1
	v_lshlrev_b64 v[0:1], 3, v[1:2]
	s_delay_alu instid0(VALU_DEP_1) | instskip(NEXT) | instid1(VALU_DEP_2)
	v_add_co_u32 v0, vcc_lo, s63, v0
	v_add_co_ci_u32_e32 v1, vcc_lo, s15, v1, vcc_lo
	global_load_b64 v[0:1], v[0:1], off
	s_waitcnt vmcnt(0)
	v_cvt_f16_f32_e32 v0, v0
	v_cvt_f16_f32_e32 v1, v1
	s_delay_alu instid0(VALU_DEP_1) | instskip(NEXT) | instid1(VALU_DEP_1)
	v_pack_b32_f16 v0, v0, v1
	v_pk_mul_f16 v0, v179, v0
	ds_store_b32 v203, v0 offset:5120
.LBB14_63:                              ;   in Loop: Header=BB14_12 Depth=1
	s_or_b32 exec_lo, exec_lo, s3
	v_add_nc_u32_e32 v0, v197, v132
	s_waitcnt lgkmcnt(0)
	s_waitcnt_vscnt null, 0x0
	s_barrier
	buffer_gl0_inv
	v_add_nc_u32_e32 v73, s66, v210
	ds_load_b128 v[32:35], v0
	ds_load_b128 v[36:39], v0 offset:16
	ds_load_b128 v[24:27], v0 offset:32
	;; [unrolled: 1-line block ×11, first 2 shown]
	v_add_nc_u32_e32 v72, s66, v251
	s_add_i32 s55, s99, -1
	s_waitcnt lgkmcnt(0)
	v_mul_hi_u32 v75, s34, v73
	s_cmp_gt_i32 s55, s14
	v_mul_hi_u32 v74, s34, v72
	s_barrier
	buffer_gl0_inv
	s_cbranch_scc1 .LBB14_66
; %bb.64:                               ;   in Loop: Header=BB14_12 Depth=1
	v_add_nc_u32_e32 v0, v73, v75
	v_dual_mov_b32 v130, 32 :: v_dual_add_nc_u32 v1, v72, v74
	v_xor_b32_e32 v98, 16, v252
	s_mov_b32 s3, 0
	s_delay_alu instid0(VALU_DEP_3) | instskip(NEXT) | instid1(VALU_DEP_3)
	v_lshrrev_b32_e32 v0, s35, v0
	v_lshrrev_b32_e32 v1, s35, v1
	s_mov_b32 s4, 0xfeffffff
	s_delay_alu instid0(VALU_DEP_2) | instskip(NEXT) | instid1(VALU_DEP_2)
	v_mul_lo_u32 v0, v0, s8
	v_mul_lo_u32 v1, v1, s8
	s_delay_alu instid0(VALU_DEP_2) | instskip(NEXT) | instid1(VALU_DEP_2)
	v_sub_nc_u32_e32 v0, v73, v0
	v_sub_nc_u32_e32 v1, v72, v1
	s_delay_alu instid0(VALU_DEP_2) | instskip(NEXT) | instid1(VALU_DEP_2)
	v_mad_i64_i32 v[92:93], null, v0, s82, 0
	v_mad_i64_i32 v[90:91], null, v1, s82, 0
	s_branch .LBB14_67
.LBB14_65:                              ;   in Loop: Header=BB14_12 Depth=1
	v_readlane_b32 s55, v255, 11
	s_cbranch_execz .LBB14_11
	s_branch .LBB14_197
.LBB14_66:                              ;   in Loop: Header=BB14_12 Depth=1
	s_mov_b32 s3, -1
                                        ; implicit-def: $sgpr4
                                        ; implicit-def: $vgpr92_vgpr93
                                        ; implicit-def: $vgpr90_vgpr91
                                        ; implicit-def: $vgpr98
                                        ; implicit-def: $vgpr130
.LBB14_67:                              ;   in Loop: Header=BB14_12 Depth=1
	s_delay_alu instid0(SALU_CYCLE_1) | instskip(SKIP_2) | instid1(VALU_DEP_3)
	v_cndmask_b32_e64 v0, 0, 1, s3
	v_dual_mov_b32 v15, s3 :: v_dual_mov_b32 v14, s3
	v_dual_mov_b32 v125, s3 :: v_dual_mov_b32 v12, s3
	v_cmp_ne_u32_e32 vcc_lo, 1, v0
	v_dual_mov_b32 v97, s4 :: v_dual_mov_b32 v10, s3
	v_dual_mov_b32 v13, s3 :: v_dual_mov_b32 v8, s3
	;; [unrolled: 1-line block ×10, first 2 shown]
	v_mov_b32_e32 v3, s3
	v_mov_b32_e32 v1, s3
	s_cbranch_vccnz .LBB14_71
; %bb.68:                               ;   in Loop: Header=BB14_12 Depth=1
	v_dual_mov_b32 v204, v218 :: v_dual_add_nc_u32 v1, v72, v74
	v_dual_mov_b32 v97, 0xfeffffff :: v_dual_add_nc_u32 v0, v73, v75
	s_mov_b64 s[4:5], s[34:35]
	v_xor_b32_e32 v98, 16, v252
	s_delay_alu instid0(VALU_DEP_3) | instskip(NEXT) | instid1(VALU_DEP_3)
	v_lshrrev_b32_e32 v1, s5, v1
	v_lshrrev_b32_e32 v2, s5, v0
	v_mov_b32_e32 v0, 0
	v_lshlrev_b32_e32 v74, 1, v131
	v_cmp_gt_i32_e32 vcc_lo, 32, v98
	v_mul_lo_u32 v5, v1, s8
	v_mul_lo_u32 v4, v2, s8
	v_dual_mov_b32 v1, v0 :: v_dual_mov_b32 v218, v190
	v_dual_mov_b32 v125, 0 :: v_dual_cndmask_b32 v6, v252, v98
	v_add_co_u32 v233, vcc_lo, v247, v74
	v_sub_nc_u32_e32 v5, v72, v5
	v_sub_nc_u32_e32 v7, v73, v4
	v_dual_mov_b32 v130, 32 :: v_dual_mov_b32 v3, v0
	v_mov_b32_e32 v2, v0
	s_delay_alu instid0(VALU_DEP_4) | instskip(NEXT) | instid1(VALU_DEP_4)
	v_mad_i64_i32 v[90:91], null, v5, s82, 0
	v_mad_i64_i32 v[92:93], null, v7, s82, 0
	v_mov_b32_e32 v4, v0
	v_dual_mov_b32 v5, v0 :: v_dual_lshlrev_b32 v232, 2, v6
	v_mov_b32_e32 v6, v0
	v_mov_b32_e32 v7, v0
	;; [unrolled: 1-line block ×18, first 2 shown]
	v_add_co_ci_u32_e32 v129, vcc_lo, 0, v253, vcc_lo
	s_mov_b32 s83, s49
	s_mov_b32 s67, s2
	;; [unrolled: 1-line block ×4, first 2 shown]
	s_mov_b64 s[48:49], s[52:53]
	s_mov_b64 s[52:53], s[50:51]
	;; [unrolled: 1-line block ×3, first 2 shown]
	s_mov_b32 s56, s79
	s_mov_b32 s79, s93
	;; [unrolled: 1-line block ×13, first 2 shown]
	s_lshl_b32 s74, s14, 6
.LBB14_69:                              ;   Parent Loop BB14_12 Depth=1
                                        ; =>  This Inner Loop Header: Depth=2
	s_delay_alu instid0(SALU_CYCLE_1)
	s_ashr_i32 s75, s74, 31
	v_lshlrev_b64 v[72:73], 1, v[92:93]
	s_lshl_b64 s[4:5], s[74:75], 1
	v_lshlrev_b64 v[74:75], 1, v[90:91]
	v_add_co_u32 v76, vcc_lo, v233, s4
	v_add_co_ci_u32_e32 v77, vcc_lo, s5, v129, vcc_lo
	s_mul_hi_i32 s5, s74, s12
	s_delay_alu instid0(VALU_DEP_2) | instskip(NEXT) | instid1(VALU_DEP_2)
	v_add_co_u32 v72, vcc_lo, v76, v72
	v_add_co_ci_u32_e32 v73, vcc_lo, v77, v73, vcc_lo
	v_add_co_u32 v74, vcc_lo, v76, v74
	v_add_co_ci_u32_e32 v75, vcc_lo, v77, v75, vcc_lo
	s_mul_i32 s4, s74, s12
	s_clause 0x1
	global_load_b32 v72, v[72:73], off
	global_load_b32 v73, v[74:75], off
	v_add_nc_u32_e32 v74, v201, v128
	v_dual_mov_b32 v142, s43 :: v_dual_mov_b32 v135, s36
	v_mov_b32_e32 v141, s42
	s_lshl_b64 s[4:5], s[4:5], 2
	s_delay_alu instid0(VALU_DEP_3)
	v_dual_mov_b32 v139, s40 :: v_dual_add_nc_u32 v74, 0x3400, v74
	s_add_u32 s3, s97, s4
	s_addc_u32 s4, s98, s5
	v_dual_mov_b32 v137, s38 :: v_dual_add_nc_u32 v94, v237, v198
	v_mov_b32_e32 v140, s41
	v_mov_b32_e32 v138, s39
	;; [unrolled: 1-line block ×3, first 2 shown]
	s_mul_hi_i32 s5, s74, s10
	v_add_nc_u32_e32 v96, 0x400, v193
	v_add_nc_u32_e32 v173, 0x800, v193
	s_waitcnt vmcnt(0)
	ds_store_2addr_b32 v74, v72, v73 offset1:144
	v_add_co_u32 v72, vcc_lo, s3, v103
	v_add_co_ci_u32_e32 v73, vcc_lo, s4, v104, vcc_lo
	s_delay_alu instid0(VALU_DEP_2) | instskip(NEXT) | instid1(VALU_DEP_2)
	v_add_co_u32 v72, vcc_lo, v72, v227
	v_add_co_ci_u32_e32 v73, vcc_lo, 0, v73, vcc_lo
	v_add_co_u32 v74, vcc_lo, s3, v113
	v_add_co_ci_u32_e32 v75, vcc_lo, s4, v114, vcc_lo
	s_delay_alu instid0(VALU_DEP_2) | instskip(NEXT) | instid1(VALU_DEP_2)
	v_add_co_u32 v76, vcc_lo, v74, v227
	v_add_co_ci_u32_e32 v77, vcc_lo, 0, v75, vcc_lo
	s_clause 0x1
	global_load_b128 v[72:75], v[72:73], off offset:128
	global_load_b128 v[76:79], v[76:77], off offset:128
	s_waitcnt vmcnt(1)
	ds_store_b128 v199, v[72:75]
	s_waitcnt vmcnt(0)
	ds_store_b128 v200, v[76:79]
	v_add_co_u32 v72, vcc_lo, s3, v115
	v_add_co_ci_u32_e32 v73, vcc_lo, s4, v116, vcc_lo
	s_delay_alu instid0(VALU_DEP_2) | instskip(NEXT) | instid1(VALU_DEP_2)
	v_add_co_u32 v72, vcc_lo, v72, v228
	v_add_co_ci_u32_e32 v73, vcc_lo, 0, v73, vcc_lo
	v_add_co_u32 v74, vcc_lo, s3, v117
	v_add_co_ci_u32_e32 v75, vcc_lo, s4, v118, vcc_lo
	s_delay_alu instid0(VALU_DEP_2) | instskip(NEXT) | instid1(VALU_DEP_2)
	v_add_co_u32 v76, vcc_lo, v74, v228
	v_add_co_ci_u32_e32 v77, vcc_lo, 0, v75, vcc_lo
	s_clause 0x1
	global_load_b128 v[72:75], v[72:73], off
	global_load_b128 v[76:79], v[76:77], off
	s_waitcnt vmcnt(1)
	ds_store_b128 v191, v[72:75]
	s_waitcnt vmcnt(0)
	ds_store_b128 v225, v[76:79]
	v_add_co_u32 v72, vcc_lo, s3, v119
	v_add_co_ci_u32_e32 v73, vcc_lo, s4, v120, vcc_lo
	s_delay_alu instid0(VALU_DEP_2) | instskip(NEXT) | instid1(VALU_DEP_2)
	v_add_co_u32 v72, vcc_lo, v72, v228
	v_add_co_ci_u32_e32 v73, vcc_lo, 0, v73, vcc_lo
	v_add_co_u32 v74, vcc_lo, s3, v121
	v_add_co_ci_u32_e32 v75, vcc_lo, s4, v122, vcc_lo
	s_mul_i32 s4, s74, s10
	s_delay_alu instid0(VALU_DEP_2) | instskip(NEXT) | instid1(VALU_DEP_2)
	v_add_co_u32 v76, vcc_lo, v74, v228
	v_add_co_ci_u32_e32 v77, vcc_lo, 0, v75, vcc_lo
	s_clause 0x1
	global_load_b128 v[72:75], v[72:73], off
	global_load_b128 v[76:79], v[76:77], off
	s_waitcnt vmcnt(1)
	ds_store_b128 v226, v[72:75]
	s_waitcnt vmcnt(0)
	ds_store_b128 v241, v[76:79]
	s_waitcnt lgkmcnt(0)
	s_barrier
	buffer_gl0_inv
	ds_load_b128 v[72:75], v94
	ds_load_b128 v[76:79], v94 offset:16
	ds_load_b128 v[80:83], v94 offset:6656
	;; [unrolled: 1-line block ×3, first 2 shown]
	s_lshl_b64 s[4:5], s[4:5], 2
	s_delay_alu instid0(SALU_CYCLE_1)
	s_add_u32 s3, s95, s4
	s_addc_u32 s4, s96, s5
	v_cmp_eq_u32_e64 s5, 0, v188
	s_add_i32 s14, s14, 1
	s_add_i32 s74, s74, 64
	s_cmp_lt_i32 s14, s55
	s_waitcnt lgkmcnt(2)
	v_wmma_f32_16x16x16_f16 v[143:150], v[72:79], v[32:39], v[135:142]
	ds_load_b128 v[72:75], v94 offset:32
	ds_load_b128 v[76:79], v94 offset:48
	s_waitcnt lgkmcnt(2)
	v_wmma_f32_16x16x16_f16 v[151:158], v[80:87], v[32:39], v[135:142]
	s_waitcnt lgkmcnt(0)
	v_wmma_f32_16x16x16_f16 v[143:150], v[72:79], v[24:31], v[143:150]
	ds_load_b128 v[72:75], v94 offset:6688
	ds_load_b128 v[76:79], v94 offset:6704
	s_waitcnt lgkmcnt(0)
	v_wmma_f32_16x16x16_f16 v[151:158], v[72:79], v[24:31], v[151:158]
	ds_load_b128 v[72:75], v94 offset:64
	ds_load_b128 v[76:79], v94 offset:80
	;; [unrolled: 4-line block ×9, first 2 shown]
	s_waitcnt lgkmcnt(0)
	s_barrier
	buffer_gl0_inv
	v_wmma_f32_16x16x16_f16 v[151:158], v[72:79], v[64:71], v[151:158]
	ds_load_u16 v72, v192 offset:13312
	ds_load_u16 v73, v192 offset:13316
	ds_load_u16 v74, v192 offset:13320
	ds_load_u16 v75, v192 offset:13324
	ds_load_u16 v76, v192 offset:13328
	ds_load_u16 v77, v192 offset:13332
	ds_load_u16 v78, v192 offset:13336
	ds_load_u16 v79, v192 offset:13340
	ds_load_u16 v80, v238 offset:64
	ds_load_u16 v81, v238 offset:68
	ds_load_u16 v82, v238 offset:72
	ds_load_u16 v83, v238 offset:76
	ds_load_u16 v84, v238 offset:80
	ds_load_u16 v85, v238 offset:84
	ds_load_u16 v86, v238 offset:88
	ds_load_u16 v87, v238 offset:92
	s_waitcnt lgkmcnt(15)
	v_cvt_f32_f16_e32 v72, v72
	s_waitcnt lgkmcnt(7)
	v_cvt_f32_f16_e32 v80, v80
	v_cvt_f32_f16_e32 v74, v74
	s_waitcnt lgkmcnt(6)
	v_cvt_f32_f16_e32 v81, v81
	s_waitcnt lgkmcnt(5)
	v_cvt_f32_f16_e32 v82, v82
	v_cvt_f32_f16_e32 v76, v76
	v_dual_add_f32 v215, v151, v80 :: v_dual_add_f32 v74, v145, v74
	v_add_co_u32 v80, vcc_lo, s3, v99
	s_waitcnt lgkmcnt(1)
	v_cvt_f32_f16_e32 v86, v86
	v_add_f32_e32 v216, v152, v81
	v_add_co_ci_u32_e32 v81, vcc_lo, s4, v100, vcc_lo
	v_cvt_f32_f16_e32 v79, v79
	s_delay_alu instid0(VALU_DEP_4)
	v_add_f32_e32 v231, v157, v86
	v_cvt_f32_f16_e32 v83, v83
	v_add_co_u32 v80, vcc_lo, v80, v227
	v_add_co_ci_u32_e32 v81, vcc_lo, 0, v81, vcc_lo
	v_cvt_f32_f16_e32 v75, v75
	v_dual_add_f32 v72, v143, v72 :: v_dual_add_f32 v79, v150, v79
	v_cvt_f32_f16_e32 v84, v84
	v_add_f32_e32 v214, v153, v82
	v_add_co_u32 v82, vcc_lo, s3, v101
	v_cvt_f32_f16_e32 v78, v78
	v_dual_add_f32 v76, v147, v76 :: v_dual_add_f32 v177, v154, v83
	v_cvt_f32_f16_e32 v85, v85
	v_add_co_ci_u32_e32 v83, vcc_lo, s4, v102, vcc_lo
	v_dual_add_f32 v75, v146, v75 :: v_dual_add_f32 v236, v155, v84
	v_add_co_u32 v84, vcc_lo, v82, v227
	v_cvt_f32_f16_e32 v77, v77
	s_waitcnt lgkmcnt(0)
	v_cvt_f32_f16_e32 v87, v87
	v_dual_add_f32 v78, v149, v78 :: v_dual_add_f32 v235, v156, v85
	v_add_co_ci_u32_e32 v85, vcc_lo, 0, v83, vcc_lo
	s_delay_alu instid0(VALU_DEP_3)
	v_dual_add_f32 v77, v148, v77 :: v_dual_add_f32 v230, v158, v87
	s_clause 0x1
	global_load_b128 v[80:83], v[80:81], off offset:128
	global_load_b128 v[84:87], v[84:85], off offset:128
	s_waitcnt vmcnt(1)
	ds_store_b128 v199, v[80:83]
	s_waitcnt vmcnt(0)
	ds_store_b128 v200, v[84:87]
	v_add_co_u32 v80, vcc_lo, s3, v105
	v_add_co_ci_u32_e32 v81, vcc_lo, s4, v106, vcc_lo
	v_cvt_f32_f16_e32 v73, v73
	s_delay_alu instid0(VALU_DEP_3) | instskip(NEXT) | instid1(VALU_DEP_3)
	v_add_co_u32 v80, vcc_lo, v80, v228
	v_add_co_ci_u32_e32 v81, vcc_lo, 0, v81, vcc_lo
	v_add_co_u32 v82, vcc_lo, s3, v107
	v_add_co_ci_u32_e32 v83, vcc_lo, s4, v108, vcc_lo
	v_add_f32_e32 v73, v144, v73
	s_delay_alu instid0(VALU_DEP_3) | instskip(NEXT) | instid1(VALU_DEP_3)
	v_add_co_u32 v84, vcc_lo, v82, v228
	v_add_co_ci_u32_e32 v85, vcc_lo, 0, v83, vcc_lo
	s_clause 0x1
	global_load_b128 v[80:83], v[80:81], off
	global_load_b128 v[84:87], v[84:85], off
	s_waitcnt vmcnt(1)
	ds_store_b128 v191, v[80:83]
	s_waitcnt vmcnt(0)
	ds_store_b128 v225, v[84:87]
	v_add_co_u32 v80, vcc_lo, s3, v109
	v_add_co_ci_u32_e32 v81, vcc_lo, s4, v110, vcc_lo
	s_delay_alu instid0(VALU_DEP_2) | instskip(NEXT) | instid1(VALU_DEP_2)
	v_add_co_u32 v80, vcc_lo, v80, v228
	v_add_co_ci_u32_e32 v81, vcc_lo, 0, v81, vcc_lo
	v_add_co_u32 v82, vcc_lo, s3, v111
	v_add_co_ci_u32_e32 v83, vcc_lo, s4, v112, vcc_lo
	v_cmp_eq_u32_e64 s4, 1, v188
	s_delay_alu instid0(VALU_DEP_3) | instskip(NEXT) | instid1(VALU_DEP_3)
	v_add_co_u32 v84, vcc_lo, v82, v228
	v_add_co_ci_u32_e32 v85, vcc_lo, 0, v83, vcc_lo
	s_clause 0x1
	global_load_b128 v[80:83], v[80:81], off
	global_load_b128 v[84:87], v[84:85], off
	s_waitcnt vmcnt(1)
	ds_store_b128 v226, v[80:83]
	s_waitcnt vmcnt(0)
	ds_store_b128 v241, v[84:87]
	v_dual_mov_b32 v80, v97 :: v_dual_add_f32 v81, 0x40051340, v72
	v_dual_add_f32 v82, 0x40051340, v73 :: v_dual_add_f32 v83, 0x40051340, v75
	s_waitcnt lgkmcnt(0)
	s_barrier
	buffer_gl0_inv
	v_max3_f32 v81, v80, v81, v82
	v_add_f32_e32 v82, 0x40051340, v74
	ds_load_2addr_b32 v[137:138], v193 offset1:16
	ds_load_2addr_b32 v[94:95], v193 offset0:32 offset1:52
	ds_load_2addr_b32 v[139:140], v193 offset0:104 offset1:120
	;; [unrolled: 1-line block ×3, first 2 shown]
	v_add_nc_u32_e32 v87, 0xa00, v193
	v_max3_f32 v81, v81, v82, v83
	v_dual_add_f32 v82, 0x40051340, v76 :: v_dual_add_f32 v83, 0x40051340, v77
	s_delay_alu instid0(VALU_DEP_1) | instskip(SKIP_1) | instid1(VALU_DEP_1)
	v_max3_f32 v81, v81, v82, v83
	v_dual_add_f32 v82, 0x40051340, v78 :: v_dual_add_f32 v83, 0x40051340, v79
	v_max3_f32 v81, v81, v82, v83
	v_dual_add_f32 v82, 0x40051340, v215 :: v_dual_add_f32 v83, 0x40051340, v216
	s_delay_alu instid0(VALU_DEP_1) | instskip(SKIP_1) | instid1(VALU_DEP_1)
	v_max3_f32 v81, v81, v82, v83
	v_dual_add_f32 v82, 0x40051340, v214 :: v_dual_add_f32 v83, 0x40051340, v177
	;; [unrolled: 5-line block ×3, first 2 shown]
	v_max3_f32 v81, v81, v82, v83
	ds_bpermute_b32 v82, v232, v81
	s_waitcnt lgkmcnt(0)
	v_max_f32_e32 v82, v82, v82
	s_delay_alu instid0(VALU_DEP_1) | instskip(NEXT) | instid1(VALU_DEP_1)
	v_max_f32_e32 v97, v81, v82
	v_sub_f32_e32 v73, v73, v97
	s_delay_alu instid0(VALU_DEP_1) | instskip(SKIP_1) | instid1(VALU_DEP_2)
	v_mul_f32_e32 v81, 0x3fb8aa3b, v73
	v_cmp_ngt_f32_e32 vcc_lo, 0xc2ce8ed0, v73
	v_fma_f32 v82, 0x3fb8aa3b, v73, -v81
	v_rndne_f32_e32 v83, v81
	s_delay_alu instid0(VALU_DEP_1)
	v_dual_fmac_f32 v82, 0x32a5705f, v73 :: v_dual_sub_f32 v81, v81, v83
	v_sub_f32_e32 v72, v72, v97
	v_cvt_i32_f32_e32 v83, v83
	v_sub_f32_e32 v74, v74, v97
	v_sub_f32_e32 v75, v75, v97
	v_add_f32_e32 v81, v81, v82
	v_cmp_ngt_f32_e64 s3, 0xc2ce8ed0, v72
	v_sub_f32_e32 v77, v77, v97
	v_sub_f32_e32 v80, v80, v97
	;; [unrolled: 1-line block ×3, first 2 shown]
	v_exp_f32_e32 v81, v81
	s_waitcnt_depctr 0xfff
	v_ldexp_f32 v81, v81, v83
	s_delay_alu instid0(VALU_DEP_1) | instskip(SKIP_1) | instid1(VALU_DEP_2)
	v_cndmask_b32_e32 v81, 0, v81, vcc_lo
	v_cmp_nlt_f32_e32 vcc_lo, 0x42b17218, v73
	v_cndmask_b32_e32 v249, 0x7f800000, v81, vcc_lo
	v_cmp_eq_u32_e32 vcc_lo, 1, v224
	v_sub_f32_e32 v76, v76, v97
	v_sub_f32_e32 v78, v78, v97
	ds_bpermute_b32 v81, v232, v249
	v_mul_f32_e32 v82, 0x3fb8aa3b, v72
	s_delay_alu instid0(VALU_DEP_1) | instskip(SKIP_1) | instid1(VALU_DEP_2)
	v_fma_f32 v84, 0x3fb8aa3b, v72, -v82
	v_rndne_f32_e32 v85, v82
	v_fmac_f32_e32 v84, 0x32a5705f, v72
	s_delay_alu instid0(VALU_DEP_2) | instskip(SKIP_1) | instid1(VALU_DEP_2)
	v_sub_f32_e32 v82, v82, v85
	v_cvt_i32_f32_e32 v83, v85
	v_add_f32_e32 v82, v82, v84
	s_delay_alu instid0(VALU_DEP_1) | instskip(SKIP_2) | instid1(VALU_DEP_1)
	v_exp_f32_e32 v82, v82
	s_waitcnt_depctr 0xfff
	v_ldexp_f32 v82, v82, v83
	v_cndmask_b32_e64 v73, 0, v82, s3
	v_cmp_nlt_f32_e64 s3, 0x42b17218, v72
	s_delay_alu instid0(VALU_DEP_1)
	v_cndmask_b32_e64 v254, 0x7f800000, v73, s3
	v_cmp_eq_u32_e64 s3, 0, v224
	ds_bpermute_b32 v72, v232, v254
	s_waitcnt lgkmcnt(0)
	v_cndmask_b32_e32 v73, v254, v72, vcc_lo
	v_cndmask_b32_e64 v72, v254, v72, s3
	s_delay_alu instid0(VALU_DEP_2) | instskip(NEXT) | instid1(VALU_DEP_2)
	v_cndmask_b32_e64 v83, v73, v249, s4
	v_cndmask_b32_e64 v82, v72, v249, s5
	v_cvt_f16_f32_e32 v72, v72
	v_cvt_f16_f32_e32 v73, v73
	s_delay_alu instid0(VALU_DEP_3) | instskip(SKIP_1) | instid1(VALU_DEP_3)
	v_cndmask_b32_e64 v82, v82, v81, s3
	v_cndmask_b32_e32 v81, v83, v81, vcc_lo
	v_pack_b32_f16 v72, v72, v73
	s_delay_alu instid0(VALU_DEP_3) | instskip(NEXT) | instid1(VALU_DEP_3)
	v_cvt_f16_f32_e32 v83, v82
	v_cvt_f16_f32_e32 v84, v81
	s_delay_alu instid0(VALU_DEP_1) | instskip(SKIP_1) | instid1(VALU_DEP_1)
	v_pack_b32_f16 v73, v83, v84
	v_mul_f32_e32 v83, 0x3fb8aa3b, v74
	v_fma_f32 v84, 0x3fb8aa3b, v74, -v83
	v_rndne_f32_e32 v85, v83
	s_delay_alu instid0(VALU_DEP_1) | instskip(NEXT) | instid1(VALU_DEP_1)
	v_dual_fmac_f32 v84, 0x32a5705f, v74 :: v_dual_sub_f32 v83, v83, v85
	v_add_f32_e32 v83, v83, v84
	v_cvt_i32_f32_e32 v84, v85
	v_cmp_ngt_f32_e64 s6, 0xc2ce8ed0, v74
	s_delay_alu instid0(VALU_DEP_3) | instskip(SKIP_2) | instid1(VALU_DEP_1)
	v_exp_f32_e32 v83, v83
	s_waitcnt_depctr 0xfff
	v_ldexp_f32 v83, v83, v84
	v_cndmask_b32_e64 v83, 0, v83, s6
	v_cmp_nlt_f32_e64 s6, 0x42b17218, v74
	s_delay_alu instid0(VALU_DEP_1) | instskip(SKIP_1) | instid1(VALU_DEP_2)
	v_cndmask_b32_e64 v250, 0x7f800000, v83, s6
	v_cmp_ngt_f32_e64 s6, 0xc2ce8ed0, v75
	v_cndmask_b32_e64 v74, v82, v250, s5
	ds_bpermute_b32 v82, v232, v250
	v_cndmask_b32_e64 v81, v81, v250, s4
	s_waitcnt lgkmcnt(0)
	v_cndmask_b32_e64 v83, v74, v82, s3
	s_delay_alu instid0(VALU_DEP_2) | instskip(NEXT) | instid1(VALU_DEP_2)
	v_cndmask_b32_e32 v81, v81, v82, vcc_lo
	v_cvt_f16_f32_e32 v74, v83
	s_delay_alu instid0(VALU_DEP_2) | instskip(NEXT) | instid1(VALU_DEP_1)
	v_cvt_f16_f32_e32 v82, v81
	v_pack_b32_f16 v74, v74, v82
	v_mul_f32_e32 v82, 0x3fb8aa3b, v75
	s_delay_alu instid0(VALU_DEP_1) | instskip(SKIP_1) | instid1(VALU_DEP_2)
	v_fma_f32 v84, 0x3fb8aa3b, v75, -v82
	v_rndne_f32_e32 v85, v82
	v_fmac_f32_e32 v84, 0x32a5705f, v75
	s_delay_alu instid0(VALU_DEP_2) | instskip(NEXT) | instid1(VALU_DEP_1)
	v_sub_f32_e32 v82, v82, v85
	v_add_f32_e32 v82, v82, v84
	v_cvt_i32_f32_e32 v84, v85
	s_delay_alu instid0(VALU_DEP_2) | instskip(SKIP_2) | instid1(VALU_DEP_1)
	v_exp_f32_e32 v82, v82
	s_waitcnt_depctr 0xfff
	v_ldexp_f32 v82, v82, v84
	v_cndmask_b32_e64 v82, 0, v82, s6
	v_cmp_nlt_f32_e64 s6, 0x42b17218, v75
	s_delay_alu instid0(VALU_DEP_1)
	v_cndmask_b32_e64 v181, 0x7f800000, v82, s6
	v_cmp_ngt_f32_e64 s6, 0xc2ce8ed0, v76
	ds_bpermute_b32 v82, v232, v181
	v_cndmask_b32_e64 v75, v83, v181, s5
	v_cndmask_b32_e64 v81, v81, v181, s4
	s_waitcnt lgkmcnt(0)
	s_delay_alu instid0(VALU_DEP_2) | instskip(NEXT) | instid1(VALU_DEP_2)
	v_cndmask_b32_e64 v83, v75, v82, s3
	v_cndmask_b32_e32 v81, v81, v82, vcc_lo
	s_delay_alu instid0(VALU_DEP_2) | instskip(NEXT) | instid1(VALU_DEP_2)
	v_cvt_f16_f32_e32 v75, v83
	v_cvt_f16_f32_e32 v82, v81
	s_delay_alu instid0(VALU_DEP_1) | instskip(SKIP_1) | instid1(VALU_DEP_1)
	v_pack_b32_f16 v75, v75, v82
	v_mul_f32_e32 v82, 0x3fb8aa3b, v76
	v_fma_f32 v84, 0x3fb8aa3b, v76, -v82
	v_rndne_f32_e32 v85, v82
	s_delay_alu instid0(VALU_DEP_2) | instskip(NEXT) | instid1(VALU_DEP_2)
	v_fmac_f32_e32 v84, 0x32a5705f, v76
	v_sub_f32_e32 v82, v82, v85
	s_delay_alu instid0(VALU_DEP_1) | instskip(SKIP_1) | instid1(VALU_DEP_2)
	v_add_f32_e32 v82, v82, v84
	v_cvt_i32_f32_e32 v84, v85
	v_exp_f32_e32 v82, v82
	s_waitcnt_depctr 0xfff
	v_ldexp_f32 v82, v82, v84
	s_delay_alu instid0(VALU_DEP_1) | instskip(SKIP_1) | instid1(VALU_DEP_1)
	v_cndmask_b32_e64 v82, 0, v82, s6
	v_cmp_nlt_f32_e64 s6, 0x42b17218, v76
	v_cndmask_b32_e64 v182, 0x7f800000, v82, s6
	v_cmp_ngt_f32_e64 s6, 0xc2ce8ed0, v77
	ds_bpermute_b32 v82, v232, v182
	v_cndmask_b32_e64 v76, v83, v182, s5
	v_cndmask_b32_e64 v81, v81, v182, s4
	s_waitcnt lgkmcnt(0)
	s_delay_alu instid0(VALU_DEP_2) | instskip(NEXT) | instid1(VALU_DEP_2)
	v_cndmask_b32_e64 v83, v76, v82, s3
	v_cndmask_b32_e32 v81, v81, v82, vcc_lo
	s_delay_alu instid0(VALU_DEP_2) | instskip(NEXT) | instid1(VALU_DEP_2)
	v_cvt_f16_f32_e32 v76, v83
	v_cvt_f16_f32_e32 v82, v81
	s_delay_alu instid0(VALU_DEP_1) | instskip(SKIP_1) | instid1(VALU_DEP_1)
	v_pack_b32_f16 v76, v76, v82
	v_mul_f32_e32 v82, 0x3fb8aa3b, v77
	v_fma_f32 v84, 0x3fb8aa3b, v77, -v82
	v_rndne_f32_e32 v85, v82
	s_delay_alu instid0(VALU_DEP_2) | instskip(NEXT) | instid1(VALU_DEP_2)
	v_fmac_f32_e32 v84, 0x32a5705f, v77
	v_sub_f32_e32 v82, v82, v85
	s_delay_alu instid0(VALU_DEP_1) | instskip(SKIP_1) | instid1(VALU_DEP_2)
	v_add_f32_e32 v82, v82, v84
	v_cvt_i32_f32_e32 v84, v85
	v_exp_f32_e32 v82, v82
	s_waitcnt_depctr 0xfff
	v_ldexp_f32 v82, v82, v84
	s_delay_alu instid0(VALU_DEP_1) | instskip(SKIP_1) | instid1(VALU_DEP_1)
	v_cndmask_b32_e64 v82, 0, v82, s6
	v_cmp_nlt_f32_e64 s6, 0x42b17218, v77
	;; [unrolled: 29-line block ×4, first 2 shown]
	v_cndmask_b32_e64 v185, 0x7f800000, v82, s6
	v_cmp_ngt_f32_e64 s6, 0xc2ce8ed0, v80
	ds_bpermute_b32 v82, v232, v185
	v_cndmask_b32_e64 v79, v83, v185, s5
	v_cndmask_b32_e64 v81, v81, v185, s4
	s_waitcnt lgkmcnt(0)
	s_delay_alu instid0(VALU_DEP_2) | instskip(NEXT) | instid1(VALU_DEP_2)
	v_cndmask_b32_e64 v79, v79, v82, s3
	v_cndmask_b32_e32 v81, v81, v82, vcc_lo
	s_delay_alu instid0(VALU_DEP_2) | instskip(NEXT) | instid1(VALU_DEP_2)
	v_cvt_f16_f32_e32 v79, v79
	v_cvt_f16_f32_e32 v81, v81
	s_delay_alu instid0(VALU_DEP_1) | instskip(SKIP_1) | instid1(VALU_DEP_1)
	v_pack_b32_f16 v79, v79, v81
	v_mul_f32_e32 v81, 0x3fb8aa3b, v80
	v_fma_f32 v82, 0x3fb8aa3b, v80, -v81
	v_rndne_f32_e32 v83, v81
	s_delay_alu instid0(VALU_DEP_1) | instskip(NEXT) | instid1(VALU_DEP_1)
	v_dual_fmac_f32 v82, 0x32a5705f, v80 :: v_dual_sub_f32 v81, v81, v83
	v_add_f32_e32 v81, v81, v82
	v_cvt_i32_f32_e32 v82, v83
	s_delay_alu instid0(VALU_DEP_2) | instskip(SKIP_3) | instid1(VALU_DEP_2)
	v_exp_f32_e32 v81, v81
	s_waitcnt_depctr 0xfff
	v_ldexp_f32 v81, v81, v82
	v_add_nc_u32_e32 v82, 0x200, v193
	v_cndmask_b32_e64 v81, 0, v81, s6
	v_cmp_nlt_f32_e64 s6, 0x42b17218, v80
	ds_load_2addr_b32 v[145:146], v82 offset0:80 offset1:132
	ds_load_2addr_b32 v[143:144], v96 offset0:56 offset1:72
	;; [unrolled: 1-line block ×9, first 2 shown]
	v_cndmask_b32_e64 v81, 0x7f800000, v81, s6
	v_cmp_le_f32_e64 s6, 0xc1a00000, v80
	v_perm_b32 v80, v95, v137, 0x5040100
	ds_load_2addr_b32 v[159:160], v193 offset0:68 offset1:84
	ds_load_2addr_b32 v[161:162], v193 offset0:172 offset1:188
	v_cndmask_b32_e64 v186, 0, v81, s6
	v_perm_b32 v81, v136, v139, 0x5040100
	s_delay_alu instid0(VALU_DEP_2)
	v_cvt_f16_f32_e64 v212, v186
	s_waitcnt lgkmcnt(10)
	v_perm_b32 v82, v146, v145, 0x5040100
	s_waitcnt lgkmcnt(8)
	v_perm_b32 v83, v142, v143, 0x5040100
	v_pk_mul_f16 v0, v212, v0 op_sel_hi:[0,1]
	v_pk_mul_f16 v1, v212, v1 op_sel_hi:[0,1]
	;; [unrolled: 1-line block ×8, first 2 shown]
	s_waitcnt lgkmcnt(7)
	v_perm_b32 v84, v152, v151, 0x5040100
	s_waitcnt lgkmcnt(5)
	v_perm_b32 v85, v148, v149, 0x5040100
	;; [unrolled: 2-line block ×4, first 2 shown]
	v_pk_mul_f16 v16, v212, v16 op_sel_hi:[0,1]
	v_pk_mul_f16 v17, v212, v17 op_sel_hi:[0,1]
	;; [unrolled: 1-line block ×4, first 2 shown]
	v_wmma_f16_16x16x16_f16 v[0:7], v[80:87], v[72:79], v[0:7]
	v_add_nc_u32_e32 v82, 0x300, v223
	v_add_nc_u32_e32 v87, 0xc00, v193
	ds_load_2addr_b32 v[171:172], v82 offset0:16 offset1:224
	ds_load_2addr_b32 v[163:164], v96 offset0:20 offset1:36
	;; [unrolled: 1-line block ×5, first 2 shown]
	ds_load_b32 v213, v223 offset:2496
	ds_load_2addr_b32 v[173:174], v173 offset0:180 offset1:196
	ds_load_b32 v96, v223 offset:9776
	ds_load_b32 v175, v222 offset:2496
	ds_load_2addr_b32 v[239:240], v87 offset0:28 offset1:44
	v_pk_mul_f16 v20, v212, v20 op_sel_hi:[0,1]
	v_pk_mul_f16 v21, v212, v21 op_sel_hi:[0,1]
	;; [unrolled: 1-line block ×4, first 2 shown]
	s_waitcnt lgkmcnt(11)
	v_perm_b32 v80, v159, v138, 0x5040100
	s_waitcnt lgkmcnt(10)
	v_perm_b32 v81, v161, v140, 0x5040100
	v_pk_mul_f16 v8, v212, v8 op_sel_hi:[0,1]
	v_pk_mul_f16 v9, v212, v9 op_sel_hi:[0,1]
	;; [unrolled: 1-line block ×8, first 2 shown]
	s_waitcnt lgkmcnt(8)
	v_perm_b32 v82, v163, v171, 0x5040100
	s_waitcnt lgkmcnt(7)
	v_perm_b32 v83, v165, v144, 0x5040100
	;; [unrolled: 2-line block ×6, first 2 shown]
	s_delay_alu instid0(VALU_DEP_1)
	v_wmma_f16_16x16x16_f16 v[16:23], v[80:87], v[72:79], v[16:23]
	v_add_nc_u32_e32 v82, 0x300, v243
	v_perm_b32 v80, v160, v94, 0x5040100
	v_perm_b32 v81, v162, v135, 0x5040100
	;; [unrolled: 1-line block ×4, first 2 shown]
	ds_load_2addr_b32 v[189:190], v82 offset0:16 offset1:224
	ds_load_b32 v178, v243 offset:2496
	ds_load_b32 v212, v243 offset:9776
	;; [unrolled: 1-line block ×3, first 2 shown]
	v_perm_b32 v87, v240, v153, 0x5040100
	s_waitcnt lgkmcnt(2)
	v_perm_b32 v86, v174, v178, 0x5040100
	v_perm_b32 v82, v164, v189, 0x5040100
	v_perm_b32 v84, v168, v190, 0x5040100
	s_delay_alu instid0(VALU_DEP_1)
	v_wmma_f16_16x16x16_f16 v[8:15], v[80:87], v[72:79], v[8:15]
	v_perm_b32 v82, v146, v145, 0x7060302
	v_perm_b32 v84, v152, v151, 0x7060302
	;; [unrolled: 1-line block ×8, first 2 shown]
	s_delay_alu instid0(VALU_DEP_1)
	v_wmma_f16_16x16x16_f16 v[0:7], v[80:87], v[72:79], v[0:7] op_sel:[0,0,1]
	v_perm_b32 v80, v159, v138, 0x7060302
	v_perm_b32 v81, v161, v140, 0x7060302
	;; [unrolled: 1-line block ×8, first 2 shown]
	s_delay_alu instid0(VALU_DEP_1)
	v_wmma_f16_16x16x16_f16 v[16:23], v[80:87], v[72:79], v[16:23] op_sel:[0,0,1]
	v_perm_b32 v80, v160, v94, 0x7060302
	v_perm_b32 v81, v162, v135, 0x7060302
	;; [unrolled: 1-line block ×8, first 2 shown]
	s_delay_alu instid0(VALU_DEP_1) | instskip(SKIP_3) | instid1(VALU_DEP_3)
	v_wmma_f16_16x16x16_f16 v[8:15], v[80:87], v[72:79], v[8:15] op_sel:[0,0,1]
	v_sub_f32_e32 v72, v216, v97
	v_add_nc_u32_e32 v86, 0x2400, v193
	v_add_nc_u32_e32 v85, 0x2000, v193
	v_mul_f32_e32 v73, 0x3fb8aa3b, v72
	v_cmp_ngt_f32_e64 s6, 0xc2ce8ed0, v72
	s_delay_alu instid0(VALU_DEP_2) | instskip(SKIP_1) | instid1(VALU_DEP_1)
	v_fma_f32 v74, 0x3fb8aa3b, v72, -v73
	v_rndne_f32_e32 v75, v73
	v_dual_fmac_f32 v74, 0x32a5705f, v72 :: v_dual_sub_f32 v73, v73, v75
	v_cvt_i32_f32_e32 v75, v75
	s_delay_alu instid0(VALU_DEP_2) | instskip(NEXT) | instid1(VALU_DEP_1)
	v_dual_add_f32 v73, v73, v74 :: v_dual_sub_f32 v74, v215, v97
	v_exp_f32_e32 v73, v73
	s_delay_alu instid0(VALU_DEP_1) | instskip(SKIP_1) | instid1(VALU_DEP_2)
	v_mul_f32_e32 v76, 0x3fb8aa3b, v74
	v_cmp_ngt_f32_e64 s7, 0xc2ce8ed0, v74
	v_fma_f32 v77, 0x3fb8aa3b, v74, -v76
	v_rndne_f32_e32 v78, v76
	s_waitcnt_depctr 0xfff
	v_ldexp_f32 v73, v73, v75
	v_fmac_f32_e32 v77, 0x32a5705f, v74
	v_sub_f32_e32 v76, v76, v78
	v_cvt_i32_f32_e32 v75, v78
	s_delay_alu instid0(VALU_DEP_4) | instskip(SKIP_1) | instid1(VALU_DEP_4)
	v_cndmask_b32_e64 v73, 0, v73, s6
	v_cmp_nlt_f32_e64 s6, 0x42b17218, v72
	v_add_f32_e32 v76, v76, v77
	s_delay_alu instid0(VALU_DEP_2) | instskip(NEXT) | instid1(VALU_DEP_2)
	v_cndmask_b32_e64 v189, 0x7f800000, v73, s6
	v_exp_f32_e32 v76, v76
	s_waitcnt_depctr 0xfff
	v_ldexp_f32 v75, v76, v75
	s_delay_alu instid0(VALU_DEP_1)
	v_cndmask_b32_e64 v72, 0, v75, s7
	v_cmp_nlt_f32_e64 s7, 0x42b17218, v74
	ds_bpermute_b32 v74, v232, v189
	v_cndmask_b32_e64 v178, 0x7f800000, v72, s7
	ds_bpermute_b32 v72, v232, v178
	s_waitcnt lgkmcnt(0)
	v_cndmask_b32_e32 v73, v178, v72, vcc_lo
	v_cndmask_b32_e64 v72, v178, v72, s3
	s_delay_alu instid0(VALU_DEP_2) | instskip(NEXT) | instid1(VALU_DEP_2)
	v_cndmask_b32_e64 v76, v73, v189, s4
	v_cndmask_b32_e64 v75, v72, v189, s5
	v_cvt_f16_f32_e32 v72, v72
	v_cvt_f16_f32_e32 v73, v73
	s_delay_alu instid0(VALU_DEP_3) | instskip(SKIP_1) | instid1(VALU_DEP_3)
	v_cndmask_b32_e64 v75, v75, v74, s3
	v_cndmask_b32_e32 v74, v76, v74, vcc_lo
	v_pack_b32_f16 v72, v72, v73
	s_delay_alu instid0(VALU_DEP_3) | instskip(NEXT) | instid1(VALU_DEP_3)
	v_cvt_f16_f32_e32 v76, v75
	v_cvt_f16_f32_e32 v77, v74
	s_delay_alu instid0(VALU_DEP_1) | instskip(SKIP_1) | instid1(VALU_DEP_1)
	v_pack_b32_f16 v73, v76, v77
	v_sub_f32_e32 v76, v214, v97
	v_mul_f32_e32 v77, 0x3fb8aa3b, v76
	v_cmp_ngt_f32_e64 s6, 0xc2ce8ed0, v76
	s_delay_alu instid0(VALU_DEP_2) | instskip(SKIP_1) | instid1(VALU_DEP_1)
	v_fma_f32 v78, 0x3fb8aa3b, v76, -v77
	v_rndne_f32_e32 v79, v77
	v_dual_fmac_f32 v78, 0x32a5705f, v76 :: v_dual_sub_f32 v77, v77, v79
	s_delay_alu instid0(VALU_DEP_1) | instskip(SKIP_1) | instid1(VALU_DEP_2)
	v_add_f32_e32 v77, v77, v78
	v_cvt_i32_f32_e32 v78, v79
	v_exp_f32_e32 v77, v77
	s_waitcnt_depctr 0xfff
	v_ldexp_f32 v77, v77, v78
	s_delay_alu instid0(VALU_DEP_1) | instskip(SKIP_1) | instid1(VALU_DEP_1)
	v_cndmask_b32_e64 v77, 0, v77, s6
	v_cmp_nlt_f32_e64 s6, 0x42b17218, v76
	v_cndmask_b32_e64 v190, 0x7f800000, v77, s6
	ds_bpermute_b32 v76, v232, v190
	v_cndmask_b32_e64 v75, v75, v190, s5
	v_cndmask_b32_e64 v74, v74, v190, s4
	s_waitcnt lgkmcnt(0)
	s_delay_alu instid0(VALU_DEP_2) | instskip(NEXT) | instid1(VALU_DEP_2)
	v_cndmask_b32_e64 v75, v75, v76, s3
	v_cndmask_b32_e32 v76, v74, v76, vcc_lo
	s_delay_alu instid0(VALU_DEP_2) | instskip(NEXT) | instid1(VALU_DEP_2)
	v_cvt_f16_f32_e32 v74, v75
	v_cvt_f16_f32_e32 v77, v76
	s_delay_alu instid0(VALU_DEP_1) | instskip(SKIP_1) | instid1(VALU_DEP_1)
	v_pack_b32_f16 v74, v74, v77
	v_sub_f32_e32 v77, v177, v97
	v_mul_f32_e32 v78, 0x3fb8aa3b, v77
	v_cmp_ngt_f32_e64 s6, 0xc2ce8ed0, v77
	s_delay_alu instid0(VALU_DEP_2) | instskip(SKIP_1) | instid1(VALU_DEP_1)
	v_fma_f32 v79, 0x3fb8aa3b, v77, -v78
	v_rndne_f32_e32 v80, v78
	v_dual_fmac_f32 v79, 0x32a5705f, v77 :: v_dual_sub_f32 v78, v78, v80
	s_delay_alu instid0(VALU_DEP_1) | instskip(SKIP_1) | instid1(VALU_DEP_2)
	v_add_f32_e32 v78, v78, v79
	v_cvt_i32_f32_e32 v79, v80
	v_exp_f32_e32 v78, v78
	s_waitcnt_depctr 0xfff
	v_ldexp_f32 v78, v78, v79
	s_delay_alu instid0(VALU_DEP_1) | instskip(SKIP_1) | instid1(VALU_DEP_1)
	v_cndmask_b32_e64 v78, 0, v78, s6
	v_cmp_nlt_f32_e64 s6, 0x42b17218, v77
	v_cndmask_b32_e64 v177, 0x7f800000, v78, s6
	ds_bpermute_b32 v77, v232, v177
	v_cndmask_b32_e64 v75, v75, v177, s5
	v_cndmask_b32_e64 v76, v76, v177, s4
	s_waitcnt lgkmcnt(0)
	s_delay_alu instid0(VALU_DEP_2) | instskip(NEXT) | instid1(VALU_DEP_2)
	v_cndmask_b32_e64 v78, v75, v77, s3
	v_cndmask_b32_e32 v76, v76, v77, vcc_lo
	s_delay_alu instid0(VALU_DEP_2) | instskip(NEXT) | instid1(VALU_DEP_2)
	v_cvt_f16_f32_e32 v75, v78
	v_cvt_f16_f32_e32 v77, v76
	s_delay_alu instid0(VALU_DEP_1) | instskip(SKIP_1) | instid1(VALU_DEP_1)
	v_pack_b32_f16 v75, v75, v77
	v_sub_f32_e32 v77, v236, v97
	v_mul_f32_e32 v79, 0x3fb8aa3b, v77
	v_cmp_ngt_f32_e64 s6, 0xc2ce8ed0, v77
	s_delay_alu instid0(VALU_DEP_2) | instskip(SKIP_1) | instid1(VALU_DEP_2)
	v_fma_f32 v80, 0x3fb8aa3b, v77, -v79
	v_rndne_f32_e32 v81, v79
	v_fmac_f32_e32 v80, 0x32a5705f, v77
	s_delay_alu instid0(VALU_DEP_2) | instskip(NEXT) | instid1(VALU_DEP_1)
	v_sub_f32_e32 v79, v79, v81
	v_add_f32_e32 v79, v79, v80
	v_cvt_i32_f32_e32 v80, v81
	s_delay_alu instid0(VALU_DEP_2) | instskip(SKIP_2) | instid1(VALU_DEP_1)
	v_exp_f32_e32 v79, v79
	s_waitcnt_depctr 0xfff
	v_ldexp_f32 v79, v79, v80
	v_cndmask_b32_e64 v79, 0, v79, s6
	v_cmp_nlt_f32_e64 s6, 0x42b17218, v77
	s_delay_alu instid0(VALU_DEP_1) | instskip(NEXT) | instid1(VALU_DEP_1)
	v_cndmask_b32_e64 v213, 0x7f800000, v79, s6
	v_cndmask_b32_e64 v77, v78, v213, s5
	ds_bpermute_b32 v78, v232, v213
	v_cndmask_b32_e64 v76, v76, v213, s4
	s_waitcnt lgkmcnt(0)
	v_cndmask_b32_e64 v77, v77, v78, s3
	s_delay_alu instid0(VALU_DEP_2) | instskip(NEXT) | instid1(VALU_DEP_2)
	v_cndmask_b32_e32 v78, v76, v78, vcc_lo
	v_cvt_f16_f32_e32 v76, v77
	s_delay_alu instid0(VALU_DEP_2) | instskip(NEXT) | instid1(VALU_DEP_1)
	v_cvt_f16_f32_e32 v79, v78
	v_pack_b32_f16 v76, v76, v79
	v_sub_f32_e32 v79, v235, v97
	s_delay_alu instid0(VALU_DEP_1) | instskip(SKIP_1) | instid1(VALU_DEP_2)
	v_mul_f32_e32 v80, 0x3fb8aa3b, v79
	v_cmp_ngt_f32_e64 s6, 0xc2ce8ed0, v79
	v_fma_f32 v81, 0x3fb8aa3b, v79, -v80
	v_rndne_f32_e32 v82, v80
	s_delay_alu instid0(VALU_DEP_1) | instskip(NEXT) | instid1(VALU_DEP_1)
	v_dual_fmac_f32 v81, 0x32a5705f, v79 :: v_dual_sub_f32 v80, v80, v82
	v_add_f32_e32 v80, v80, v81
	v_cvt_i32_f32_e32 v81, v82
	s_delay_alu instid0(VALU_DEP_2) | instskip(SKIP_2) | instid1(VALU_DEP_1)
	v_exp_f32_e32 v80, v80
	s_waitcnt_depctr 0xfff
	v_ldexp_f32 v80, v80, v81
	v_cndmask_b32_e64 v80, 0, v80, s6
	v_cmp_nlt_f32_e64 s6, 0x42b17218, v79
	s_delay_alu instid0(VALU_DEP_1) | instskip(SKIP_4) | instid1(VALU_DEP_2)
	v_cndmask_b32_e64 v214, 0x7f800000, v80, s6
	ds_bpermute_b32 v79, v232, v214
	v_cndmask_b32_e64 v77, v77, v214, s5
	v_cndmask_b32_e64 v78, v78, v214, s4
	s_waitcnt lgkmcnt(0)
	v_cndmask_b32_e64 v80, v77, v79, s3
	s_delay_alu instid0(VALU_DEP_2) | instskip(NEXT) | instid1(VALU_DEP_2)
	v_cndmask_b32_e32 v78, v78, v79, vcc_lo
	v_cvt_f16_f32_e32 v77, v80
	s_delay_alu instid0(VALU_DEP_2) | instskip(NEXT) | instid1(VALU_DEP_1)
	v_cvt_f16_f32_e32 v79, v78
	v_pack_b32_f16 v77, v77, v79
	v_sub_f32_e32 v79, v231, v97
	s_delay_alu instid0(VALU_DEP_1) | instskip(SKIP_1) | instid1(VALU_DEP_2)
	v_mul_f32_e32 v81, 0x3fb8aa3b, v79
	v_cmp_ngt_f32_e64 s6, 0xc2ce8ed0, v79
	v_fma_f32 v82, 0x3fb8aa3b, v79, -v81
	v_rndne_f32_e32 v83, v81
	s_delay_alu instid0(VALU_DEP_2) | instskip(NEXT) | instid1(VALU_DEP_2)
	v_fmac_f32_e32 v82, 0x32a5705f, v79
	v_sub_f32_e32 v81, v81, v83
	s_delay_alu instid0(VALU_DEP_1) | instskip(SKIP_1) | instid1(VALU_DEP_2)
	v_add_f32_e32 v81, v81, v82
	v_cvt_i32_f32_e32 v82, v83
	v_exp_f32_e32 v81, v81
	s_waitcnt_depctr 0xfff
	v_ldexp_f32 v81, v81, v82
	s_delay_alu instid0(VALU_DEP_1) | instskip(SKIP_1) | instid1(VALU_DEP_1)
	v_cndmask_b32_e64 v81, 0, v81, s6
	v_cmp_nlt_f32_e64 s6, 0x42b17218, v79
	v_cndmask_b32_e64 v215, 0x7f800000, v81, s6
	s_delay_alu instid0(VALU_DEP_1) | instskip(SKIP_4) | instid1(VALU_DEP_2)
	v_cndmask_b32_e64 v79, v80, v215, s5
	ds_bpermute_b32 v80, v232, v215
	v_cndmask_b32_e64 v78, v78, v215, s4
	s_waitcnt lgkmcnt(0)
	v_cndmask_b32_e64 v79, v79, v80, s3
	v_cndmask_b32_e32 v80, v78, v80, vcc_lo
	s_delay_alu instid0(VALU_DEP_2) | instskip(NEXT) | instid1(VALU_DEP_2)
	v_cvt_f16_f32_e32 v78, v79
	v_cvt_f16_f32_e32 v81, v80
	s_delay_alu instid0(VALU_DEP_1) | instskip(SKIP_1) | instid1(VALU_DEP_1)
	v_pack_b32_f16 v78, v78, v81
	v_sub_f32_e32 v81, v230, v97
	v_mul_f32_e32 v82, 0x3fb8aa3b, v81
	v_cmp_ngt_f32_e64 s6, 0xc2ce8ed0, v81
	s_delay_alu instid0(VALU_DEP_2) | instskip(SKIP_1) | instid1(VALU_DEP_1)
	v_fma_f32 v83, 0x3fb8aa3b, v81, -v82
	v_rndne_f32_e32 v84, v82
	v_dual_fmac_f32 v83, 0x32a5705f, v81 :: v_dual_sub_f32 v82, v82, v84
	s_delay_alu instid0(VALU_DEP_1) | instskip(SKIP_1) | instid1(VALU_DEP_2)
	v_add_f32_e32 v82, v82, v83
	v_cvt_i32_f32_e32 v83, v84
	v_exp_f32_e32 v82, v82
	s_waitcnt_depctr 0xfff
	v_ldexp_f32 v82, v82, v83
	v_add_nc_u32_e32 v83, 0x1c00, v193
	s_delay_alu instid0(VALU_DEP_2) | instskip(SKIP_1) | instid1(VALU_DEP_1)
	v_cndmask_b32_e64 v82, 0, v82, s6
	v_cmp_nlt_f32_e64 s6, 0x42b17218, v81
	v_cndmask_b32_e64 v216, 0x7f800000, v82, s6
	v_add_nc_u32_e32 v82, 0x300, v222
	ds_bpermute_b32 v81, v232, v216
	v_cndmask_b32_e64 v79, v79, v216, s5
	v_cndmask_b32_e64 v80, v80, v216, s4
	s_waitcnt lgkmcnt(0)
	s_delay_alu instid0(VALU_DEP_2) | instskip(NEXT) | instid1(VALU_DEP_2)
	v_cndmask_b32_e64 v79, v79, v81, s3
	v_cndmask_b32_e32 v80, v80, v81, vcc_lo
	v_add_nc_u32_e32 v81, 0x1a00, v193
	s_delay_alu instid0(VALU_DEP_3) | instskip(NEXT) | instid1(VALU_DEP_3)
	v_cvt_f16_f32_e32 v79, v79
	v_cvt_f16_f32_e32 v80, v80
	s_delay_alu instid0(VALU_DEP_1)
	v_pack_b32_f16 v79, v79, v80
	v_add_nc_u32_e32 v80, 0x1800, v193
	ds_load_2addr_b32 v[94:95], v80 offset0:128 offset1:180
	ds_load_2addr_b32 v[135:136], v81 offset0:104 offset1:156
	;; [unrolled: 1-line block ×4, first 2 shown]
	v_add_nc_u32_e32 v83, 0x1e00, v193
	ds_load_2addr_b32 v[143:144], v85 offset0:136 offset1:188
	ds_load_2addr_b32 v[141:142], v83 offset0:108 offset1:212
	;; [unrolled: 1-line block ×3, first 2 shown]
	ds_load_b32 v230, v193 offset:9776
	s_waitcnt lgkmcnt(7)
	v_perm_b32 v80, v95, v94, 0x5040100
	s_waitcnt lgkmcnt(6)
	v_perm_b32 v81, v136, v135, 0x5040100
	;; [unrolled: 2-line block ×5, first 2 shown]
	v_perm_b32 v84, v142, v138, 0x5040100
	s_waitcnt lgkmcnt(1)
	v_perm_b32 v86, v145, v175, 0x5040100
	s_waitcnt lgkmcnt(0)
	v_perm_b32 v87, v230, v146, 0x5040100
	s_delay_alu instid0(VALU_DEP_1)
	v_wmma_f16_16x16x16_f16 v[0:7], v[80:87], v[72:79], v[0:7]
	v_add_nc_u32_e32 v80, 0x1800, v223
	v_add_nc_u32_e32 v82, 0x300, v194
	;; [unrolled: 1-line block ×4, first 2 shown]
	ds_load_2addr_b32 v[147:148], v80 offset0:128 offset1:180
	ds_load_2addr_b32 v[149:150], v81 offset0:104 offset1:156
	;; [unrolled: 1-line block ×4, first 2 shown]
	v_add_nc_u32_e32 v83, 0x1e00, v223
	v_add_nc_u32_e32 v85, 0x2000, v223
	;; [unrolled: 1-line block ×3, first 2 shown]
	ds_load_2addr_b32 v[155:156], v83 offset0:108 offset1:212
	ds_load_2addr_b32 v[157:158], v85 offset0:136 offset1:188
	;; [unrolled: 1-line block ×3, first 2 shown]
	s_waitcnt lgkmcnt(6)
	v_perm_b32 v80, v148, v147, 0x5040100
	s_waitcnt lgkmcnt(5)
	v_perm_b32 v81, v150, v149, 0x5040100
	;; [unrolled: 2-line block ×4, first 2 shown]
	v_perm_b32 v84, v156, v152, 0x5040100
	s_waitcnt lgkmcnt(1)
	v_perm_b32 v85, v158, v157, 0x5040100
	s_waitcnt lgkmcnt(0)
	v_perm_b32 v86, v159, v134, 0x5040100
	v_perm_b32 v87, v96, v160, 0x5040100
	s_delay_alu instid0(VALU_DEP_1)
	v_wmma_f16_16x16x16_f16 v[16:23], v[80:87], v[72:79], v[16:23]
	v_add_nc_u32_e32 v80, 0x1800, v243
	v_add_nc_u32_e32 v82, 0x300, v195
	;; [unrolled: 1-line block ×4, first 2 shown]
	ds_load_2addr_b32 v[161:162], v80 offset0:128 offset1:180
	ds_load_2addr_b32 v[163:164], v81 offset0:104 offset1:156
	;; [unrolled: 1-line block ×4, first 2 shown]
	v_add_nc_u32_e32 v83, 0x1e00, v243
	v_add_nc_u32_e32 v85, 0x2000, v243
	;; [unrolled: 1-line block ×3, first 2 shown]
	ds_load_2addr_b32 v[169:170], v83 offset0:108 offset1:212
	ds_load_2addr_b32 v[171:172], v85 offset0:136 offset1:188
	ds_load_b32 v231, v195 offset:2496
	ds_load_2addr_b32 v[173:174], v86 offset0:36 offset1:88
	s_waitcnt lgkmcnt(0)
	s_barrier
	buffer_gl0_inv
	v_perm_b32 v80, v162, v161, 0x5040100
	v_perm_b32 v81, v164, v163, 0x5040100
	;; [unrolled: 1-line block ×8, first 2 shown]
	s_delay_alu instid0(VALU_DEP_1)
	v_wmma_f16_16x16x16_f16 v[8:15], v[80:87], v[72:79], v[8:15]
	v_perm_b32 v82, v139, v137, 0x7060302
	v_perm_b32 v83, v141, v140, 0x7060302
	;; [unrolled: 1-line block ×8, first 2 shown]
	s_delay_alu instid0(VALU_DEP_1)
	v_wmma_f16_16x16x16_f16 v[0:7], v[80:87], v[72:79], v[0:7] op_sel:[0,0,1]
	v_perm_b32 v82, v153, v151, 0x7060302
	v_perm_b32 v83, v155, v154, 0x7060302
	;; [unrolled: 1-line block ×8, first 2 shown]
	s_delay_alu instid0(VALU_DEP_1)
	v_wmma_f16_16x16x16_f16 v[16:23], v[80:87], v[72:79], v[16:23] op_sel:[0,0,1]
	v_perm_b32 v82, v167, v165, 0x7060302
	v_perm_b32 v83, v169, v168, 0x7060302
	;; [unrolled: 1-line block ×8, first 2 shown]
	s_delay_alu instid0(VALU_DEP_1) | instskip(SKIP_1) | instid1(VALU_DEP_1)
	v_wmma_f16_16x16x16_f16 v[8:15], v[80:87], v[72:79], v[8:15] op_sel:[0,0,1]
	v_dual_add_f32 v72, v254, v249 :: v_dual_mov_b32 v73, v125
	v_add_f32_e32 v72, v250, v72
	s_delay_alu instid0(VALU_DEP_1) | instskip(NEXT) | instid1(VALU_DEP_1)
	v_add_f32_e32 v72, v181, v72
	v_add_f32_e32 v72, v182, v72
	s_delay_alu instid0(VALU_DEP_1) | instskip(NEXT) | instid1(VALU_DEP_1)
	v_add_f32_e32 v72, v183, v72
	v_add_f32_e32 v72, v184, v72
	s_delay_alu instid0(VALU_DEP_1) | instskip(NEXT) | instid1(VALU_DEP_1)
	v_add_f32_e32 v72, v185, v72
	v_add_f32_e32 v72, v178, v72
	s_delay_alu instid0(VALU_DEP_1) | instskip(NEXT) | instid1(VALU_DEP_1)
	v_add_f32_e32 v72, v189, v72
	v_add_f32_e32 v72, v190, v72
	s_delay_alu instid0(VALU_DEP_1) | instskip(NEXT) | instid1(VALU_DEP_1)
	v_add_f32_e32 v72, v177, v72
	v_add_f32_e32 v72, v213, v72
	s_delay_alu instid0(VALU_DEP_1) | instskip(NEXT) | instid1(VALU_DEP_1)
	v_add_f32_e32 v72, v214, v72
	v_add_f32_e32 v72, v215, v72
	s_delay_alu instid0(VALU_DEP_1) | instskip(NEXT) | instid1(VALU_DEP_1)
	v_add_f32_e32 v125, v216, v72
	v_fmac_f32_e32 v125, v73, v186
	s_cbranch_scc1 .LBB14_69
; %bb.70:                               ;   in Loop: Header=BB14_12 Depth=1
	v_mov_b32_e32 v190, v218
	v_mov_b32_e32 v218, v204
	s_mov_b32 s75, s78
	s_mov_b32 s78, s77
	;; [unrolled: 1-line block ×13, first 2 shown]
	s_mov_b64 s[56:57], s[50:51]
	s_mov_b64 s[50:51], s[52:53]
	;; [unrolled: 1-line block ×3, first 2 shown]
	s_mov_b32 s48, s1
	s_mov_b32 s1, s2
	;; [unrolled: 1-line block ×4, first 2 shown]
.LBB14_71:                              ;   in Loop: Header=BB14_12 Depth=1
	s_lshl_b32 s4, s14, 6
	v_lshlrev_b32_e32 v72, 1, v131
	s_ashr_i32 s5, s4, 31
	v_mov_b32_e32 v142, s43
	s_lshl_b64 s[6:7], s[4:5], 1
	v_mov_b32_e32 v141, s42
	v_add_co_u32 v73, vcc_lo, v247, s6
	v_add_co_ci_u32_e32 v74, vcc_lo, s7, v253, vcc_lo
	s_mul_hi_i32 s7, s12, s4
	s_delay_alu instid0(VALU_DEP_2) | instskip(SKIP_1) | instid1(VALU_DEP_3)
	v_add_co_u32 v76, vcc_lo, v73, v72
	v_lshlrev_b64 v[72:73], 1, v[92:93]
	v_add_co_ci_u32_e32 v77, vcc_lo, 0, v74, vcc_lo
	v_lshlrev_b64 v[74:75], 1, v[90:91]
	s_mul_i32 s6, s12, s4
	v_dual_mov_b32 v135, s36 :: v_dual_add_nc_u32 v90, v237, v198
	s_delay_alu instid0(VALU_DEP_4) | instskip(SKIP_1) | instid1(VALU_DEP_4)
	v_add_co_u32 v72, vcc_lo, v76, v72
	v_add_co_ci_u32_e32 v73, vcc_lo, v77, v73, vcc_lo
	v_add_co_u32 v74, vcc_lo, v76, v74
	v_add_co_ci_u32_e32 v75, vcc_lo, v77, v75, vcc_lo
	s_clause 0x1
	global_load_b32 v72, v[72:73], off
	global_load_b32 v73, v[74:75], off
	v_dual_mov_b32 v139, s40 :: v_dual_add_nc_u32 v74, v201, v128
	s_lshl_b64 s[6:7], s[6:7], 2
	v_mov_b32_e32 v137, s38
	s_add_u32 s3, s97, s6
	s_delay_alu instid0(VALU_DEP_2)
	v_add_nc_u32_e32 v74, 0x3400, v74
	s_addc_u32 s5, s98, s7
	v_mov_b32_e32 v140, s41
	v_mov_b32_e32 v138, s39
	;; [unrolled: 1-line block ×3, first 2 shown]
	v_add_nc_u32_e32 v96, 0xc00, v193
	s_waitcnt vmcnt(0)
	ds_store_2addr_b32 v74, v72, v73 offset1:144
	v_add_co_u32 v72, vcc_lo, s3, v103
	v_add_co_ci_u32_e32 v73, vcc_lo, s5, v104, vcc_lo
	s_delay_alu instid0(VALU_DEP_2) | instskip(NEXT) | instid1(VALU_DEP_2)
	v_add_co_u32 v72, vcc_lo, v72, v227
	v_add_co_ci_u32_e32 v73, vcc_lo, 0, v73, vcc_lo
	v_add_co_u32 v74, vcc_lo, s3, v113
	v_add_co_ci_u32_e32 v75, vcc_lo, s5, v114, vcc_lo
	s_delay_alu instid0(VALU_DEP_2) | instskip(NEXT) | instid1(VALU_DEP_2)
	v_add_co_u32 v76, vcc_lo, v74, v227
	v_add_co_ci_u32_e32 v77, vcc_lo, 0, v75, vcc_lo
	s_clause 0x1
	global_load_b128 v[72:75], v[72:73], off offset:128
	global_load_b128 v[76:79], v[76:77], off offset:128
	s_waitcnt vmcnt(1)
	ds_store_b128 v199, v[72:75]
	s_waitcnt vmcnt(0)
	ds_store_b128 v200, v[76:79]
	v_add_co_u32 v72, vcc_lo, s3, v115
	v_add_co_ci_u32_e32 v73, vcc_lo, s5, v116, vcc_lo
	s_delay_alu instid0(VALU_DEP_2) | instskip(NEXT) | instid1(VALU_DEP_2)
	v_add_co_u32 v72, vcc_lo, v72, v228
	v_add_co_ci_u32_e32 v73, vcc_lo, 0, v73, vcc_lo
	v_add_co_u32 v74, vcc_lo, s3, v117
	v_add_co_ci_u32_e32 v75, vcc_lo, s5, v118, vcc_lo
	s_delay_alu instid0(VALU_DEP_2) | instskip(NEXT) | instid1(VALU_DEP_2)
	v_add_co_u32 v76, vcc_lo, v74, v228
	v_add_co_ci_u32_e32 v77, vcc_lo, 0, v75, vcc_lo
	s_clause 0x1
	global_load_b128 v[72:75], v[72:73], off
	global_load_b128 v[76:79], v[76:77], off
	s_waitcnt vmcnt(1)
	ds_store_b128 v191, v[72:75]
	s_waitcnt vmcnt(0)
	ds_store_b128 v225, v[76:79]
	v_add_co_u32 v72, vcc_lo, s3, v119
	v_add_co_ci_u32_e32 v73, vcc_lo, s5, v120, vcc_lo
	s_delay_alu instid0(VALU_DEP_2) | instskip(NEXT) | instid1(VALU_DEP_2)
	v_add_co_u32 v72, vcc_lo, v72, v228
	v_add_co_ci_u32_e32 v73, vcc_lo, 0, v73, vcc_lo
	v_add_co_u32 v74, vcc_lo, s3, v121
	v_add_co_ci_u32_e32 v75, vcc_lo, s5, v122, vcc_lo
	s_mul_hi_i32 s5, s10, s4
	s_delay_alu instid0(VALU_DEP_2) | instskip(NEXT) | instid1(VALU_DEP_2)
	v_add_co_u32 v76, vcc_lo, v74, v228
	v_add_co_ci_u32_e32 v77, vcc_lo, 0, v75, vcc_lo
	s_clause 0x1
	global_load_b128 v[72:75], v[72:73], off
	global_load_b128 v[76:79], v[76:77], off
	s_waitcnt vmcnt(1)
	ds_store_b128 v226, v[72:75]
	s_waitcnt vmcnt(0)
	ds_store_b128 v241, v[76:79]
	s_waitcnt lgkmcnt(0)
	s_barrier
	buffer_gl0_inv
	ds_load_b128 v[72:75], v90
	ds_load_b128 v[76:79], v90 offset:16
	ds_load_b128 v[80:83], v90 offset:6656
	;; [unrolled: 1-line block ×3, first 2 shown]
	v_cmp_lt_i32_e32 vcc_lo, v98, v130
	s_mul_i32 s4, s10, s4
	s_delay_alu instid0(SALU_CYCLE_1) | instskip(NEXT) | instid1(SALU_CYCLE_1)
	s_lshl_b64 s[4:5], s[4:5], 2
	s_add_u32 s3, s95, s4
	s_addc_u32 s4, s96, s5
	v_cmp_eq_u32_e64 s5, 1, v188
	s_cmp_lg_u64 s[72:73], 0
	s_waitcnt lgkmcnt(2)
	v_wmma_f32_16x16x16_f16 v[143:150], v[72:79], v[32:39], v[135:142]
	s_waitcnt lgkmcnt(0)
	v_wmma_f32_16x16x16_f16 v[151:158], v[80:87], v[32:39], v[135:142]
	ds_load_b128 v[32:35], v90 offset:32
	ds_load_b128 v[36:39], v90 offset:48
	v_add_nc_u32_e32 v72, 0x800, v193
	s_waitcnt lgkmcnt(0)
	v_wmma_f32_16x16x16_f16 v[143:150], v[32:39], v[24:31], v[143:150]
	ds_load_b128 v[32:35], v90 offset:6688
	ds_load_b128 v[36:39], v90 offset:6704
	s_waitcnt lgkmcnt(0)
	v_wmma_f32_16x16x16_f16 v[151:158], v[32:39], v[24:31], v[151:158]
	ds_load_b128 v[24:27], v90 offset:64
	ds_load_b128 v[28:31], v90 offset:80
	;; [unrolled: 4-line block ×4, first 2 shown]
	v_add_nc_u32_e32 v40, 0x200, v193
	s_waitcnt lgkmcnt(0)
	v_wmma_f32_16x16x16_f16 v[143:150], v[24:31], v[48:55], v[143:150]
	ds_load_b128 v[24:27], v90 offset:6752
	ds_load_b128 v[28:31], v90 offset:6768
	s_waitcnt lgkmcnt(0)
	v_wmma_f32_16x16x16_f16 v[151:158], v[24:31], v[48:55], v[151:158]
	ds_load_b128 v[24:27], v90 offset:128
	ds_load_b128 v[28:31], v90 offset:144
	v_add_nc_u32_e32 v52, 0xa00, v193
	s_waitcnt lgkmcnt(0)
	v_wmma_f32_16x16x16_f16 v[143:150], v[24:31], v[56:63], v[143:150]
	ds_load_b128 v[24:27], v90 offset:6784
	ds_load_b128 v[28:31], v90 offset:6800
	s_waitcnt lgkmcnt(0)
	v_wmma_f32_16x16x16_f16 v[151:158], v[24:31], v[56:63], v[151:158]
	ds_load_b128 v[24:27], v90 offset:160
	ds_load_b128 v[28:31], v90 offset:176
	;; [unrolled: 4-line block ×3, first 2 shown]
	s_waitcnt lgkmcnt(0)
	s_barrier
	buffer_gl0_inv
	v_wmma_f32_16x16x16_f16 v[151:158], v[24:31], v[64:71], v[151:158]
	ds_load_u16 v24, v196 offset:13312
	ds_load_u16 v25, v196 offset:13316
	;; [unrolled: 1-line block ×16, first 2 shown]
	v_add_nc_u32_e32 v66, 0x400, v193
	s_waitcnt lgkmcnt(15)
	v_cvt_f32_f16_e32 v24, v24
	s_waitcnt lgkmcnt(14)
	v_cvt_f32_f16_e32 v25, v25
	;; [unrolled: 2-line block ×6, first 2 shown]
	v_cvt_f32_f16_e32 v30, v30
	v_dual_add_f32 v24, v143, v24 :: v_dual_add_f32 v25, v144, v25
	s_waitcnt lgkmcnt(1)
	v_cvt_f32_f16_e32 v38, v38
	v_add_f32_e32 v83, v152, v33
	v_cvt_f32_f16_e32 v28, v28
	v_cvt_f32_f16_e32 v29, v29
	v_dual_add_f32 v27, v146, v27 :: v_dual_add_f32 v30, v149, v30
	v_add_f32_e32 v33, 0x40051340, v25
	v_cvt_f32_f16_e32 v34, v34
	v_cvt_f32_f16_e32 v35, v35
	;; [unrolled: 1-line block ×3, first 2 shown]
	v_add_f32_e32 v26, v145, v26
	v_dual_add_f32 v82, v151, v32 :: v_dual_add_f32 v77, v157, v38
	v_add_f32_e32 v32, 0x40051340, v24
	v_cvt_f32_f16_e32 v31, v31
	v_dual_add_f32 v28, v147, v28 :: v_dual_add_f32 v81, v153, v34
	v_add_f32_e32 v29, v148, v29
	v_cvt_f32_f16_e32 v37, v37
	v_dual_add_f32 v79, v155, v36 :: v_dual_add_f32 v80, v154, v35
	v_max3_f32 v32, v97, v32, v33
	v_dual_add_f32 v33, 0x40051340, v26 :: v_dual_add_f32 v34, 0x40051340, v27
	v_add_f32_e32 v31, v150, v31
	s_waitcnt lgkmcnt(0)
	v_cvt_f32_f16_e32 v39, v39
	v_add_f32_e32 v78, v156, v37
	v_max3_f32 v32, v32, v33, v34
	v_dual_add_f32 v33, 0x40051340, v28 :: v_dual_add_f32 v34, 0x40051340, v29
	s_delay_alu instid0(VALU_DEP_4) | instskip(NEXT) | instid1(VALU_DEP_2)
	v_add_f32_e32 v76, v158, v39
	v_max3_f32 v32, v32, v33, v34
	v_dual_add_f32 v33, 0x40051340, v30 :: v_dual_add_f32 v34, 0x40051340, v31
	s_delay_alu instid0(VALU_DEP_1) | instskip(SKIP_1) | instid1(VALU_DEP_1)
	v_max3_f32 v32, v32, v33, v34
	v_dual_add_f32 v33, 0x40051340, v82 :: v_dual_add_f32 v34, 0x40051340, v83
	v_max3_f32 v32, v32, v33, v34
	v_dual_add_f32 v33, 0x40051340, v81 :: v_dual_add_f32 v34, 0x40051340, v80
	s_delay_alu instid0(VALU_DEP_1) | instskip(SKIP_1) | instid1(VALU_DEP_1)
	v_max3_f32 v32, v32, v33, v34
	v_dual_add_f32 v33, 0x40051340, v79 :: v_dual_add_f32 v34, 0x40051340, v78
	v_max3_f32 v32, v32, v33, v34
	v_dual_add_f32 v33, 0x40051340, v77 :: v_dual_add_f32 v34, 0x40051340, v76
	s_delay_alu instid0(VALU_DEP_1) | instskip(SKIP_1) | instid1(VALU_DEP_1)
	v_max3_f32 v32, v32, v33, v34
	v_cndmask_b32_e32 v33, v252, v98, vcc_lo
	v_lshlrev_b32_e32 v74, 2, v33
	ds_bpermute_b32 v33, v74, v32
	s_waitcnt lgkmcnt(0)
	v_max_f32_e32 v33, v33, v33
	s_delay_alu instid0(VALU_DEP_1) | instskip(NEXT) | instid1(VALU_DEP_1)
	v_max_f32_e32 v75, v32, v33
	v_sub_f32_e32 v32, v97, v75
	v_sub_f32_e32 v25, v25, v75
	;; [unrolled: 1-line block ×5, first 2 shown]
	v_mul_f32_e32 v33, 0x3fb8aa3b, v32
	v_cmp_ngt_f32_e32 vcc_lo, 0xc2ce8ed0, v32
	v_sub_f32_e32 v28, v28, v75
	v_cmp_ngt_f32_e64 s6, 0xc2ce8ed0, v26
	v_sub_f32_e32 v30, v30, v75
	v_fma_f32 v34, 0x3fb8aa3b, v32, -v33
	v_rndne_f32_e32 v35, v33
	s_delay_alu instid0(VALU_DEP_1) | instskip(NEXT) | instid1(VALU_DEP_1)
	v_dual_fmac_f32 v34, 0x32a5705f, v32 :: v_dual_sub_f32 v33, v33, v35
	v_add_f32_e32 v33, v33, v34
	v_cvt_i32_f32_e32 v34, v35
	s_delay_alu instid0(VALU_DEP_2) | instskip(SKIP_2) | instid1(VALU_DEP_1)
	v_exp_f32_e32 v33, v33
	s_waitcnt_depctr 0xfff
	v_ldexp_f32 v33, v33, v34
	v_cndmask_b32_e32 v33, 0, v33, vcc_lo
	v_cmp_nlt_f32_e32 vcc_lo, 0x42b17218, v32
	s_delay_alu instid0(VALU_DEP_2) | instskip(SKIP_1) | instid1(VALU_DEP_2)
	v_cndmask_b32_e32 v33, 0x7f800000, v33, vcc_lo
	v_cmp_le_f32_e32 vcc_lo, 0xc1a00000, v32
	v_cndmask_b32_e32 v84, 0, v33, vcc_lo
	s_delay_alu instid0(VALU_DEP_1) | instskip(NEXT) | instid1(VALU_DEP_1)
	v_cvt_f16_f32_e32 v32, v84
	v_pk_mul_f16 v0, v32, v0 op_sel_hi:[0,1]
	v_pk_mul_f16 v1, v32, v1 op_sel_hi:[0,1]
	v_pk_mul_f16 v2, v32, v2 op_sel_hi:[0,1]
	v_pk_mul_f16 v3, v32, v3 op_sel_hi:[0,1]
	v_pk_mul_f16 v4, v32, v4 op_sel_hi:[0,1]
	v_pk_mul_f16 v5, v32, v5 op_sel_hi:[0,1]
	v_pk_mul_f16 v6, v32, v6 op_sel_hi:[0,1]
	v_pk_mul_f16 v7, v32, v7 op_sel_hi:[0,1]
	v_pk_mul_f16 v16, v32, v16 op_sel_hi:[0,1]
	v_pk_mul_f16 v17, v32, v17 op_sel_hi:[0,1]
	v_pk_mul_f16 v18, v32, v18 op_sel_hi:[0,1]
	v_pk_mul_f16 v19, v32, v19 op_sel_hi:[0,1]
	v_pk_mul_f16 v20, v32, v20 op_sel_hi:[0,1]
	v_pk_mul_f16 v21, v32, v21 op_sel_hi:[0,1]
	v_pk_mul_f16 v22, v32, v22 op_sel_hi:[0,1]
	v_pk_mul_f16 v23, v32, v23 op_sel_hi:[0,1]
	v_pk_mul_f16 v8, v32, v8 op_sel_hi:[0,1]
	v_pk_mul_f16 v9, v32, v9 op_sel_hi:[0,1]
	v_pk_mul_f16 v10, v32, v10 op_sel_hi:[0,1]
	v_pk_mul_f16 v11, v32, v11 op_sel_hi:[0,1]
	v_pk_mul_f16 v12, v32, v12 op_sel_hi:[0,1]
	v_pk_mul_f16 v13, v32, v13 op_sel_hi:[0,1]
	v_pk_mul_f16 v14, v32, v14 op_sel_hi:[0,1]
	v_pk_mul_f16 v15, v32, v15 op_sel_hi:[0,1]
	v_add_co_u32 v32, vcc_lo, s3, v99
	v_add_co_ci_u32_e32 v33, vcc_lo, s4, v100, vcc_lo
	s_delay_alu instid0(VALU_DEP_2) | instskip(NEXT) | instid1(VALU_DEP_2)
	v_add_co_u32 v32, vcc_lo, v32, v227
	v_add_co_ci_u32_e32 v33, vcc_lo, 0, v33, vcc_lo
	v_add_co_u32 v34, vcc_lo, s3, v101
	v_add_co_ci_u32_e32 v35, vcc_lo, s4, v102, vcc_lo
	s_delay_alu instid0(VALU_DEP_2) | instskip(NEXT) | instid1(VALU_DEP_2)
	v_add_co_u32 v36, vcc_lo, v34, v227
	v_add_co_ci_u32_e32 v37, vcc_lo, 0, v35, vcc_lo
	s_clause 0x1
	global_load_b128 v[32:35], v[32:33], off offset:128
	global_load_b128 v[36:39], v[36:37], off offset:128
	s_waitcnt vmcnt(1)
	ds_store_b128 v199, v[32:35]
	s_waitcnt vmcnt(0)
	ds_store_b128 v200, v[36:39]
	v_add_co_u32 v32, vcc_lo, s3, v105
	v_add_co_ci_u32_e32 v33, vcc_lo, s4, v106, vcc_lo
	s_delay_alu instid0(VALU_DEP_2) | instskip(NEXT) | instid1(VALU_DEP_2)
	v_add_co_u32 v32, vcc_lo, v32, v228
	v_add_co_ci_u32_e32 v33, vcc_lo, 0, v33, vcc_lo
	v_add_co_u32 v34, vcc_lo, s3, v107
	v_add_co_ci_u32_e32 v35, vcc_lo, s4, v108, vcc_lo
	s_delay_alu instid0(VALU_DEP_2) | instskip(NEXT) | instid1(VALU_DEP_2)
	v_add_co_u32 v36, vcc_lo, v34, v228
	v_add_co_ci_u32_e32 v37, vcc_lo, 0, v35, vcc_lo
	s_clause 0x1
	global_load_b128 v[32:35], v[32:33], off
	global_load_b128 v[36:39], v[36:37], off
	s_waitcnt vmcnt(1)
	ds_store_b128 v191, v[32:35]
	s_waitcnt vmcnt(0)
	ds_store_b128 v225, v[36:39]
	v_add_co_u32 v32, vcc_lo, s3, v109
	v_add_co_ci_u32_e32 v33, vcc_lo, s4, v110, vcc_lo
	s_delay_alu instid0(VALU_DEP_2) | instskip(NEXT) | instid1(VALU_DEP_2)
	v_add_co_u32 v32, vcc_lo, v32, v228
	v_add_co_ci_u32_e32 v33, vcc_lo, 0, v33, vcc_lo
	v_add_co_u32 v34, vcc_lo, s3, v111
	v_add_co_ci_u32_e32 v35, vcc_lo, s4, v112, vcc_lo
	v_cmp_eq_u32_e64 s4, 0, v188
	s_delay_alu instid0(VALU_DEP_3) | instskip(NEXT) | instid1(VALU_DEP_3)
	v_add_co_u32 v36, vcc_lo, v34, v228
	v_add_co_ci_u32_e32 v37, vcc_lo, 0, v35, vcc_lo
	s_clause 0x1
	global_load_b128 v[32:35], v[32:33], off
	global_load_b128 v[36:39], v[36:37], off
	s_waitcnt vmcnt(1)
	ds_store_b128 v226, v[32:35]
	s_waitcnt vmcnt(0)
	ds_store_b128 v241, v[36:39]
	v_mul_f32_e32 v32, 0x3fb8aa3b, v25
	v_cmp_ngt_f32_e32 vcc_lo, 0xc2ce8ed0, v25
	s_waitcnt lgkmcnt(0)
	s_barrier
	buffer_gl0_inv
	v_fma_f32 v33, 0x3fb8aa3b, v25, -v32
	v_rndne_f32_e32 v34, v32
	s_delay_alu instid0(VALU_DEP_1) | instskip(SKIP_1) | instid1(VALU_DEP_2)
	v_dual_fmac_f32 v33, 0x32a5705f, v25 :: v_dual_sub_f32 v32, v32, v34
	v_cvt_i32_f32_e32 v34, v34
	v_dual_add_f32 v32, v32, v33 :: v_dual_mul_f32 v33, 0x3fb8aa3b, v24
	s_delay_alu instid0(VALU_DEP_1) | instskip(SKIP_1) | instid1(VALU_DEP_1)
	v_fma_f32 v35, 0x3fb8aa3b, v24, -v33
	v_rndne_f32_e32 v36, v33
	v_sub_f32_e32 v33, v33, v36
	s_delay_alu instid0(VALU_DEP_3)
	v_fmac_f32_e32 v35, 0x32a5705f, v24
	v_exp_f32_e32 v32, v32
	v_cmp_ngt_f32_e64 s3, 0xc2ce8ed0, v24
	s_waitcnt_depctr 0xfff
	v_ldexp_f32 v32, v32, v34
	v_cvt_i32_f32_e32 v34, v36
	s_delay_alu instid0(VALU_DEP_2) | instskip(SKIP_1) | instid1(VALU_DEP_2)
	v_cndmask_b32_e32 v32, 0, v32, vcc_lo
	v_cmp_nlt_f32_e32 vcc_lo, 0x42b17218, v25
	v_dual_add_f32 v33, v33, v35 :: v_dual_cndmask_b32 v86, 0x7f800000, v32
	s_delay_alu instid0(VALU_DEP_1)
	v_exp_f32_e32 v33, v33
	v_cmp_eq_u32_e32 vcc_lo, 1, v224
	v_sub_f32_e32 v29, v29, v75
	v_sub_f32_e32 v31, v31, v75
	ds_bpermute_b32 v32, v74, v86
	v_add_nc_u32_e32 v129, 0x300, v243
	v_ldexp_f32 v33, v33, v34
	s_delay_alu instid0(VALU_DEP_1) | instskip(SKIP_1) | instid1(VALU_DEP_1)
	v_cndmask_b32_e64 v25, 0, v33, s3
	v_cmp_nlt_f32_e64 s3, 0x42b17218, v24
	v_cndmask_b32_e64 v85, 0x7f800000, v25, s3
	v_cmp_eq_u32_e64 s3, 0, v224
	ds_bpermute_b32 v24, v74, v85
	s_waitcnt lgkmcnt(0)
	v_cndmask_b32_e32 v25, v85, v24, vcc_lo
	v_cndmask_b32_e64 v24, v85, v24, s3
	s_delay_alu instid0(VALU_DEP_2) | instskip(NEXT) | instid1(VALU_DEP_2)
	v_cndmask_b32_e64 v34, v25, v86, s5
	v_cndmask_b32_e64 v33, v24, v86, s4
	v_cvt_f16_f32_e32 v24, v24
	v_cvt_f16_f32_e32 v25, v25
	s_delay_alu instid0(VALU_DEP_3) | instskip(SKIP_1) | instid1(VALU_DEP_3)
	v_cndmask_b32_e64 v33, v33, v32, s3
	v_cndmask_b32_e32 v32, v34, v32, vcc_lo
	v_pack_b32_f16 v24, v24, v25
	s_delay_alu instid0(VALU_DEP_3) | instskip(NEXT) | instid1(VALU_DEP_3)
	v_cvt_f16_f32_e32 v34, v33
	v_cvt_f16_f32_e32 v35, v32
	s_delay_alu instid0(VALU_DEP_1) | instskip(SKIP_1) | instid1(VALU_DEP_1)
	v_pack_b32_f16 v25, v34, v35
	v_mul_f32_e32 v34, 0x3fb8aa3b, v26
	v_fma_f32 v35, 0x3fb8aa3b, v26, -v34
	v_rndne_f32_e32 v36, v34
	s_delay_alu instid0(VALU_DEP_1) | instskip(NEXT) | instid1(VALU_DEP_1)
	v_dual_fmac_f32 v35, 0x32a5705f, v26 :: v_dual_sub_f32 v34, v34, v36
	v_add_f32_e32 v34, v34, v35
	v_cvt_i32_f32_e32 v35, v36
	s_delay_alu instid0(VALU_DEP_2) | instskip(SKIP_2) | instid1(VALU_DEP_1)
	v_exp_f32_e32 v34, v34
	s_waitcnt_depctr 0xfff
	v_ldexp_f32 v34, v34, v35
	v_cndmask_b32_e64 v34, 0, v34, s6
	v_cmp_nlt_f32_e64 s6, 0x42b17218, v26
	s_delay_alu instid0(VALU_DEP_1) | instskip(SKIP_1) | instid1(VALU_DEP_2)
	v_cndmask_b32_e64 v87, 0x7f800000, v34, s6
	v_cmp_ngt_f32_e64 s6, 0xc2ce8ed0, v27
	v_cndmask_b32_e64 v26, v33, v87, s4
	ds_bpermute_b32 v33, v74, v87
	v_cndmask_b32_e64 v32, v32, v87, s5
	s_waitcnt lgkmcnt(0)
	v_cndmask_b32_e64 v34, v26, v33, s3
	s_delay_alu instid0(VALU_DEP_2) | instskip(NEXT) | instid1(VALU_DEP_2)
	v_cndmask_b32_e32 v32, v32, v33, vcc_lo
	v_cvt_f16_f32_e32 v26, v34
	s_delay_alu instid0(VALU_DEP_2) | instskip(NEXT) | instid1(VALU_DEP_1)
	v_cvt_f16_f32_e32 v33, v32
	v_pack_b32_f16 v26, v26, v33
	v_mul_f32_e32 v33, 0x3fb8aa3b, v27
	s_delay_alu instid0(VALU_DEP_1) | instskip(SKIP_1) | instid1(VALU_DEP_2)
	v_fma_f32 v35, 0x3fb8aa3b, v27, -v33
	v_rndne_f32_e32 v36, v33
	v_fmac_f32_e32 v35, 0x32a5705f, v27
	s_delay_alu instid0(VALU_DEP_2) | instskip(NEXT) | instid1(VALU_DEP_1)
	v_sub_f32_e32 v33, v33, v36
	v_add_f32_e32 v33, v33, v35
	v_cvt_i32_f32_e32 v35, v36
	s_delay_alu instid0(VALU_DEP_2) | instskip(SKIP_2) | instid1(VALU_DEP_1)
	v_exp_f32_e32 v33, v33
	s_waitcnt_depctr 0xfff
	v_ldexp_f32 v33, v33, v35
	v_cndmask_b32_e64 v33, 0, v33, s6
	v_cmp_nlt_f32_e64 s6, 0x42b17218, v27
	s_delay_alu instid0(VALU_DEP_1) | instskip(SKIP_4) | instid1(VALU_DEP_2)
	v_cndmask_b32_e64 v90, 0x7f800000, v33, s6
	ds_bpermute_b32 v33, v74, v90
	v_cndmask_b32_e64 v27, v34, v90, s4
	v_cndmask_b32_e64 v32, v32, v90, s5
	s_waitcnt lgkmcnt(0)
	v_cndmask_b32_e64 v34, v27, v33, s3
	s_delay_alu instid0(VALU_DEP_2) | instskip(NEXT) | instid1(VALU_DEP_2)
	v_cndmask_b32_e32 v32, v32, v33, vcc_lo
	v_cvt_f16_f32_e32 v27, v34
	s_delay_alu instid0(VALU_DEP_2) | instskip(NEXT) | instid1(VALU_DEP_1)
	v_cvt_f16_f32_e32 v33, v32
	v_pack_b32_f16 v27, v27, v33
	v_mul_f32_e32 v33, 0x3fb8aa3b, v28
	s_delay_alu instid0(VALU_DEP_1) | instskip(SKIP_1) | instid1(VALU_DEP_1)
	v_fma_f32 v35, 0x3fb8aa3b, v28, -v33
	v_rndne_f32_e32 v36, v33
	v_sub_f32_e32 v33, v33, v36
	s_delay_alu instid0(VALU_DEP_3) | instskip(SKIP_1) | instid1(VALU_DEP_2)
	v_fmac_f32_e32 v35, 0x32a5705f, v28
	v_cmp_ngt_f32_e64 s6, 0xc2ce8ed0, v28
	v_add_f32_e32 v33, v33, v35
	v_cvt_i32_f32_e32 v35, v36
	s_delay_alu instid0(VALU_DEP_2) | instskip(SKIP_2) | instid1(VALU_DEP_1)
	v_exp_f32_e32 v33, v33
	s_waitcnt_depctr 0xfff
	v_ldexp_f32 v33, v33, v35
	v_cndmask_b32_e64 v33, 0, v33, s6
	v_cmp_nlt_f32_e64 s6, 0x42b17218, v28
	s_delay_alu instid0(VALU_DEP_1)
	v_cndmask_b32_e64 v91, 0x7f800000, v33, s6
	v_cmp_ngt_f32_e64 s6, 0xc2ce8ed0, v29
	ds_bpermute_b32 v33, v74, v91
	v_cndmask_b32_e64 v28, v34, v91, s4
	v_cndmask_b32_e64 v32, v32, v91, s5
	s_waitcnt lgkmcnt(0)
	s_delay_alu instid0(VALU_DEP_2) | instskip(NEXT) | instid1(VALU_DEP_2)
	v_cndmask_b32_e64 v34, v28, v33, s3
	v_cndmask_b32_e32 v32, v32, v33, vcc_lo
	s_delay_alu instid0(VALU_DEP_2) | instskip(NEXT) | instid1(VALU_DEP_2)
	v_cvt_f16_f32_e32 v28, v34
	v_cvt_f16_f32_e32 v33, v32
	s_delay_alu instid0(VALU_DEP_1) | instskip(SKIP_1) | instid1(VALU_DEP_1)
	v_pack_b32_f16 v28, v28, v33
	v_mul_f32_e32 v33, 0x3fb8aa3b, v29
	v_fma_f32 v35, 0x3fb8aa3b, v29, -v33
	v_rndne_f32_e32 v36, v33
	s_delay_alu instid0(VALU_DEP_2) | instskip(NEXT) | instid1(VALU_DEP_2)
	v_fmac_f32_e32 v35, 0x32a5705f, v29
	v_sub_f32_e32 v33, v33, v36
	s_delay_alu instid0(VALU_DEP_1) | instskip(SKIP_1) | instid1(VALU_DEP_2)
	v_add_f32_e32 v33, v33, v35
	v_cvt_i32_f32_e32 v35, v36
	v_exp_f32_e32 v33, v33
	s_waitcnt_depctr 0xfff
	v_ldexp_f32 v33, v33, v35
	s_delay_alu instid0(VALU_DEP_1) | instskip(SKIP_1) | instid1(VALU_DEP_1)
	v_cndmask_b32_e64 v33, 0, v33, s6
	v_cmp_nlt_f32_e64 s6, 0x42b17218, v29
	v_cndmask_b32_e64 v92, 0x7f800000, v33, s6
	v_cmp_ngt_f32_e64 s6, 0xc2ce8ed0, v30
	ds_bpermute_b32 v33, v74, v92
	v_cndmask_b32_e64 v29, v34, v92, s4
	v_cndmask_b32_e64 v32, v32, v92, s5
	s_waitcnt lgkmcnt(0)
	s_delay_alu instid0(VALU_DEP_2) | instskip(NEXT) | instid1(VALU_DEP_2)
	v_cndmask_b32_e64 v34, v29, v33, s3
	v_cndmask_b32_e32 v32, v32, v33, vcc_lo
	s_delay_alu instid0(VALU_DEP_2) | instskip(NEXT) | instid1(VALU_DEP_2)
	v_cvt_f16_f32_e32 v29, v34
	v_cvt_f16_f32_e32 v33, v32
	s_delay_alu instid0(VALU_DEP_1) | instskip(SKIP_1) | instid1(VALU_DEP_1)
	v_pack_b32_f16 v29, v29, v33
	v_mul_f32_e32 v33, 0x3fb8aa3b, v30
	v_fma_f32 v35, 0x3fb8aa3b, v30, -v33
	v_rndne_f32_e32 v36, v33
	s_delay_alu instid0(VALU_DEP_2) | instskip(NEXT) | instid1(VALU_DEP_2)
	v_fmac_f32_e32 v35, 0x32a5705f, v30
	v_sub_f32_e32 v33, v33, v36
	s_delay_alu instid0(VALU_DEP_1) | instskip(SKIP_1) | instid1(VALU_DEP_2)
	v_add_f32_e32 v33, v33, v35
	v_cvt_i32_f32_e32 v35, v36
	v_exp_f32_e32 v33, v33
	s_waitcnt_depctr 0xfff
	v_ldexp_f32 v33, v33, v35
	s_delay_alu instid0(VALU_DEP_1) | instskip(SKIP_1) | instid1(VALU_DEP_1)
	v_cndmask_b32_e64 v33, 0, v33, s6
	v_cmp_nlt_f32_e64 s6, 0x42b17218, v30
	;; [unrolled: 29-line block ×3, first 2 shown]
	v_cndmask_b32_e64 v94, 0x7f800000, v33, s6
	ds_bpermute_b32 v33, v74, v94
	v_cndmask_b32_e64 v31, v34, v94, s4
	v_cndmask_b32_e64 v32, v32, v94, s5
	s_waitcnt lgkmcnt(0)
	s_delay_alu instid0(VALU_DEP_2) | instskip(NEXT) | instid1(VALU_DEP_2)
	v_cndmask_b32_e64 v31, v31, v33, s3
	v_cndmask_b32_e32 v32, v32, v33, vcc_lo
	s_delay_alu instid0(VALU_DEP_2) | instskip(NEXT) | instid1(VALU_DEP_2)
	v_cvt_f16_f32_e32 v31, v31
	v_cvt_f16_f32_e32 v32, v32
	s_delay_alu instid0(VALU_DEP_1)
	v_pack_b32_f16 v31, v31, v32
	ds_load_2addr_b32 v[36:37], v193 offset1:16
	ds_load_2addr_b32 v[32:33], v193 offset0:32 offset1:52
	ds_load_2addr_b32 v[38:39], v193 offset0:104 offset1:120
	;; [unrolled: 1-line block ×12, first 2 shown]
	s_waitcnt lgkmcnt(11)
	v_perm_b32 v58, v33, v36, 0x5040100
	s_waitcnt lgkmcnt(9)
	v_perm_b32 v59, v35, v38, 0x5040100
	s_waitcnt lgkmcnt(8)
	v_perm_b32 v60, v45, v44, 0x5040100
	s_waitcnt lgkmcnt(6)
	v_perm_b32 v61, v41, v42, 0x5040100
	s_waitcnt lgkmcnt(5)
	v_perm_b32 v62, v49, v48, 0x5040100
	s_waitcnt lgkmcnt(3)
	v_perm_b32 v63, v47, v50, 0x5040100
	s_waitcnt lgkmcnt(2)
	v_perm_b32 v64, v55, v54, 0x5040100
	s_waitcnt lgkmcnt(0)
	v_perm_b32 v65, v53, v56, 0x5040100
	s_delay_alu instid0(VALU_DEP_1)
	v_wmma_f16_16x16x16_f16 v[0:7], v[58:65], v[24:31], v[0:7]
	v_add_nc_u32_e32 v62, 0x300, v223
	ds_load_2addr_b32 v[58:59], v193 offset0:68 offset1:84
	ds_load_2addr_b32 v[60:61], v193 offset0:172 offset1:188
	;; [unrolled: 1-line block ×7, first 2 shown]
	ds_load_b32 v95, v223 offset:2496
	ds_load_2addr_b32 v[72:73], v72 offset0:180 offset1:196
	ds_load_b32 v98, v223 offset:9776
	ds_load_b32 v134, v222 offset:2496
	ds_load_2addr_b32 v[96:97], v96 offset0:28 offset1:44
	ds_load_2addr_b32 v[129:130], v129 offset0:16 offset1:224
	ds_load_b32 v143, v243 offset:2496
	ds_load_b32 v144, v243 offset:9776
	;; [unrolled: 1-line block ×3, first 2 shown]
	s_waitcnt lgkmcnt(15)
	v_perm_b32 v135, v58, v37, 0x5040100
	s_waitcnt lgkmcnt(14)
	v_perm_b32 v136, v60, v39, 0x5040100
	;; [unrolled: 2-line block ×8, first 2 shown]
	s_delay_alu instid0(VALU_DEP_1)
	v_wmma_f16_16x16x16_f16 v[16:23], v[135:142], v[24:31], v[16:23]
	v_perm_b32 v135, v59, v32, 0x5040100
	v_perm_b32 v136, v61, v34, 0x5040100
	s_waitcnt lgkmcnt(3)
	v_perm_b32 v137, v63, v129, 0x5040100
	v_perm_b32 v138, v65, v40, 0x5040100
	;; [unrolled: 1-line block ×4, first 2 shown]
	s_waitcnt lgkmcnt(2)
	v_perm_b32 v141, v73, v143, 0x5040100
	v_perm_b32 v142, v97, v52, 0x5040100
	;; [unrolled: 1-line block ×3, first 2 shown]
	s_delay_alu instid0(VALU_DEP_2)
	v_wmma_f16_16x16x16_f16 v[8:15], v[135:142], v[24:31], v[8:15]
	v_perm_b32 v137, v45, v44, 0x7060302
	v_perm_b32 v139, v49, v48, 0x7060302
	;; [unrolled: 1-line block ×12, first 2 shown]
	v_wmma_f16_16x16x16_f16 v[0:7], v[135:142], v[24:31], v[0:7] op_sel:[0,0,1]
	v_perm_b32 v135, v58, v37, 0x7060302
	v_perm_b32 v136, v60, v39, 0x7060302
	;; [unrolled: 1-line block ×11, first 2 shown]
	s_delay_alu instid0(VALU_DEP_4) | instskip(NEXT) | instid1(VALU_DEP_2)
	v_wmma_f16_16x16x16_f16 v[16:23], v[135:142], v[24:31], v[16:23] op_sel:[0,0,1]
	v_wmma_f16_16x16x16_f16 v[8:15], v[32:39], v[24:31], v[8:15] op_sel:[0,0,1]
	v_dual_sub_f32 v24, v83, v75 :: v_dual_add_nc_u32 v37, 0x2000, v193
	v_add_nc_u32_e32 v38, 0x2400, v193
	s_delay_alu instid0(VALU_DEP_2) | instskip(SKIP_1) | instid1(VALU_DEP_2)
	v_mul_f32_e32 v25, 0x3fb8aa3b, v24
	v_cmp_ngt_f32_e64 s6, 0xc2ce8ed0, v24
	v_fma_f32 v26, 0x3fb8aa3b, v24, -v25
	v_rndne_f32_e32 v27, v25
	s_delay_alu instid0(VALU_DEP_1) | instskip(SKIP_1) | instid1(VALU_DEP_2)
	v_dual_fmac_f32 v26, 0x32a5705f, v24 :: v_dual_sub_f32 v25, v25, v27
	v_cvt_i32_f32_e32 v27, v27
	v_dual_add_f32 v25, v25, v26 :: v_dual_sub_f32 v26, v82, v75
	s_delay_alu instid0(VALU_DEP_1) | instskip(NEXT) | instid1(VALU_DEP_1)
	v_exp_f32_e32 v25, v25
	v_mul_f32_e32 v28, 0x3fb8aa3b, v26
	v_cmp_ngt_f32_e64 s7, 0xc2ce8ed0, v26
	s_delay_alu instid0(VALU_DEP_2)
	v_fma_f32 v29, 0x3fb8aa3b, v26, -v28
	v_rndne_f32_e32 v30, v28
	s_waitcnt_depctr 0xfff
	v_ldexp_f32 v25, v25, v27
	v_fmac_f32_e32 v29, 0x32a5705f, v26
	v_sub_f32_e32 v28, v28, v30
	s_delay_alu instid0(VALU_DEP_3) | instskip(SKIP_1) | instid1(VALU_DEP_3)
	v_cndmask_b32_e64 v25, 0, v25, s6
	v_cmp_nlt_f32_e64 s6, 0x42b17218, v24
	v_add_f32_e32 v28, v28, v29
	s_delay_alu instid0(VALU_DEP_2) | instskip(NEXT) | instid1(VALU_DEP_2)
	v_cndmask_b32_e64 v55, 0x7f800000, v25, s6
	v_exp_f32_e32 v27, v28
	v_cvt_i32_f32_e32 v28, v30
	s_waitcnt_depctr 0xfff
	v_ldexp_f32 v27, v27, v28
	s_delay_alu instid0(VALU_DEP_1)
	v_cndmask_b32_e64 v24, 0, v27, s7
	v_cmp_nlt_f32_e64 s7, 0x42b17218, v26
	ds_bpermute_b32 v26, v74, v55
	v_cndmask_b32_e64 v54, 0x7f800000, v24, s7
	ds_bpermute_b32 v24, v74, v54
	s_waitcnt lgkmcnt(0)
	v_cndmask_b32_e32 v25, v54, v24, vcc_lo
	v_cndmask_b32_e64 v24, v54, v24, s3
	s_delay_alu instid0(VALU_DEP_2) | instskip(NEXT) | instid1(VALU_DEP_2)
	v_cndmask_b32_e64 v28, v25, v55, s5
	v_cndmask_b32_e64 v27, v24, v55, s4
	v_cvt_f16_f32_e32 v24, v24
	v_cvt_f16_f32_e32 v25, v25
	s_delay_alu instid0(VALU_DEP_3) | instskip(SKIP_1) | instid1(VALU_DEP_3)
	v_cndmask_b32_e64 v27, v27, v26, s3
	v_cndmask_b32_e32 v26, v28, v26, vcc_lo
	v_pack_b32_f16 v24, v24, v25
	s_delay_alu instid0(VALU_DEP_3) | instskip(NEXT) | instid1(VALU_DEP_3)
	v_cvt_f16_f32_e32 v28, v27
	v_cvt_f16_f32_e32 v29, v26
	s_delay_alu instid0(VALU_DEP_1) | instskip(SKIP_1) | instid1(VALU_DEP_1)
	v_pack_b32_f16 v25, v28, v29
	v_sub_f32_e32 v28, v81, v75
	v_mul_f32_e32 v29, 0x3fb8aa3b, v28
	v_cmp_ngt_f32_e64 s6, 0xc2ce8ed0, v28
	s_delay_alu instid0(VALU_DEP_2) | instskip(SKIP_1) | instid1(VALU_DEP_1)
	v_fma_f32 v30, 0x3fb8aa3b, v28, -v29
	v_rndne_f32_e32 v31, v29
	v_dual_fmac_f32 v30, 0x32a5705f, v28 :: v_dual_sub_f32 v29, v29, v31
	s_delay_alu instid0(VALU_DEP_1) | instskip(SKIP_1) | instid1(VALU_DEP_2)
	v_add_f32_e32 v29, v29, v30
	v_cvt_i32_f32_e32 v30, v31
	v_exp_f32_e32 v29, v29
	s_waitcnt_depctr 0xfff
	v_ldexp_f32 v29, v29, v30
	s_delay_alu instid0(VALU_DEP_1) | instskip(SKIP_1) | instid1(VALU_DEP_1)
	v_cndmask_b32_e64 v29, 0, v29, s6
	v_cmp_nlt_f32_e64 s6, 0x42b17218, v28
	v_cndmask_b32_e64 v56, 0x7f800000, v29, s6
	ds_bpermute_b32 v28, v74, v56
	v_cndmask_b32_e64 v27, v27, v56, s4
	v_cndmask_b32_e64 v26, v26, v56, s5
	s_waitcnt lgkmcnt(0)
	s_delay_alu instid0(VALU_DEP_2) | instskip(NEXT) | instid1(VALU_DEP_2)
	v_cndmask_b32_e64 v27, v27, v28, s3
	v_cndmask_b32_e32 v28, v26, v28, vcc_lo
	s_delay_alu instid0(VALU_DEP_2) | instskip(NEXT) | instid1(VALU_DEP_2)
	v_cvt_f16_f32_e32 v26, v27
	v_cvt_f16_f32_e32 v29, v28
	s_delay_alu instid0(VALU_DEP_1) | instskip(SKIP_1) | instid1(VALU_DEP_1)
	v_pack_b32_f16 v26, v26, v29
	v_sub_f32_e32 v29, v80, v75
	v_mul_f32_e32 v30, 0x3fb8aa3b, v29
	v_cmp_ngt_f32_e64 s6, 0xc2ce8ed0, v29
	s_delay_alu instid0(VALU_DEP_2) | instskip(SKIP_1) | instid1(VALU_DEP_1)
	v_fma_f32 v31, 0x3fb8aa3b, v29, -v30
	v_rndne_f32_e32 v32, v30
	v_dual_fmac_f32 v31, 0x32a5705f, v29 :: v_dual_sub_f32 v30, v30, v32
	s_delay_alu instid0(VALU_DEP_1) | instskip(SKIP_1) | instid1(VALU_DEP_2)
	v_add_f32_e32 v30, v30, v31
	v_cvt_i32_f32_e32 v31, v32
	v_exp_f32_e32 v30, v30
	s_waitcnt_depctr 0xfff
	v_ldexp_f32 v30, v30, v31
	s_delay_alu instid0(VALU_DEP_1) | instskip(SKIP_1) | instid1(VALU_DEP_1)
	v_cndmask_b32_e64 v30, 0, v30, s6
	v_cmp_nlt_f32_e64 s6, 0x42b17218, v29
	v_cndmask_b32_e64 v57, 0x7f800000, v30, s6
	ds_bpermute_b32 v29, v74, v57
	v_cndmask_b32_e64 v27, v27, v57, s4
	v_cndmask_b32_e64 v28, v28, v57, s5
	s_waitcnt lgkmcnt(0)
	s_delay_alu instid0(VALU_DEP_2) | instskip(NEXT) | instid1(VALU_DEP_2)
	v_cndmask_b32_e64 v30, v27, v29, s3
	v_cndmask_b32_e32 v28, v28, v29, vcc_lo
	s_delay_alu instid0(VALU_DEP_2) | instskip(NEXT) | instid1(VALU_DEP_2)
	v_cvt_f16_f32_e32 v27, v30
	v_cvt_f16_f32_e32 v29, v28
	s_delay_alu instid0(VALU_DEP_1) | instskip(SKIP_1) | instid1(VALU_DEP_1)
	v_pack_b32_f16 v27, v27, v29
	v_sub_f32_e32 v29, v79, v75
	v_mul_f32_e32 v31, 0x3fb8aa3b, v29
	v_cmp_ngt_f32_e64 s6, 0xc2ce8ed0, v29
	s_delay_alu instid0(VALU_DEP_2) | instskip(SKIP_1) | instid1(VALU_DEP_2)
	v_fma_f32 v32, 0x3fb8aa3b, v29, -v31
	v_rndne_f32_e32 v33, v31
	v_fmac_f32_e32 v32, 0x32a5705f, v29
	s_delay_alu instid0(VALU_DEP_2) | instskip(NEXT) | instid1(VALU_DEP_1)
	v_sub_f32_e32 v31, v31, v33
	v_add_f32_e32 v31, v31, v32
	v_cvt_i32_f32_e32 v32, v33
	s_delay_alu instid0(VALU_DEP_2) | instskip(SKIP_2) | instid1(VALU_DEP_1)
	v_exp_f32_e32 v31, v31
	s_waitcnt_depctr 0xfff
	v_ldexp_f32 v31, v31, v32
	v_cndmask_b32_e64 v31, 0, v31, s6
	v_cmp_nlt_f32_e64 s6, 0x42b17218, v29
	s_delay_alu instid0(VALU_DEP_1) | instskip(NEXT) | instid1(VALU_DEP_1)
	v_cndmask_b32_e64 v58, 0x7f800000, v31, s6
	v_cndmask_b32_e64 v29, v30, v58, s4
	ds_bpermute_b32 v30, v74, v58
	v_cndmask_b32_e64 v28, v28, v58, s5
	s_waitcnt lgkmcnt(0)
	v_cndmask_b32_e64 v29, v29, v30, s3
	s_delay_alu instid0(VALU_DEP_2) | instskip(NEXT) | instid1(VALU_DEP_2)
	v_cndmask_b32_e32 v30, v28, v30, vcc_lo
	v_cvt_f16_f32_e32 v28, v29
	s_delay_alu instid0(VALU_DEP_2) | instskip(NEXT) | instid1(VALU_DEP_1)
	v_cvt_f16_f32_e32 v31, v30
	v_pack_b32_f16 v28, v28, v31
	v_sub_f32_e32 v31, v78, v75
	s_delay_alu instid0(VALU_DEP_1) | instskip(SKIP_1) | instid1(VALU_DEP_2)
	v_mul_f32_e32 v32, 0x3fb8aa3b, v31
	v_cmp_ngt_f32_e64 s6, 0xc2ce8ed0, v31
	v_fma_f32 v33, 0x3fb8aa3b, v31, -v32
	v_rndne_f32_e32 v34, v32
	s_delay_alu instid0(VALU_DEP_1) | instskip(NEXT) | instid1(VALU_DEP_1)
	v_dual_fmac_f32 v33, 0x32a5705f, v31 :: v_dual_sub_f32 v32, v32, v34
	v_add_f32_e32 v32, v32, v33
	v_cvt_i32_f32_e32 v33, v34
	s_delay_alu instid0(VALU_DEP_2) | instskip(SKIP_2) | instid1(VALU_DEP_1)
	v_exp_f32_e32 v32, v32
	s_waitcnt_depctr 0xfff
	v_ldexp_f32 v32, v32, v33
	v_cndmask_b32_e64 v32, 0, v32, s6
	v_cmp_nlt_f32_e64 s6, 0x42b17218, v31
	s_delay_alu instid0(VALU_DEP_1) | instskip(SKIP_4) | instid1(VALU_DEP_2)
	v_cndmask_b32_e64 v59, 0x7f800000, v32, s6
	ds_bpermute_b32 v31, v74, v59
	v_cndmask_b32_e64 v29, v29, v59, s4
	v_cndmask_b32_e64 v30, v30, v59, s5
	s_waitcnt lgkmcnt(0)
	v_cndmask_b32_e64 v32, v29, v31, s3
	s_delay_alu instid0(VALU_DEP_2) | instskip(NEXT) | instid1(VALU_DEP_2)
	v_cndmask_b32_e32 v30, v30, v31, vcc_lo
	v_cvt_f16_f32_e32 v29, v32
	s_delay_alu instid0(VALU_DEP_2) | instskip(NEXT) | instid1(VALU_DEP_1)
	v_cvt_f16_f32_e32 v31, v30
	v_pack_b32_f16 v29, v29, v31
	v_sub_f32_e32 v31, v77, v75
	s_delay_alu instid0(VALU_DEP_1) | instskip(SKIP_1) | instid1(VALU_DEP_2)
	v_mul_f32_e32 v33, 0x3fb8aa3b, v31
	v_cmp_ngt_f32_e64 s6, 0xc2ce8ed0, v31
	v_fma_f32 v34, 0x3fb8aa3b, v31, -v33
	v_rndne_f32_e32 v35, v33
	s_delay_alu instid0(VALU_DEP_2) | instskip(NEXT) | instid1(VALU_DEP_2)
	v_fmac_f32_e32 v34, 0x32a5705f, v31
	v_sub_f32_e32 v33, v33, v35
	s_delay_alu instid0(VALU_DEP_1) | instskip(SKIP_1) | instid1(VALU_DEP_2)
	v_add_f32_e32 v33, v33, v34
	v_cvt_i32_f32_e32 v34, v35
	v_exp_f32_e32 v33, v33
	s_waitcnt_depctr 0xfff
	v_ldexp_f32 v33, v33, v34
	s_delay_alu instid0(VALU_DEP_1) | instskip(SKIP_1) | instid1(VALU_DEP_1)
	v_cndmask_b32_e64 v33, 0, v33, s6
	v_cmp_nlt_f32_e64 s6, 0x42b17218, v31
	v_cndmask_b32_e64 v60, 0x7f800000, v33, s6
	s_delay_alu instid0(VALU_DEP_1) | instskip(SKIP_4) | instid1(VALU_DEP_2)
	v_cndmask_b32_e64 v31, v32, v60, s4
	ds_bpermute_b32 v32, v74, v60
	v_cndmask_b32_e64 v30, v30, v60, s5
	s_waitcnt lgkmcnt(0)
	v_cndmask_b32_e64 v31, v31, v32, s3
	v_cndmask_b32_e32 v32, v30, v32, vcc_lo
	s_delay_alu instid0(VALU_DEP_2) | instskip(NEXT) | instid1(VALU_DEP_2)
	v_cvt_f16_f32_e32 v30, v31
	v_cvt_f16_f32_e32 v33, v32
	s_delay_alu instid0(VALU_DEP_1) | instskip(SKIP_1) | instid1(VALU_DEP_1)
	v_pack_b32_f16 v30, v30, v33
	v_sub_f32_e32 v33, v76, v75
	v_mul_f32_e32 v34, 0x3fb8aa3b, v33
	v_cmp_ngt_f32_e64 s6, 0xc2ce8ed0, v33
	s_delay_alu instid0(VALU_DEP_2) | instskip(SKIP_1) | instid1(VALU_DEP_1)
	v_fma_f32 v35, 0x3fb8aa3b, v33, -v34
	v_rndne_f32_e32 v36, v34
	v_dual_fmac_f32 v35, 0x32a5705f, v33 :: v_dual_sub_f32 v34, v34, v36
	s_delay_alu instid0(VALU_DEP_1) | instskip(SKIP_1) | instid1(VALU_DEP_2)
	v_add_f32_e32 v34, v34, v35
	v_cvt_i32_f32_e32 v35, v36
	v_exp_f32_e32 v34, v34
	s_waitcnt_depctr 0xfff
	v_ldexp_f32 v34, v34, v35
	v_add_nc_u32_e32 v35, 0x1c00, v193
	s_delay_alu instid0(VALU_DEP_2) | instskip(SKIP_1) | instid1(VALU_DEP_1)
	v_cndmask_b32_e64 v34, 0, v34, s6
	v_cmp_nlt_f32_e64 s6, 0x42b17218, v33
	v_cndmask_b32_e64 v61, 0x7f800000, v34, s6
	v_add_nc_u32_e32 v34, 0x300, v222
	ds_bpermute_b32 v33, v74, v61
	v_cndmask_b32_e64 v31, v31, v61, s4
	v_cndmask_b32_e64 v32, v32, v61, s5
	s_waitcnt lgkmcnt(0)
	s_delay_alu instid0(VALU_DEP_2) | instskip(NEXT) | instid1(VALU_DEP_2)
	v_cndmask_b32_e64 v31, v31, v33, s3
	v_cndmask_b32_e32 v32, v32, v33, vcc_lo
	v_add_nc_u32_e32 v33, 0x1a00, v193
	s_cselect_b32 s3, -1, 0
	s_delay_alu instid0(VALU_DEP_3) | instskip(NEXT) | instid1(VALU_DEP_3)
	v_cvt_f16_f32_e32 v31, v31
	v_cvt_f16_f32_e32 v32, v32
	s_and_b32 s4, s0, s3
	s_delay_alu instid0(VALU_DEP_1)
	v_pack_b32_f16 v31, v31, v32
	v_add_nc_u32_e32 v32, 0x1800, v193
	ds_load_2addr_b32 v[40:41], v32 offset0:128 offset1:180
	ds_load_2addr_b32 v[42:43], v33 offset0:104 offset1:156
	;; [unrolled: 1-line block ×4, first 2 shown]
	v_add_nc_u32_e32 v35, 0x1e00, v193
	ds_load_2addr_b32 v[50:51], v37 offset0:136 offset1:188
	ds_load_2addr_b32 v[48:49], v35 offset0:108 offset1:212
	;; [unrolled: 1-line block ×3, first 2 shown]
	ds_load_b32 v62, v193 offset:9776
	s_waitcnt lgkmcnt(7)
	v_perm_b32 v32, v41, v40, 0x5040100
	s_waitcnt lgkmcnt(6)
	v_perm_b32 v33, v43, v42, 0x5040100
	;; [unrolled: 2-line block ×5, first 2 shown]
	v_perm_b32 v36, v49, v45, 0x5040100
	s_waitcnt lgkmcnt(1)
	v_perm_b32 v38, v52, v134, 0x5040100
	s_waitcnt lgkmcnt(0)
	v_perm_b32 v39, v62, v53, 0x5040100
	s_delay_alu instid0(VALU_DEP_1)
	v_wmma_f16_16x16x16_f16 v[0:7], v[32:39], v[24:31], v[0:7]
	v_perm_b32 v34, v46, v44, 0x7060302
	v_perm_b32 v35, v48, v47, 0x7060302
	;; [unrolled: 1-line block ×8, first 2 shown]
	s_delay_alu instid0(VALU_DEP_1)
	v_wmma_f16_16x16x16_f16 v[0:7], v[32:39], v[24:31], v[0:7] op_sel:[0,0,1]
	v_add_nc_u32_e32 v32, 0x1800, v223
	v_add_nc_u32_e32 v34, 0x300, v194
	;; [unrolled: 1-line block ×4, first 2 shown]
	ds_load_2addr_b32 v[40:41], v32 offset0:128 offset1:180
	ds_load_2addr_b32 v[42:43], v33 offset0:104 offset1:156
	;; [unrolled: 1-line block ×4, first 2 shown]
	v_add_nc_u32_e32 v35, 0x1e00, v223
	v_add_nc_u32_e32 v37, 0x2000, v223
	;; [unrolled: 1-line block ×3, first 2 shown]
	ds_load_2addr_b32 v[48:49], v35 offset0:108 offset1:212
	ds_load_2addr_b32 v[50:51], v37 offset0:136 offset1:188
	;; [unrolled: 1-line block ×3, first 2 shown]
	s_waitcnt lgkmcnt(6)
	v_perm_b32 v32, v41, v40, 0x5040100
	s_waitcnt lgkmcnt(5)
	v_perm_b32 v33, v43, v42, 0x5040100
	;; [unrolled: 2-line block ×4, first 2 shown]
	v_perm_b32 v36, v49, v45, 0x5040100
	s_waitcnt lgkmcnt(1)
	v_perm_b32 v37, v51, v50, 0x5040100
	s_waitcnt lgkmcnt(0)
	v_perm_b32 v38, v52, v145, 0x5040100
	v_perm_b32 v39, v98, v53, 0x5040100
	s_delay_alu instid0(VALU_DEP_1)
	v_wmma_f16_16x16x16_f16 v[16:23], v[32:39], v[24:31], v[16:23]
	v_perm_b32 v34, v46, v44, 0x7060302
	v_perm_b32 v35, v48, v47, 0x7060302
	;; [unrolled: 1-line block ×8, first 2 shown]
	s_delay_alu instid0(VALU_DEP_1)
	v_wmma_f16_16x16x16_f16 v[16:23], v[32:39], v[24:31], v[16:23] op_sel:[0,0,1]
	v_add_nc_u32_e32 v32, 0x1800, v243
	v_add_nc_u32_e32 v34, 0x300, v195
	;; [unrolled: 1-line block ×4, first 2 shown]
	ds_load_2addr_b32 v[40:41], v32 offset0:128 offset1:180
	ds_load_2addr_b32 v[42:43], v33 offset0:104 offset1:156
	ds_load_2addr_b32 v[44:45], v34 offset0:16 offset1:224
	ds_load_2addr_b32 v[46:47], v35 offset0:132 offset1:184
	v_add_nc_u32_e32 v35, 0x1e00, v243
	v_add_nc_u32_e32 v37, 0x2000, v243
	v_add_nc_u32_e32 v38, 0x2400, v243
	ds_load_2addr_b32 v[48:49], v35 offset0:108 offset1:212
	ds_load_2addr_b32 v[50:51], v37 offset0:136 offset1:188
	ds_load_b32 v62, v195 offset:2496
	ds_load_2addr_b32 v[52:53], v38 offset0:36 offset1:88
	s_waitcnt lgkmcnt(0)
	s_barrier
	buffer_gl0_inv
	v_perm_b32 v32, v41, v40, 0x5040100
	v_perm_b32 v33, v43, v42, 0x5040100
	;; [unrolled: 1-line block ×8, first 2 shown]
	s_delay_alu instid0(VALU_DEP_1)
	v_wmma_f16_16x16x16_f16 v[8:15], v[32:39], v[24:31], v[8:15]
	v_perm_b32 v34, v46, v44, 0x7060302
	v_perm_b32 v35, v48, v47, 0x7060302
	;; [unrolled: 1-line block ×8, first 2 shown]
	s_delay_alu instid0(VALU_DEP_1) | instskip(SKIP_1) | instid1(VALU_DEP_1)
	v_wmma_f16_16x16x16_f16 v[8:15], v[32:39], v[24:31], v[8:15] op_sel:[0,0,1]
	v_add_f32_e32 v24, v85, v86
	v_add_f32_e32 v24, v87, v24
	s_delay_alu instid0(VALU_DEP_1) | instskip(NEXT) | instid1(VALU_DEP_1)
	v_add_f32_e32 v24, v90, v24
	v_add_f32_e32 v24, v91, v24
	s_delay_alu instid0(VALU_DEP_1) | instskip(NEXT) | instid1(VALU_DEP_1)
	;; [unrolled: 3-line block ×7, first 2 shown]
	v_add_f32_e32 v24, v61, v24
	v_fmac_f32_e32 v24, v125, v84
	ds_bpermute_b32 v25, v74, v24
	s_waitcnt lgkmcnt(0)
	v_add_f32_e32 v24, v24, v25
	s_and_saveexec_b32 s3, s4
	v_readlane_b32 s55, v255, 11
	s_cbranch_execz .LBB14_73
; %bb.72:                               ;   in Loop: Header=BB14_12 Depth=1
	v_dual_max_f32 v26, v75, v75 :: v_dual_and_b32 v25, 3, v209
	s_delay_alu instid0(VALU_DEP_1) | instskip(SKIP_3) | instid1(VALU_DEP_1)
	v_lshlrev_b32_e32 v25, 2, v25
	global_load_b32 v25, v25, s[72:73]
	s_waitcnt vmcnt(0)
	v_max_f32_e32 v27, v25, v25
	v_max_f32_e32 v26, v26, v27
	s_delay_alu instid0(VALU_DEP_1) | instskip(SKIP_1) | instid1(VALU_DEP_2)
	v_sub_f32_e32 v27, v75, v26
	v_mov_b32_e32 v75, v26
	v_dual_sub_f32 v25, v25, v26 :: v_dual_mul_f32 v28, 0x3fb8aa3b, v27
	s_delay_alu instid0(VALU_DEP_1) | instskip(SKIP_1) | instid1(VALU_DEP_1)
	v_fma_f32 v29, 0x3fb8aa3b, v27, -v28
	v_rndne_f32_e32 v30, v28
	v_dual_fmac_f32 v29, 0x32a5705f, v27 :: v_dual_sub_f32 v28, v28, v30
	v_cvt_i32_f32_e32 v30, v30
	s_delay_alu instid0(VALU_DEP_2) | instskip(SKIP_1) | instid1(VALU_DEP_2)
	v_add_f32_e32 v28, v28, v29
	v_cmp_ngt_f32_e32 vcc_lo, 0xc2ce8ed0, v27
	v_exp_f32_e32 v28, v28
	s_waitcnt_depctr 0xfff
	v_ldexp_f32 v28, v28, v30
	s_delay_alu instid0(VALU_DEP_1) | instskip(NEXT) | instid1(VALU_DEP_1)
	v_dual_mul_f32 v31, 0x3fb8aa3b, v25 :: v_dual_cndmask_b32 v28, 0, v28
	v_fma_f32 v32, 0x3fb8aa3b, v25, -v31
	v_rndne_f32_e32 v33, v31
	v_cmp_nlt_f32_e32 vcc_lo, 0x42b17218, v27
	s_delay_alu instid0(VALU_DEP_3) | instskip(NEXT) | instid1(VALU_DEP_3)
	v_fmac_f32_e32 v32, 0x32a5705f, v25
	v_dual_sub_f32 v29, v31, v33 :: v_dual_cndmask_b32 v28, 0x7f800000, v28
	v_cvt_i32_f32_e32 v30, v33
	v_cmp_ngt_f32_e32 vcc_lo, 0xc2ce8ed0, v25
	s_delay_alu instid0(VALU_DEP_3) | instskip(NEXT) | instid1(VALU_DEP_1)
	v_add_f32_e32 v29, v29, v32
	v_exp_f32_e32 v29, v29
	s_waitcnt_depctr 0xfff
	v_ldexp_f32 v29, v29, v30
	s_delay_alu instid0(VALU_DEP_1) | instskip(SKIP_3) | instid1(VALU_DEP_2)
	v_cndmask_b32_e32 v29, 0, v29, vcc_lo
	v_cmp_le_f32_e32 vcc_lo, 0xc1a00000, v27
	v_cndmask_b32_e32 v27, 0, v28, vcc_lo
	v_cmp_nlt_f32_e32 vcc_lo, 0x42b17218, v25
	v_cvt_f16_f32_e32 v28, v27
	v_cndmask_b32_e32 v25, 0x7f800000, v29, vcc_lo
	s_delay_alu instid0(VALU_DEP_2) | instskip(NEXT) | instid1(VALU_DEP_2)
	v_pk_mul_f16 v0, v28, v0 op_sel_hi:[0,1]
	v_fmac_f32_e32 v25, v24, v27
	v_pk_mul_f16 v1, v28, v1 op_sel_hi:[0,1]
	v_pk_mul_f16 v2, v28, v2 op_sel_hi:[0,1]
	v_pk_mul_f16 v3, v28, v3 op_sel_hi:[0,1]
	v_pk_mul_f16 v4, v28, v4 op_sel_hi:[0,1]
	v_mov_b32_e32 v24, v25
	v_pk_mul_f16 v5, v28, v5 op_sel_hi:[0,1]
	v_pk_mul_f16 v6, v28, v6 op_sel_hi:[0,1]
	;; [unrolled: 1-line block ×19, first 2 shown]
.LBB14_73:                              ;   in Loop: Header=BB14_12 Depth=1
	s_or_b32 exec_lo, exec_lo, s3
	s_and_saveexec_b32 s3, s2
	s_cbranch_execz .LBB14_75
; %bb.74:                               ;   in Loop: Header=BB14_12 Depth=1
	scratch_load_b32 v25, off, off          ; 4-byte Folded Reload
	s_waitcnt vmcnt(0)
	v_add_nc_u32_e32 v25, 0, v25
	ds_store_2addr_b32 v25, v75, v24 offset0:48 offset1:49
.LBB14_75:                              ;   in Loop: Header=BB14_12 Depth=1
	s_or_b32 exec_lo, exec_lo, s3
	s_waitcnt lgkmcnt(0)
	s_barrier
	buffer_gl0_inv
	s_and_saveexec_b32 s3, s1
	s_delay_alu instid0(SALU_CYCLE_1)
	s_xor_b32 s3, exec_lo, s3
	s_cbranch_execz .LBB14_77
; %bb.76:                               ;   in Loop: Header=BB14_12 Depth=1
	s_barrier
	buffer_gl0_inv
                                        ; implicit-def: $vgpr74
.LBB14_77:                              ;   in Loop: Header=BB14_12 Depth=1
	s_and_not1_saveexec_b32 s3, s3
	s_cbranch_execz .LBB14_81
; %bb.78:                               ;   in Loop: Header=BB14_12 Depth=1
	scratch_load_b32 v24, off, off offset:4 ; 4-byte Folded Reload
	s_waitcnt vmcnt(0)
	v_add_nc_u32_e32 v28, 0, v24
	ds_load_b64 v[26:27], v28 offset:192
	s_waitcnt lgkmcnt(0)
	s_barrier
	buffer_gl0_inv
	v_max_f32_e32 v25, v26, v26
	ds_bpermute_b32 v24, v74, v26
	s_waitcnt lgkmcnt(0)
	v_max_f32_e32 v24, v24, v24
	s_delay_alu instid0(VALU_DEP_1) | instskip(NEXT) | instid1(VALU_DEP_1)
	v_max_f32_e32 v24, v25, v24
	v_sub_f32_e32 v25, v26, v24
	s_delay_alu instid0(VALU_DEP_1) | instskip(SKIP_1) | instid1(VALU_DEP_2)
	v_mul_f32_e32 v26, 0x3fb8aa3b, v25
	v_cmp_ngt_f32_e32 vcc_lo, 0xc2ce8ed0, v25
	v_fma_f32 v29, 0x3fb8aa3b, v25, -v26
	v_rndne_f32_e32 v30, v26
	s_delay_alu instid0(VALU_DEP_1) | instskip(NEXT) | instid1(VALU_DEP_1)
	v_dual_fmac_f32 v29, 0x32a5705f, v25 :: v_dual_sub_f32 v26, v26, v30
	v_add_f32_e32 v26, v26, v29
	v_cvt_i32_f32_e32 v29, v30
	s_delay_alu instid0(VALU_DEP_2) | instskip(SKIP_2) | instid1(VALU_DEP_1)
	v_exp_f32_e32 v26, v26
	s_waitcnt_depctr 0xfff
	v_ldexp_f32 v26, v26, v29
	v_cndmask_b32_e32 v26, 0, v26, vcc_lo
	v_cmp_nlt_f32_e32 vcc_lo, 0x42b17218, v25
	s_delay_alu instid0(VALU_DEP_2) | instskip(NEXT) | instid1(VALU_DEP_1)
	v_cndmask_b32_e32 v25, 0x7f800000, v26, vcc_lo
	v_mul_f32_e32 v26, v27, v25
	ds_bpermute_b32 v26, v74, v26
	s_waitcnt lgkmcnt(0)
	v_fmac_f32_e32 v26, v27, v25
	ds_store_b64 v28, v[25:26] offset:192
	s_and_saveexec_b32 s4, s2
	s_cbranch_execz .LBB14_80
; %bb.79:                               ;   in Loop: Header=BB14_12 Depth=1
	v_mov_b32_e32 v25, v26
	scratch_load_b64 v[26:27], off, off offset:144 ; 8-byte Folded Reload
	s_waitcnt vmcnt(0)
	global_store_b64 v[26:27], v[24:25], off
.LBB14_80:                              ;   in Loop: Header=BB14_12 Depth=1
	s_or_b32 exec_lo, exec_lo, s4
.LBB14_81:                              ;   in Loop: Header=BB14_12 Depth=1
	s_delay_alu instid0(SALU_CYCLE_1)
	s_or_b32 exec_lo, exec_lo, s3
	ds_store_2addr_b32 v211, v0, v1 offset1:2
	ds_store_2addr_b32 v211, v2, v3 offset0:4 offset1:6
	ds_store_2addr_b32 v211, v4, v5 offset0:8 offset1:10
	;; [unrolled: 1-line block ×11, first 2 shown]
	s_waitcnt lgkmcnt(0)
	s_waitcnt_vscnt null, 0x0
	s_barrier
	buffer_gl0_inv
	s_and_saveexec_b32 s5, s0
	s_cbranch_execz .LBB14_196
; %bb.82:                               ;   in Loop: Header=BB14_12 Depth=1
	v_lshrrev_b32_e32 v0, 3, v210
	v_or_b32_e32 v1, s94, v218
	s_delay_alu instid0(VALU_DEP_2) | instskip(NEXT) | instid1(VALU_DEP_2)
	v_add_nc_u32_e32 v0, s66, v0
	v_cmp_gt_i32_e32 vcc_lo, s33, v1
	v_mov_b32_e32 v1, 0x47
	s_delay_alu instid0(VALU_DEP_3) | instskip(NEXT) | instid1(VALU_DEP_1)
	v_cmp_gt_i32_e64 s3, s8, v0
	s_and_b32 s3, s3, vcc_lo
	s_delay_alu instid0(SALU_CYCLE_1)
	s_and_saveexec_b32 s4, s3
	s_cbranch_execz .LBB14_84
; %bb.83:                               ;   in Loop: Header=BB14_12 Depth=1
	scratch_load_b32 v1, off, off offset:20 ; 4-byte Folded Reload
	v_mad_u64_u32 v[5:6], null, v0, s9, v[218:219]
	s_delay_alu instid0(VALU_DEP_1) | instskip(NEXT) | instid1(VALU_DEP_1)
	v_mad_u64_u32 v[6:7], null, v5, 48, v[209:210]
	v_ashrrev_i32_e32 v7, 31, v6
	s_waitcnt vmcnt(0)
	v_add_nc_u32_e32 v1, 0, v1
	s_delay_alu instid0(VALU_DEP_1)
	v_add_nc_u32_e32 v3, 0xc0, v1
	scratch_load_b32 v1, off, off offset:24 ; 4-byte Folded Reload
	s_waitcnt vmcnt(0)
	ds_load_2addr_stride64_b32 v[1:2], v1 offset1:13
	ds_load_2addr_stride64_b32 v[3:4], v3 offset1:13
	s_waitcnt lgkmcnt(0)
	v_fma_mix_f32 v5, v3, v1, 0 op_sel_hi:[0,1,0]
	v_fma_mix_f32 v8, v3, v1, 0 op_sel:[0,1,0] op_sel_hi:[0,1,0]
	v_lshlrev_b64 v[0:1], 3, v[6:7]
	s_delay_alu instid0(VALU_DEP_3) | instskip(NEXT) | instid1(VALU_DEP_3)
	v_fma_mix_f32 v3, v4, v2, v5 op_sel_hi:[0,1,0]
	v_fma_mix_f32 v4, v4, v2, v8 op_sel:[0,1,0] op_sel_hi:[0,1,0]
	s_delay_alu instid0(VALU_DEP_3) | instskip(NEXT) | instid1(VALU_DEP_1)
	v_add_co_u32 v5, s3, s62, v0
	v_add_co_ci_u32_e64 v6, s3, s49, v1, s3
	v_mov_b32_e32 v1, 0
	global_store_b64 v[5:6], v[3:4], off
.LBB14_84:                              ;   in Loop: Header=BB14_12 Depth=1
	s_or_b32 exec_lo, exec_lo, s4
	s_mov_b32 s4, -1
	s_mov_b32 s6, exec_lo
	v_cmpx_gt_i32_e32 0x47, v1
; %bb.85:                               ;   in Loop: Header=BB14_12 Depth=1
	v_cmp_eq_u32_e64 s3, 0, v1
	s_delay_alu instid0(VALU_DEP_1)
	s_or_not1_b32 s4, s3, exec_lo
; %bb.86:                               ;   in Loop: Header=BB14_12 Depth=1
	s_or_b32 exec_lo, exec_lo, s6
	s_and_saveexec_b32 s6, s4
	s_cbranch_execz .LBB14_159
; %bb.87:                               ;   in Loop: Header=BB14_12 Depth=1
	s_clause 0x1
	scratch_load_b32 v0, off, off offset:40
	scratch_load_b64 v[1:2], off, off offset:12
	s_waitcnt vmcnt(1)
	v_add_nc_u32_e32 v0, s66, v0
	s_waitcnt vmcnt(0)
	v_or_b32_e32 v1, s94, v1
	s_delay_alu instid0(VALU_DEP_1) | instskip(SKIP_2) | instid1(VALU_DEP_1)
	v_cmp_gt_i32_e64 s4, s33, v1
	v_mov_b32_e32 v1, 0x47
	v_cmp_gt_i32_e64 s3, s8, v0
	s_and_b32 s3, s3, s4
	s_delay_alu instid0(SALU_CYCLE_1)
	s_and_saveexec_b32 s4, s3
	s_cbranch_execz .LBB14_89
; %bb.88:                               ;   in Loop: Header=BB14_12 Depth=1
	scratch_load_b32 v1, off, off offset:152 ; 4-byte Folded Reload
	s_waitcnt vmcnt(0)
	v_add_nc_u32_e32 v1, 0, v1
	s_delay_alu instid0(VALU_DEP_1)
	v_add_nc_u32_e32 v3, 0xc0, v1
	scratch_load_b32 v1, off, off offset:156 ; 4-byte Folded Reload
	s_waitcnt vmcnt(0)
	ds_load_2addr_stride64_b32 v[1:2], v1 offset1:13
	ds_load_2addr_stride64_b32 v[3:4], v3 offset1:13
	scratch_load_b64 v[7:8], off, off offset:12 ; 8-byte Folded Reload
	s_waitcnt vmcnt(0)
	v_mad_u64_u32 v[5:6], null, v0, s9, v[7:8]
	s_waitcnt lgkmcnt(0)
	v_fma_mix_f32 v8, v3, v1, 0 op_sel:[0,1,0] op_sel_hi:[0,1,0]
	s_delay_alu instid0(VALU_DEP_2) | instskip(SKIP_1) | instid1(VALU_DEP_1)
	v_mad_u64_u32 v[6:7], null, v5, 48, v[209:210]
	v_fma_mix_f32 v5, v3, v1, 0 op_sel_hi:[0,1,0]
	v_fma_mix_f32 v3, v4, v2, v5 op_sel_hi:[0,1,0]
	s_delay_alu instid0(VALU_DEP_3) | instskip(SKIP_1) | instid1(VALU_DEP_2)
	v_ashrrev_i32_e32 v7, 31, v6
	v_fma_mix_f32 v4, v4, v2, v8 op_sel:[0,1,0] op_sel_hi:[0,1,0]
	v_lshlrev_b64 v[0:1], 3, v[6:7]
	s_delay_alu instid0(VALU_DEP_1) | instskip(NEXT) | instid1(VALU_DEP_1)
	v_add_co_u32 v5, s3, s62, v0
	v_add_co_ci_u32_e64 v6, s3, s49, v1, s3
	v_mov_b32_e32 v1, 0
	global_store_b64 v[5:6], v[3:4], off
.LBB14_89:                              ;   in Loop: Header=BB14_12 Depth=1
	s_or_b32 exec_lo, exec_lo, s4
	s_mov_b32 s4, -1
	s_mov_b32 s7, exec_lo
	v_cmpx_gt_i32_e32 0x47, v1
; %bb.90:                               ;   in Loop: Header=BB14_12 Depth=1
	v_cmp_eq_u32_e64 s3, 0, v1
	s_delay_alu instid0(VALU_DEP_1)
	s_or_not1_b32 s4, s3, exec_lo
; %bb.91:                               ;   in Loop: Header=BB14_12 Depth=1
	s_or_b32 exec_lo, exec_lo, s7
	s_delay_alu instid0(SALU_CYCLE_1)
	s_and_b32 exec_lo, exec_lo, s4
	s_cbranch_execz .LBB14_159
; %bb.92:                               ;   in Loop: Header=BB14_12 Depth=1
	scratch_load_b32 v0, off, off offset:160 ; 4-byte Folded Reload
	s_waitcnt vmcnt(0)
	v_dual_mov_b32 v0, 0x47 :: v_dual_add_nc_u32 v1, s66, v0
	s_delay_alu instid0(VALU_DEP_1) | instskip(NEXT) | instid1(VALU_DEP_1)
	v_cmp_gt_i32_e64 s3, s8, v1
	s_and_b32 s3, s3, vcc_lo
	s_delay_alu instid0(SALU_CYCLE_1)
	s_and_saveexec_b32 s4, s3
	s_cbranch_execz .LBB14_94
; %bb.93:                               ;   in Loop: Header=BB14_12 Depth=1
	s_clause 0x1
	scratch_load_b32 v0, off, off offset:184
	scratch_load_b32 v2, off, off offset:188
	v_mad_u64_u32 v[6:7], null, v1, s9, v[218:219]
	s_waitcnt vmcnt(1)
	v_add_nc_u32_e32 v0, 0, v0
	s_delay_alu instid0(VALU_DEP_1) | instskip(SKIP_4) | instid1(VALU_DEP_1)
	v_add_nc_u32_e32 v0, 0xc0, v0
	s_waitcnt vmcnt(0)
	ds_load_2addr_stride64_b32 v[2:3], v2 offset1:13
	ds_load_2addr_stride64_b32 v[4:5], v0 offset1:13
	v_mad_u64_u32 v[0:1], null, v6, 48, v[209:210]
	v_ashrrev_i32_e32 v1, 31, v0
	s_delay_alu instid0(VALU_DEP_1) | instskip(SKIP_3) | instid1(VALU_DEP_2)
	v_lshlrev_b64 v[0:1], 3, v[0:1]
	s_waitcnt lgkmcnt(0)
	v_fma_mix_f32 v6, v4, v2, 0 op_sel_hi:[0,1,0]
	v_fma_mix_f32 v4, v4, v2, 0 op_sel:[0,1,0] op_sel_hi:[0,1,0]
	v_fma_mix_f32 v2, v5, v3, v6 op_sel_hi:[0,1,0]
	s_delay_alu instid0(VALU_DEP_2) | instskip(SKIP_1) | instid1(VALU_DEP_1)
	v_fma_mix_f32 v3, v5, v3, v4 op_sel:[0,1,0] op_sel_hi:[0,1,0]
	v_add_co_u32 v4, s3, s62, v0
	v_add_co_ci_u32_e64 v5, s3, s49, v1, s3
	v_mov_b32_e32 v0, 0
	global_store_b64 v[4:5], v[2:3], off
.LBB14_94:                              ;   in Loop: Header=BB14_12 Depth=1
	s_or_b32 exec_lo, exec_lo, s4
	s_mov_b32 s4, -1
	s_mov_b32 s7, exec_lo
	v_cmpx_gt_i32_e32 0x47, v0
; %bb.95:                               ;   in Loop: Header=BB14_12 Depth=1
	v_cmp_eq_u32_e64 s3, 0, v0
	s_delay_alu instid0(VALU_DEP_1)
	s_or_not1_b32 s4, s3, exec_lo
; %bb.96:                               ;   in Loop: Header=BB14_12 Depth=1
	s_or_b32 exec_lo, exec_lo, s7
	s_delay_alu instid0(SALU_CYCLE_1)
	s_and_b32 exec_lo, exec_lo, s4
	s_cbranch_execz .LBB14_159
; %bb.97:                               ;   in Loop: Header=BB14_12 Depth=1
	s_clause 0x1
	scratch_load_b32 v0, off, off offset:204
	scratch_load_b64 v[1:2], off, off offset:176
	s_waitcnt vmcnt(1)
	v_add_nc_u32_e32 v0, s66, v0
	s_waitcnt vmcnt(0)
	v_or_b32_e32 v1, s94, v1
	s_delay_alu instid0(VALU_DEP_1) | instskip(SKIP_2) | instid1(VALU_DEP_1)
	v_cmp_gt_i32_e64 s4, s33, v1
	v_mov_b32_e32 v1, 0x47
	v_cmp_gt_i32_e64 s3, s8, v0
	s_and_b32 s3, s3, s4
	s_delay_alu instid0(SALU_CYCLE_1)
	s_and_saveexec_b32 s4, s3
	s_cbranch_execz .LBB14_99
; %bb.98:                               ;   in Loop: Header=BB14_12 Depth=1
	scratch_load_b32 v1, off, off offset:208 ; 4-byte Folded Reload
	s_waitcnt vmcnt(0)
	v_add_nc_u32_e32 v1, 0, v1
	s_delay_alu instid0(VALU_DEP_1)
	v_add_nc_u32_e32 v3, 0xc0, v1
	scratch_load_b32 v1, off, off offset:212 ; 4-byte Folded Reload
	s_waitcnt vmcnt(0)
	ds_load_2addr_stride64_b32 v[1:2], v1 offset1:13
	ds_load_2addr_stride64_b32 v[3:4], v3 offset1:13
	scratch_load_b64 v[7:8], off, off offset:176 ; 8-byte Folded Reload
	s_waitcnt vmcnt(0)
	v_mad_u64_u32 v[5:6], null, v0, s9, v[7:8]
	s_waitcnt lgkmcnt(0)
	v_fma_mix_f32 v8, v3, v1, 0 op_sel:[0,1,0] op_sel_hi:[0,1,0]
	s_delay_alu instid0(VALU_DEP_2) | instskip(SKIP_1) | instid1(VALU_DEP_1)
	v_mad_u64_u32 v[6:7], null, v5, 48, v[209:210]
	v_fma_mix_f32 v5, v3, v1, 0 op_sel_hi:[0,1,0]
	v_fma_mix_f32 v3, v4, v2, v5 op_sel_hi:[0,1,0]
	s_delay_alu instid0(VALU_DEP_3) | instskip(SKIP_1) | instid1(VALU_DEP_2)
	v_ashrrev_i32_e32 v7, 31, v6
	v_fma_mix_f32 v4, v4, v2, v8 op_sel:[0,1,0] op_sel_hi:[0,1,0]
	v_lshlrev_b64 v[0:1], 3, v[6:7]
	s_delay_alu instid0(VALU_DEP_1) | instskip(NEXT) | instid1(VALU_DEP_1)
	v_add_co_u32 v5, s3, s62, v0
	v_add_co_ci_u32_e64 v6, s3, s49, v1, s3
	v_mov_b32_e32 v1, 0
	global_store_b64 v[5:6], v[3:4], off
.LBB14_99:                              ;   in Loop: Header=BB14_12 Depth=1
	s_or_b32 exec_lo, exec_lo, s4
	s_mov_b32 s4, -1
	s_mov_b32 s7, exec_lo
	v_cmpx_gt_i32_e32 0x47, v1
; %bb.100:                              ;   in Loop: Header=BB14_12 Depth=1
	v_cmp_eq_u32_e64 s3, 0, v1
	s_delay_alu instid0(VALU_DEP_1)
	s_or_not1_b32 s4, s3, exec_lo
; %bb.101:                              ;   in Loop: Header=BB14_12 Depth=1
	s_or_b32 exec_lo, exec_lo, s7
	s_delay_alu instid0(SALU_CYCLE_1)
	s_and_b32 exec_lo, exec_lo, s4
	s_cbranch_execz .LBB14_159
; %bb.102:                              ;   in Loop: Header=BB14_12 Depth=1
	scratch_load_b32 v0, off, off offset:216 ; 4-byte Folded Reload
	s_waitcnt vmcnt(0)
	v_dual_mov_b32 v0, 0x47 :: v_dual_add_nc_u32 v1, s66, v0
	s_delay_alu instid0(VALU_DEP_1) | instskip(NEXT) | instid1(VALU_DEP_1)
	v_cmp_gt_i32_e64 s3, s8, v1
	s_and_b32 s3, s3, vcc_lo
	s_delay_alu instid0(SALU_CYCLE_1)
	s_and_saveexec_b32 s4, s3
	s_cbranch_execz .LBB14_104
; %bb.103:                              ;   in Loop: Header=BB14_12 Depth=1
	s_clause 0x1
	scratch_load_b32 v0, off, off offset:240
	scratch_load_b32 v2, off, off offset:244
	v_mad_u64_u32 v[6:7], null, v1, s9, v[218:219]
	s_waitcnt vmcnt(1)
	v_add_nc_u32_e32 v0, 0, v0
	s_delay_alu instid0(VALU_DEP_1) | instskip(SKIP_4) | instid1(VALU_DEP_1)
	v_add_nc_u32_e32 v0, 0xc0, v0
	s_waitcnt vmcnt(0)
	ds_load_2addr_stride64_b32 v[2:3], v2 offset1:13
	ds_load_2addr_stride64_b32 v[4:5], v0 offset1:13
	v_mad_u64_u32 v[0:1], null, v6, 48, v[209:210]
	v_ashrrev_i32_e32 v1, 31, v0
	s_delay_alu instid0(VALU_DEP_1) | instskip(SKIP_3) | instid1(VALU_DEP_2)
	v_lshlrev_b64 v[0:1], 3, v[0:1]
	s_waitcnt lgkmcnt(0)
	v_fma_mix_f32 v6, v4, v2, 0 op_sel_hi:[0,1,0]
	v_fma_mix_f32 v4, v4, v2, 0 op_sel:[0,1,0] op_sel_hi:[0,1,0]
	v_fma_mix_f32 v2, v5, v3, v6 op_sel_hi:[0,1,0]
	s_delay_alu instid0(VALU_DEP_2) | instskip(SKIP_1) | instid1(VALU_DEP_1)
	v_fma_mix_f32 v3, v5, v3, v4 op_sel:[0,1,0] op_sel_hi:[0,1,0]
	v_add_co_u32 v4, s3, s62, v0
	v_add_co_ci_u32_e64 v5, s3, s49, v1, s3
	v_mov_b32_e32 v0, 0
	global_store_b64 v[4:5], v[2:3], off
.LBB14_104:                             ;   in Loop: Header=BB14_12 Depth=1
	s_or_b32 exec_lo, exec_lo, s4
	s_mov_b32 s4, -1
	s_mov_b32 s7, exec_lo
	v_cmpx_gt_i32_e32 0x47, v0
; %bb.105:                              ;   in Loop: Header=BB14_12 Depth=1
	v_cmp_eq_u32_e64 s3, 0, v0
	s_delay_alu instid0(VALU_DEP_1)
	s_or_not1_b32 s4, s3, exec_lo
; %bb.106:                              ;   in Loop: Header=BB14_12 Depth=1
	s_or_b32 exec_lo, exec_lo, s7
	s_delay_alu instid0(SALU_CYCLE_1)
	s_and_b32 exec_lo, exec_lo, s4
	s_cbranch_execz .LBB14_159
; %bb.107:                              ;   in Loop: Header=BB14_12 Depth=1
	s_clause 0x1
	scratch_load_b32 v0, off, off offset:260
	scratch_load_b64 v[1:2], off, off offset:232
	s_waitcnt vmcnt(1)
	v_add_nc_u32_e32 v0, s66, v0
	s_waitcnt vmcnt(0)
	v_or_b32_e32 v1, s94, v1
	s_delay_alu instid0(VALU_DEP_1) | instskip(SKIP_2) | instid1(VALU_DEP_1)
	v_cmp_gt_i32_e64 s4, s33, v1
	v_mov_b32_e32 v1, 0x47
	v_cmp_gt_i32_e64 s3, s8, v0
	s_and_b32 s3, s3, s4
	s_delay_alu instid0(SALU_CYCLE_1)
	s_and_saveexec_b32 s4, s3
	s_cbranch_execz .LBB14_109
; %bb.108:                              ;   in Loop: Header=BB14_12 Depth=1
	scratch_load_b32 v1, off, off offset:264 ; 4-byte Folded Reload
	s_waitcnt vmcnt(0)
	v_add_nc_u32_e32 v1, 0, v1
	s_delay_alu instid0(VALU_DEP_1)
	v_add_nc_u32_e32 v3, 0xc0, v1
	scratch_load_b32 v1, off, off offset:268 ; 4-byte Folded Reload
	s_waitcnt vmcnt(0)
	ds_load_2addr_stride64_b32 v[1:2], v1 offset1:13
	ds_load_2addr_stride64_b32 v[3:4], v3 offset1:13
	scratch_load_b64 v[7:8], off, off offset:232 ; 8-byte Folded Reload
	s_waitcnt vmcnt(0)
	v_mad_u64_u32 v[5:6], null, v0, s9, v[7:8]
	s_waitcnt lgkmcnt(0)
	v_fma_mix_f32 v8, v3, v1, 0 op_sel:[0,1,0] op_sel_hi:[0,1,0]
	s_delay_alu instid0(VALU_DEP_2) | instskip(SKIP_1) | instid1(VALU_DEP_1)
	v_mad_u64_u32 v[6:7], null, v5, 48, v[209:210]
	v_fma_mix_f32 v5, v3, v1, 0 op_sel_hi:[0,1,0]
	v_fma_mix_f32 v3, v4, v2, v5 op_sel_hi:[0,1,0]
	s_delay_alu instid0(VALU_DEP_3) | instskip(SKIP_1) | instid1(VALU_DEP_2)
	v_ashrrev_i32_e32 v7, 31, v6
	v_fma_mix_f32 v4, v4, v2, v8 op_sel:[0,1,0] op_sel_hi:[0,1,0]
	v_lshlrev_b64 v[0:1], 3, v[6:7]
	s_delay_alu instid0(VALU_DEP_1) | instskip(NEXT) | instid1(VALU_DEP_1)
	v_add_co_u32 v5, s3, s62, v0
	v_add_co_ci_u32_e64 v6, s3, s49, v1, s3
	v_mov_b32_e32 v1, 0
	global_store_b64 v[5:6], v[3:4], off
.LBB14_109:                             ;   in Loop: Header=BB14_12 Depth=1
	s_or_b32 exec_lo, exec_lo, s4
	s_mov_b32 s4, -1
	s_mov_b32 s7, exec_lo
	v_cmpx_gt_i32_e32 0x47, v1
; %bb.110:                              ;   in Loop: Header=BB14_12 Depth=1
	v_cmp_eq_u32_e64 s3, 0, v1
	s_delay_alu instid0(VALU_DEP_1)
	s_or_not1_b32 s4, s3, exec_lo
; %bb.111:                              ;   in Loop: Header=BB14_12 Depth=1
	s_or_b32 exec_lo, exec_lo, s7
	s_delay_alu instid0(SALU_CYCLE_1)
	s_and_b32 exec_lo, exec_lo, s4
	s_cbranch_execz .LBB14_159
; %bb.112:                              ;   in Loop: Header=BB14_12 Depth=1
	scratch_load_b32 v0, off, off offset:272 ; 4-byte Folded Reload
	s_waitcnt vmcnt(0)
	v_dual_mov_b32 v0, 0x47 :: v_dual_add_nc_u32 v1, s66, v0
	s_delay_alu instid0(VALU_DEP_1) | instskip(NEXT) | instid1(VALU_DEP_1)
	v_cmp_gt_i32_e64 s3, s8, v1
	s_and_b32 s3, s3, vcc_lo
	s_delay_alu instid0(SALU_CYCLE_1)
	s_and_saveexec_b32 s4, s3
	s_cbranch_execz .LBB14_114
; %bb.113:                              ;   in Loop: Header=BB14_12 Depth=1
	s_clause 0x1
	scratch_load_b32 v0, off, off offset:296
	scratch_load_b32 v2, off, off offset:300
	v_mad_u64_u32 v[6:7], null, v1, s9, v[218:219]
	s_waitcnt vmcnt(1)
	v_add_nc_u32_e32 v0, 0, v0
	s_delay_alu instid0(VALU_DEP_1) | instskip(SKIP_4) | instid1(VALU_DEP_1)
	v_add_nc_u32_e32 v0, 0xc0, v0
	s_waitcnt vmcnt(0)
	ds_load_2addr_stride64_b32 v[2:3], v2 offset1:13
	ds_load_2addr_stride64_b32 v[4:5], v0 offset1:13
	v_mad_u64_u32 v[0:1], null, v6, 48, v[209:210]
	v_ashrrev_i32_e32 v1, 31, v0
	s_delay_alu instid0(VALU_DEP_1) | instskip(SKIP_3) | instid1(VALU_DEP_2)
	v_lshlrev_b64 v[0:1], 3, v[0:1]
	s_waitcnt lgkmcnt(0)
	v_fma_mix_f32 v6, v4, v2, 0 op_sel_hi:[0,1,0]
	v_fma_mix_f32 v4, v4, v2, 0 op_sel:[0,1,0] op_sel_hi:[0,1,0]
	v_fma_mix_f32 v2, v5, v3, v6 op_sel_hi:[0,1,0]
	s_delay_alu instid0(VALU_DEP_2) | instskip(SKIP_1) | instid1(VALU_DEP_1)
	v_fma_mix_f32 v3, v5, v3, v4 op_sel:[0,1,0] op_sel_hi:[0,1,0]
	v_add_co_u32 v4, s3, s62, v0
	v_add_co_ci_u32_e64 v5, s3, s49, v1, s3
	v_mov_b32_e32 v0, 0
	global_store_b64 v[4:5], v[2:3], off
.LBB14_114:                             ;   in Loop: Header=BB14_12 Depth=1
	s_or_b32 exec_lo, exec_lo, s4
	s_mov_b32 s4, -1
	s_mov_b32 s7, exec_lo
	v_cmpx_gt_i32_e32 0x47, v0
; %bb.115:                              ;   in Loop: Header=BB14_12 Depth=1
	v_cmp_eq_u32_e64 s3, 0, v0
	s_delay_alu instid0(VALU_DEP_1)
	s_or_not1_b32 s4, s3, exec_lo
; %bb.116:                              ;   in Loop: Header=BB14_12 Depth=1
	s_or_b32 exec_lo, exec_lo, s7
	s_delay_alu instid0(SALU_CYCLE_1)
	s_and_b32 exec_lo, exec_lo, s4
	s_cbranch_execz .LBB14_159
; %bb.117:                              ;   in Loop: Header=BB14_12 Depth=1
	s_clause 0x1
	scratch_load_b32 v0, off, off offset:316
	scratch_load_b64 v[1:2], off, off offset:288
	s_waitcnt vmcnt(1)
	v_add_nc_u32_e32 v0, s66, v0
	s_waitcnt vmcnt(0)
	v_or_b32_e32 v1, s94, v1
	s_delay_alu instid0(VALU_DEP_1) | instskip(SKIP_2) | instid1(VALU_DEP_1)
	v_cmp_gt_i32_e64 s4, s33, v1
	v_mov_b32_e32 v1, 0x47
	v_cmp_gt_i32_e64 s3, s8, v0
	s_and_b32 s3, s3, s4
	s_delay_alu instid0(SALU_CYCLE_1)
	s_and_saveexec_b32 s4, s3
	s_cbranch_execz .LBB14_119
; %bb.118:                              ;   in Loop: Header=BB14_12 Depth=1
	scratch_load_b32 v1, off, off offset:320 ; 4-byte Folded Reload
	s_waitcnt vmcnt(0)
	v_add_nc_u32_e32 v1, 0, v1
	s_delay_alu instid0(VALU_DEP_1)
	v_add_nc_u32_e32 v3, 0xc0, v1
	scratch_load_b32 v1, off, off offset:324 ; 4-byte Folded Reload
	s_waitcnt vmcnt(0)
	ds_load_2addr_stride64_b32 v[1:2], v1 offset1:13
	ds_load_2addr_stride64_b32 v[3:4], v3 offset1:13
	scratch_load_b64 v[7:8], off, off offset:288 ; 8-byte Folded Reload
	s_waitcnt vmcnt(0)
	v_mad_u64_u32 v[5:6], null, v0, s9, v[7:8]
	s_waitcnt lgkmcnt(0)
	v_fma_mix_f32 v8, v3, v1, 0 op_sel:[0,1,0] op_sel_hi:[0,1,0]
	s_delay_alu instid0(VALU_DEP_2) | instskip(SKIP_1) | instid1(VALU_DEP_1)
	v_mad_u64_u32 v[6:7], null, v5, 48, v[209:210]
	v_fma_mix_f32 v5, v3, v1, 0 op_sel_hi:[0,1,0]
	v_fma_mix_f32 v3, v4, v2, v5 op_sel_hi:[0,1,0]
	s_delay_alu instid0(VALU_DEP_3) | instskip(SKIP_1) | instid1(VALU_DEP_2)
	v_ashrrev_i32_e32 v7, 31, v6
	v_fma_mix_f32 v4, v4, v2, v8 op_sel:[0,1,0] op_sel_hi:[0,1,0]
	v_lshlrev_b64 v[0:1], 3, v[6:7]
	s_delay_alu instid0(VALU_DEP_1) | instskip(NEXT) | instid1(VALU_DEP_1)
	v_add_co_u32 v5, s3, s62, v0
	v_add_co_ci_u32_e64 v6, s3, s49, v1, s3
	v_mov_b32_e32 v1, 0
	global_store_b64 v[5:6], v[3:4], off
.LBB14_119:                             ;   in Loop: Header=BB14_12 Depth=1
	s_or_b32 exec_lo, exec_lo, s4
	s_mov_b32 s4, -1
	s_mov_b32 s7, exec_lo
	v_cmpx_gt_i32_e32 0x47, v1
; %bb.120:                              ;   in Loop: Header=BB14_12 Depth=1
	v_cmp_eq_u32_e64 s3, 0, v1
	s_delay_alu instid0(VALU_DEP_1)
	s_or_not1_b32 s4, s3, exec_lo
; %bb.121:                              ;   in Loop: Header=BB14_12 Depth=1
	s_or_b32 exec_lo, exec_lo, s7
	s_delay_alu instid0(SALU_CYCLE_1)
	s_and_b32 exec_lo, exec_lo, s4
	s_cbranch_execz .LBB14_159
; %bb.122:                              ;   in Loop: Header=BB14_12 Depth=1
	scratch_load_b32 v0, off, off offset:328 ; 4-byte Folded Reload
	s_waitcnt vmcnt(0)
	v_dual_mov_b32 v0, 0x47 :: v_dual_add_nc_u32 v1, s66, v0
	s_delay_alu instid0(VALU_DEP_1) | instskip(NEXT) | instid1(VALU_DEP_1)
	v_cmp_gt_i32_e64 s3, s8, v1
	s_and_b32 s3, s3, vcc_lo
	s_delay_alu instid0(SALU_CYCLE_1)
	s_and_saveexec_b32 s4, s3
	s_cbranch_execz .LBB14_124
; %bb.123:                              ;   in Loop: Header=BB14_12 Depth=1
	s_clause 0x1
	scratch_load_b32 v0, off, off offset:348
	scratch_load_b32 v2, off, off offset:352
	v_mad_u64_u32 v[6:7], null, v1, s9, v[218:219]
	s_waitcnt vmcnt(1)
	v_add_nc_u32_e32 v0, 0, v0
	s_delay_alu instid0(VALU_DEP_1) | instskip(SKIP_4) | instid1(VALU_DEP_1)
	v_add_nc_u32_e32 v0, 0xc0, v0
	s_waitcnt vmcnt(0)
	ds_load_2addr_stride64_b32 v[2:3], v2 offset1:13
	ds_load_2addr_stride64_b32 v[4:5], v0 offset1:13
	v_mad_u64_u32 v[0:1], null, v6, 48, v[209:210]
	v_ashrrev_i32_e32 v1, 31, v0
	s_delay_alu instid0(VALU_DEP_1) | instskip(SKIP_3) | instid1(VALU_DEP_2)
	v_lshlrev_b64 v[0:1], 3, v[0:1]
	s_waitcnt lgkmcnt(0)
	v_fma_mix_f32 v6, v4, v2, 0 op_sel_hi:[0,1,0]
	v_fma_mix_f32 v4, v4, v2, 0 op_sel:[0,1,0] op_sel_hi:[0,1,0]
	v_fma_mix_f32 v2, v5, v3, v6 op_sel_hi:[0,1,0]
	s_delay_alu instid0(VALU_DEP_2) | instskip(SKIP_1) | instid1(VALU_DEP_1)
	v_fma_mix_f32 v3, v5, v3, v4 op_sel:[0,1,0] op_sel_hi:[0,1,0]
	v_add_co_u32 v4, s3, s62, v0
	v_add_co_ci_u32_e64 v5, s3, s49, v1, s3
	v_mov_b32_e32 v0, 0
	global_store_b64 v[4:5], v[2:3], off
.LBB14_124:                             ;   in Loop: Header=BB14_12 Depth=1
	s_or_b32 exec_lo, exec_lo, s4
	s_mov_b32 s4, -1
	s_mov_b32 s7, exec_lo
	v_cmpx_gt_i32_e32 0x47, v0
; %bb.125:                              ;   in Loop: Header=BB14_12 Depth=1
	v_cmp_eq_u32_e64 s3, 0, v0
	s_delay_alu instid0(VALU_DEP_1)
	s_or_not1_b32 s4, s3, exec_lo
; %bb.126:                              ;   in Loop: Header=BB14_12 Depth=1
	s_or_b32 exec_lo, exec_lo, s7
	s_delay_alu instid0(SALU_CYCLE_1)
	s_and_b32 exec_lo, exec_lo, s4
	s_cbranch_execz .LBB14_159
; %bb.127:                              ;   in Loop: Header=BB14_12 Depth=1
	s_clause 0x1
	scratch_load_b32 v0, off, off offset:356
	scratch_load_b64 v[1:2], off, off offset:340
	s_waitcnt vmcnt(1)
	v_add_nc_u32_e32 v0, s66, v0
	s_waitcnt vmcnt(0)
	v_or_b32_e32 v1, s94, v1
	s_delay_alu instid0(VALU_DEP_1) | instskip(SKIP_2) | instid1(VALU_DEP_1)
	v_cmp_gt_i32_e64 s4, s33, v1
	v_mov_b32_e32 v1, 0x47
	v_cmp_gt_i32_e64 s3, s8, v0
	s_and_b32 s3, s3, s4
	s_delay_alu instid0(SALU_CYCLE_1)
	s_and_saveexec_b32 s4, s3
	s_cbranch_execz .LBB14_129
; %bb.128:                              ;   in Loop: Header=BB14_12 Depth=1
	scratch_load_b32 v1, off, off offset:360 ; 4-byte Folded Reload
	s_waitcnt vmcnt(0)
	v_add_nc_u32_e32 v1, 0, v1
	s_delay_alu instid0(VALU_DEP_1)
	v_add_nc_u32_e32 v3, 0xc0, v1
	scratch_load_b32 v1, off, off offset:364 ; 4-byte Folded Reload
	s_waitcnt vmcnt(0)
	ds_load_2addr_stride64_b32 v[1:2], v1 offset1:13
	ds_load_2addr_stride64_b32 v[3:4], v3 offset1:13
	scratch_load_b64 v[7:8], off, off offset:340 ; 8-byte Folded Reload
	s_waitcnt vmcnt(0)
	v_mad_u64_u32 v[5:6], null, v0, s9, v[7:8]
	s_waitcnt lgkmcnt(0)
	v_fma_mix_f32 v8, v3, v1, 0 op_sel:[0,1,0] op_sel_hi:[0,1,0]
	s_delay_alu instid0(VALU_DEP_2) | instskip(SKIP_1) | instid1(VALU_DEP_1)
	v_mad_u64_u32 v[6:7], null, v5, 48, v[209:210]
	v_fma_mix_f32 v5, v3, v1, 0 op_sel_hi:[0,1,0]
	v_fma_mix_f32 v3, v4, v2, v5 op_sel_hi:[0,1,0]
	s_delay_alu instid0(VALU_DEP_3) | instskip(SKIP_1) | instid1(VALU_DEP_2)
	v_ashrrev_i32_e32 v7, 31, v6
	v_fma_mix_f32 v4, v4, v2, v8 op_sel:[0,1,0] op_sel_hi:[0,1,0]
	v_lshlrev_b64 v[0:1], 3, v[6:7]
	s_delay_alu instid0(VALU_DEP_1) | instskip(NEXT) | instid1(VALU_DEP_1)
	v_add_co_u32 v5, s3, s62, v0
	v_add_co_ci_u32_e64 v6, s3, s49, v1, s3
	v_mov_b32_e32 v1, 0
	global_store_b64 v[5:6], v[3:4], off
.LBB14_129:                             ;   in Loop: Header=BB14_12 Depth=1
	s_or_b32 exec_lo, exec_lo, s4
	s_mov_b32 s4, -1
	s_mov_b32 s7, exec_lo
	v_cmpx_gt_i32_e32 0x47, v1
; %bb.130:                              ;   in Loop: Header=BB14_12 Depth=1
	v_cmp_eq_u32_e64 s3, 0, v1
	s_delay_alu instid0(VALU_DEP_1)
	s_or_not1_b32 s4, s3, exec_lo
; %bb.131:                              ;   in Loop: Header=BB14_12 Depth=1
	s_or_b32 exec_lo, exec_lo, s7
	s_delay_alu instid0(SALU_CYCLE_1)
	s_and_b32 exec_lo, exec_lo, s4
	s_cbranch_execz .LBB14_159
; %bb.132:                              ;   in Loop: Header=BB14_12 Depth=1
	scratch_load_b32 v0, off, off offset:368 ; 4-byte Folded Reload
	s_waitcnt vmcnt(0)
	v_dual_mov_b32 v0, 0x47 :: v_dual_add_nc_u32 v1, s66, v0
	s_delay_alu instid0(VALU_DEP_1) | instskip(NEXT) | instid1(VALU_DEP_1)
	v_cmp_gt_i32_e64 s3, s8, v1
	s_and_b32 s3, s3, vcc_lo
	s_delay_alu instid0(SALU_CYCLE_1)
	s_and_saveexec_b32 s4, s3
	s_cbranch_execz .LBB14_134
; %bb.133:                              ;   in Loop: Header=BB14_12 Depth=1
	s_clause 0x1
	scratch_load_b32 v0, off, off offset:380
	scratch_load_b32 v2, off, off offset:384
	v_mad_u64_u32 v[6:7], null, v1, s9, v[218:219]
	s_waitcnt vmcnt(1)
	v_add_nc_u32_e32 v0, 0, v0
	s_delay_alu instid0(VALU_DEP_1) | instskip(SKIP_4) | instid1(VALU_DEP_1)
	v_add_nc_u32_e32 v0, 0xc0, v0
	s_waitcnt vmcnt(0)
	ds_load_2addr_stride64_b32 v[2:3], v2 offset1:13
	ds_load_2addr_stride64_b32 v[4:5], v0 offset1:13
	v_mad_u64_u32 v[0:1], null, v6, 48, v[209:210]
	v_ashrrev_i32_e32 v1, 31, v0
	s_delay_alu instid0(VALU_DEP_1) | instskip(SKIP_3) | instid1(VALU_DEP_2)
	v_lshlrev_b64 v[0:1], 3, v[0:1]
	s_waitcnt lgkmcnt(0)
	v_fma_mix_f32 v6, v4, v2, 0 op_sel_hi:[0,1,0]
	v_fma_mix_f32 v4, v4, v2, 0 op_sel:[0,1,0] op_sel_hi:[0,1,0]
	v_fma_mix_f32 v2, v5, v3, v6 op_sel_hi:[0,1,0]
	s_delay_alu instid0(VALU_DEP_2) | instskip(SKIP_1) | instid1(VALU_DEP_1)
	v_fma_mix_f32 v3, v5, v3, v4 op_sel:[0,1,0] op_sel_hi:[0,1,0]
	v_add_co_u32 v4, s3, s62, v0
	v_add_co_ci_u32_e64 v5, s3, s49, v1, s3
	v_mov_b32_e32 v0, 0
	global_store_b64 v[4:5], v[2:3], off
.LBB14_134:                             ;   in Loop: Header=BB14_12 Depth=1
	s_or_b32 exec_lo, exec_lo, s4
	s_mov_b32 s4, -1
	s_mov_b32 s7, exec_lo
	v_cmpx_gt_i32_e32 0x47, v0
; %bb.135:                              ;   in Loop: Header=BB14_12 Depth=1
	v_cmp_eq_u32_e64 s3, 0, v0
	s_delay_alu instid0(VALU_DEP_1)
	s_or_not1_b32 s4, s3, exec_lo
; %bb.136:                              ;   in Loop: Header=BB14_12 Depth=1
	s_or_b32 exec_lo, exec_lo, s7
	s_delay_alu instid0(SALU_CYCLE_1)
	s_and_b32 exec_lo, exec_lo, s4
	s_cbranch_execz .LBB14_159
; %bb.137:                              ;   in Loop: Header=BB14_12 Depth=1
	s_clause 0x1
	scratch_load_b32 v0, off, off offset:388
	scratch_load_b64 v[1:2], off, off offset:372
	s_waitcnt vmcnt(1)
	v_add_nc_u32_e32 v0, s66, v0
	s_waitcnt vmcnt(0)
	v_or_b32_e32 v1, s94, v1
	s_delay_alu instid0(VALU_DEP_1) | instskip(SKIP_2) | instid1(VALU_DEP_1)
	v_cmp_gt_i32_e64 s4, s33, v1
	v_mov_b32_e32 v1, 0x47
	v_cmp_gt_i32_e64 s3, s8, v0
	s_and_b32 s3, s3, s4
	s_delay_alu instid0(SALU_CYCLE_1)
	s_and_saveexec_b32 s4, s3
	s_cbranch_execz .LBB14_139
; %bb.138:                              ;   in Loop: Header=BB14_12 Depth=1
	scratch_load_b32 v1, off, off offset:392 ; 4-byte Folded Reload
	s_waitcnt vmcnt(0)
	v_add_nc_u32_e32 v1, 0, v1
	s_delay_alu instid0(VALU_DEP_1)
	v_add_nc_u32_e32 v3, 0xc0, v1
	scratch_load_b32 v1, off, off offset:396 ; 4-byte Folded Reload
	s_waitcnt vmcnt(0)
	ds_load_2addr_stride64_b32 v[1:2], v1 offset1:13
	ds_load_2addr_stride64_b32 v[3:4], v3 offset1:13
	scratch_load_b64 v[7:8], off, off offset:372 ; 8-byte Folded Reload
	s_waitcnt vmcnt(0)
	v_mad_u64_u32 v[5:6], null, v0, s9, v[7:8]
	s_waitcnt lgkmcnt(0)
	v_fma_mix_f32 v8, v3, v1, 0 op_sel:[0,1,0] op_sel_hi:[0,1,0]
	s_delay_alu instid0(VALU_DEP_2) | instskip(SKIP_1) | instid1(VALU_DEP_1)
	v_mad_u64_u32 v[6:7], null, v5, 48, v[209:210]
	v_fma_mix_f32 v5, v3, v1, 0 op_sel_hi:[0,1,0]
	v_fma_mix_f32 v3, v4, v2, v5 op_sel_hi:[0,1,0]
	s_delay_alu instid0(VALU_DEP_3) | instskip(SKIP_1) | instid1(VALU_DEP_2)
	v_ashrrev_i32_e32 v7, 31, v6
	v_fma_mix_f32 v4, v4, v2, v8 op_sel:[0,1,0] op_sel_hi:[0,1,0]
	v_lshlrev_b64 v[0:1], 3, v[6:7]
	s_delay_alu instid0(VALU_DEP_1) | instskip(NEXT) | instid1(VALU_DEP_1)
	v_add_co_u32 v5, s3, s62, v0
	v_add_co_ci_u32_e64 v6, s3, s49, v1, s3
	v_mov_b32_e32 v1, 0
	global_store_b64 v[5:6], v[3:4], off
.LBB14_139:                             ;   in Loop: Header=BB14_12 Depth=1
	s_or_b32 exec_lo, exec_lo, s4
	s_mov_b32 s4, -1
	s_mov_b32 s7, exec_lo
	v_cmpx_gt_i32_e32 0x47, v1
; %bb.140:                              ;   in Loop: Header=BB14_12 Depth=1
	v_cmp_eq_u32_e64 s3, 0, v1
	s_delay_alu instid0(VALU_DEP_1)
	s_or_not1_b32 s4, s3, exec_lo
; %bb.141:                              ;   in Loop: Header=BB14_12 Depth=1
	s_or_b32 exec_lo, exec_lo, s7
	s_delay_alu instid0(SALU_CYCLE_1)
	s_and_b32 exec_lo, exec_lo, s4
	s_cbranch_execz .LBB14_159
; %bb.142:                              ;   in Loop: Header=BB14_12 Depth=1
	scratch_load_b32 v0, off, off offset:400 ; 4-byte Folded Reload
	s_waitcnt vmcnt(0)
	v_dual_mov_b32 v0, 0x47 :: v_dual_add_nc_u32 v1, s66, v0
	s_delay_alu instid0(VALU_DEP_1) | instskip(NEXT) | instid1(VALU_DEP_1)
	v_cmp_gt_i32_e64 s3, s8, v1
	s_and_b32 s3, s3, vcc_lo
	s_delay_alu instid0(SALU_CYCLE_1)
	s_and_saveexec_b32 s4, s3
	s_cbranch_execz .LBB14_144
; %bb.143:                              ;   in Loop: Header=BB14_12 Depth=1
	s_clause 0x1
	scratch_load_b32 v0, off, off offset:412
	scratch_load_b32 v2, off, off offset:416
	v_mad_u64_u32 v[6:7], null, v1, s9, v[218:219]
	s_waitcnt vmcnt(1)
	v_add_nc_u32_e32 v0, 0, v0
	s_delay_alu instid0(VALU_DEP_1) | instskip(SKIP_4) | instid1(VALU_DEP_1)
	v_add_nc_u32_e32 v0, 0xc0, v0
	s_waitcnt vmcnt(0)
	ds_load_2addr_stride64_b32 v[2:3], v2 offset1:13
	ds_load_2addr_stride64_b32 v[4:5], v0 offset1:13
	v_mad_u64_u32 v[0:1], null, v6, 48, v[209:210]
	v_ashrrev_i32_e32 v1, 31, v0
	s_delay_alu instid0(VALU_DEP_1) | instskip(SKIP_3) | instid1(VALU_DEP_2)
	v_lshlrev_b64 v[0:1], 3, v[0:1]
	s_waitcnt lgkmcnt(0)
	v_fma_mix_f32 v6, v4, v2, 0 op_sel_hi:[0,1,0]
	v_fma_mix_f32 v4, v4, v2, 0 op_sel:[0,1,0] op_sel_hi:[0,1,0]
	v_fma_mix_f32 v2, v5, v3, v6 op_sel_hi:[0,1,0]
	s_delay_alu instid0(VALU_DEP_2) | instskip(SKIP_1) | instid1(VALU_DEP_1)
	v_fma_mix_f32 v3, v5, v3, v4 op_sel:[0,1,0] op_sel_hi:[0,1,0]
	v_add_co_u32 v4, s3, s62, v0
	v_add_co_ci_u32_e64 v5, s3, s49, v1, s3
	v_mov_b32_e32 v0, 0
	global_store_b64 v[4:5], v[2:3], off
.LBB14_144:                             ;   in Loop: Header=BB14_12 Depth=1
	s_or_b32 exec_lo, exec_lo, s4
	s_mov_b32 s4, -1
	s_mov_b32 s7, exec_lo
	v_cmpx_gt_i32_e32 0x47, v0
; %bb.145:                              ;   in Loop: Header=BB14_12 Depth=1
	v_cmp_eq_u32_e64 s3, 0, v0
	s_delay_alu instid0(VALU_DEP_1)
	s_or_not1_b32 s4, s3, exec_lo
; %bb.146:                              ;   in Loop: Header=BB14_12 Depth=1
	s_or_b32 exec_lo, exec_lo, s7
	s_delay_alu instid0(SALU_CYCLE_1)
	s_and_b32 exec_lo, exec_lo, s4
	s_cbranch_execz .LBB14_159
; %bb.147:                              ;   in Loop: Header=BB14_12 Depth=1
	s_clause 0x1
	scratch_load_b32 v0, off, off offset:420
	scratch_load_b64 v[1:2], off, off offset:404
	s_waitcnt vmcnt(1)
	v_add_nc_u32_e32 v0, s66, v0
	s_waitcnt vmcnt(0)
	v_or_b32_e32 v1, s94, v1
	s_delay_alu instid0(VALU_DEP_1) | instskip(SKIP_2) | instid1(VALU_DEP_1)
	v_cmp_gt_i32_e64 s4, s33, v1
	v_mov_b32_e32 v1, 0x47
	v_cmp_gt_i32_e64 s3, s8, v0
	s_and_b32 s3, s3, s4
	s_delay_alu instid0(SALU_CYCLE_1)
	s_and_saveexec_b32 s4, s3
	s_cbranch_execz .LBB14_149
; %bb.148:                              ;   in Loop: Header=BB14_12 Depth=1
	scratch_load_b32 v1, off, off offset:424 ; 4-byte Folded Reload
	s_waitcnt vmcnt(0)
	v_add_nc_u32_e32 v1, 0, v1
	s_delay_alu instid0(VALU_DEP_1)
	v_add_nc_u32_e32 v3, 0xc0, v1
	scratch_load_b32 v1, off, off offset:428 ; 4-byte Folded Reload
	s_waitcnt vmcnt(0)
	ds_load_2addr_stride64_b32 v[1:2], v1 offset1:13
	ds_load_2addr_stride64_b32 v[3:4], v3 offset1:13
	scratch_load_b64 v[7:8], off, off offset:404 ; 8-byte Folded Reload
	s_waitcnt vmcnt(0)
	v_mad_u64_u32 v[5:6], null, v0, s9, v[7:8]
	s_waitcnt lgkmcnt(0)
	v_fma_mix_f32 v8, v3, v1, 0 op_sel:[0,1,0] op_sel_hi:[0,1,0]
	s_delay_alu instid0(VALU_DEP_2) | instskip(SKIP_1) | instid1(VALU_DEP_1)
	v_mad_u64_u32 v[6:7], null, v5, 48, v[209:210]
	v_fma_mix_f32 v5, v3, v1, 0 op_sel_hi:[0,1,0]
	v_fma_mix_f32 v3, v4, v2, v5 op_sel_hi:[0,1,0]
	s_delay_alu instid0(VALU_DEP_3) | instskip(SKIP_1) | instid1(VALU_DEP_2)
	v_ashrrev_i32_e32 v7, 31, v6
	v_fma_mix_f32 v4, v4, v2, v8 op_sel:[0,1,0] op_sel_hi:[0,1,0]
	v_lshlrev_b64 v[0:1], 3, v[6:7]
	s_delay_alu instid0(VALU_DEP_1) | instskip(NEXT) | instid1(VALU_DEP_1)
	v_add_co_u32 v5, s3, s62, v0
	v_add_co_ci_u32_e64 v6, s3, s49, v1, s3
	v_mov_b32_e32 v1, 0
	global_store_b64 v[5:6], v[3:4], off
.LBB14_149:                             ;   in Loop: Header=BB14_12 Depth=1
	s_or_b32 exec_lo, exec_lo, s4
	s_mov_b32 s4, -1
	s_mov_b32 s7, exec_lo
	v_cmpx_gt_i32_e32 0x47, v1
; %bb.150:                              ;   in Loop: Header=BB14_12 Depth=1
	v_cmp_eq_u32_e64 s3, 0, v1
	s_delay_alu instid0(VALU_DEP_1)
	s_or_not1_b32 s4, s3, exec_lo
; %bb.151:                              ;   in Loop: Header=BB14_12 Depth=1
	s_or_b32 exec_lo, exec_lo, s7
	s_delay_alu instid0(SALU_CYCLE_1)
	s_and_b32 exec_lo, exec_lo, s4
	s_cbranch_execz .LBB14_159
; %bb.152:                              ;   in Loop: Header=BB14_12 Depth=1
	scratch_load_b32 v0, off, off offset:432 ; 4-byte Folded Reload
	s_waitcnt vmcnt(0)
	v_dual_mov_b32 v0, 0x47 :: v_dual_add_nc_u32 v1, s66, v0
	s_delay_alu instid0(VALU_DEP_1) | instskip(NEXT) | instid1(VALU_DEP_1)
	v_cmp_gt_i32_e64 s3, s8, v1
	s_and_b32 s4, s3, vcc_lo
	s_delay_alu instid0(SALU_CYCLE_1)
	s_and_saveexec_b32 s3, s4
	s_cbranch_execz .LBB14_154
; %bb.153:                              ;   in Loop: Header=BB14_12 Depth=1
	s_clause 0x1
	scratch_load_b32 v0, off, off offset:444
	scratch_load_b32 v2, off, off offset:448
	v_mad_u64_u32 v[6:7], null, v1, s9, v[218:219]
	s_waitcnt vmcnt(1)
	v_add_nc_u32_e32 v0, 0, v0
	s_delay_alu instid0(VALU_DEP_1) | instskip(SKIP_4) | instid1(VALU_DEP_1)
	v_add_nc_u32_e32 v0, 0xc0, v0
	s_waitcnt vmcnt(0)
	ds_load_2addr_stride64_b32 v[2:3], v2 offset1:13
	ds_load_2addr_stride64_b32 v[4:5], v0 offset1:13
	v_mad_u64_u32 v[0:1], null, v6, 48, v[209:210]
	v_ashrrev_i32_e32 v1, 31, v0
	s_delay_alu instid0(VALU_DEP_1) | instskip(SKIP_3) | instid1(VALU_DEP_2)
	v_lshlrev_b64 v[0:1], 3, v[0:1]
	s_waitcnt lgkmcnt(0)
	v_fma_mix_f32 v6, v4, v2, 0 op_sel_hi:[0,1,0]
	v_fma_mix_f32 v4, v4, v2, 0 op_sel:[0,1,0] op_sel_hi:[0,1,0]
	v_fma_mix_f32 v2, v5, v3, v6 op_sel_hi:[0,1,0]
	s_delay_alu instid0(VALU_DEP_2)
	v_fma_mix_f32 v3, v5, v3, v4 op_sel:[0,1,0] op_sel_hi:[0,1,0]
	v_add_co_u32 v4, vcc_lo, s62, v0
	v_add_co_ci_u32_e32 v5, vcc_lo, s49, v1, vcc_lo
	v_mov_b32_e32 v0, 0
	global_store_b64 v[4:5], v[2:3], off
.LBB14_154:                             ;   in Loop: Header=BB14_12 Depth=1
	s_or_b32 exec_lo, exec_lo, s3
	s_mov_b32 s3, -1
	s_mov_b32 s4, exec_lo
	v_cmpx_gt_i32_e32 0x47, v0
; %bb.155:                              ;   in Loop: Header=BB14_12 Depth=1
	v_cmp_eq_u32_e32 vcc_lo, 0, v0
	s_or_not1_b32 s3, vcc_lo, exec_lo
; %bb.156:                              ;   in Loop: Header=BB14_12 Depth=1
	s_or_b32 exec_lo, exec_lo, s4
	s_delay_alu instid0(SALU_CYCLE_1)
	s_and_b32 exec_lo, exec_lo, s3
	s_cbranch_execz .LBB14_159
; %bb.157:                              ;   in Loop: Header=BB14_12 Depth=1
	s_clause 0x1
	scratch_load_b32 v0, off, off offset:452
	scratch_load_b64 v[1:2], off, off offset:436
	s_waitcnt vmcnt(1)
	v_add_nc_u32_e32 v0, s66, v0
	s_waitcnt vmcnt(0)
	v_or_b32_e32 v1, s94, v1
	s_delay_alu instid0(VALU_DEP_2) | instskip(NEXT) | instid1(VALU_DEP_2)
	v_cmp_gt_i32_e32 vcc_lo, s8, v0
	v_cmp_gt_i32_e64 s3, s33, v1
	s_delay_alu instid0(VALU_DEP_1) | instskip(NEXT) | instid1(SALU_CYCLE_1)
	s_and_b32 s3, vcc_lo, s3
	s_and_b32 exec_lo, exec_lo, s3
	s_cbranch_execz .LBB14_159
; %bb.158:                              ;   in Loop: Header=BB14_12 Depth=1
	scratch_load_b32 v1, off, off offset:456 ; 4-byte Folded Reload
	s_waitcnt vmcnt(0)
	v_add_nc_u32_e32 v1, 0, v1
	s_delay_alu instid0(VALU_DEP_1)
	v_add_nc_u32_e32 v3, 0xc0, v1
	scratch_load_b32 v1, off, off offset:460 ; 4-byte Folded Reload
	s_waitcnt vmcnt(0)
	ds_load_2addr_stride64_b32 v[1:2], v1 offset1:13
	ds_load_2addr_stride64_b32 v[3:4], v3 offset1:13
	scratch_load_b64 v[7:8], off, off offset:436 ; 8-byte Folded Reload
	s_waitcnt vmcnt(0)
	v_mad_u64_u32 v[5:6], null, v0, s9, v[7:8]
	s_waitcnt lgkmcnt(0)
	v_fma_mix_f32 v8, v3, v1, 0 op_sel:[0,1,0] op_sel_hi:[0,1,0]
	s_delay_alu instid0(VALU_DEP_2) | instskip(SKIP_1) | instid1(VALU_DEP_1)
	v_mad_u64_u32 v[6:7], null, v5, 48, v[209:210]
	v_fma_mix_f32 v5, v3, v1, 0 op_sel_hi:[0,1,0]
	v_fma_mix_f32 v3, v4, v2, v5 op_sel_hi:[0,1,0]
	s_delay_alu instid0(VALU_DEP_3) | instskip(SKIP_1) | instid1(VALU_DEP_2)
	v_ashrrev_i32_e32 v7, 31, v6
	v_fma_mix_f32 v4, v4, v2, v8 op_sel:[0,1,0] op_sel_hi:[0,1,0]
	v_lshlrev_b64 v[0:1], 3, v[6:7]
	s_delay_alu instid0(VALU_DEP_1) | instskip(NEXT) | instid1(VALU_DEP_2)
	v_add_co_u32 v0, vcc_lo, s62, v0
	v_add_co_ci_u32_e32 v1, vcc_lo, s49, v1, vcc_lo
	global_store_b64 v[0:1], v[3:4], off
.LBB14_159:                             ;   in Loop: Header=BB14_12 Depth=1
	s_or_b32 exec_lo, exec_lo, s6
	scratch_load_b32 v0, off, off offset:8  ; 4-byte Folded Reload
	v_or_b32_e32 v1, s94, v123
	s_delay_alu instid0(VALU_DEP_1) | instskip(SKIP_2) | instid1(VALU_DEP_1)
	v_cmp_gt_i32_e32 vcc_lo, s33, v1
	s_waitcnt vmcnt(0)
	v_dual_mov_b32 v1, 0x47 :: v_dual_add_nc_u32 v0, s66, v0
	v_cmp_gt_i32_e64 s3, s8, v0
	s_delay_alu instid0(VALU_DEP_1) | instskip(NEXT) | instid1(SALU_CYCLE_1)
	s_and_b32 s3, s3, vcc_lo
	s_and_saveexec_b32 s4, s3
	s_cbranch_execz .LBB14_161
; %bb.160:                              ;   in Loop: Header=BB14_12 Depth=1
	s_clause 0x1
	scratch_load_b32 v1, off, off offset:28
	scratch_load_b32 v2, off, off offset:32
	v_and_b32_e32 v6, 15, v209
	s_waitcnt vmcnt(1)
	v_add_nc_u32_e32 v1, 0, v1
	s_waitcnt vmcnt(0)
	v_add_nc_u32_e32 v3, 0x80, v2
	s_delay_alu instid0(VALU_DEP_2) | instskip(SKIP_4) | instid1(VALU_DEP_1)
	v_add_nc_u32_e32 v4, 0xc0, v1
	v_mad_u64_u32 v[1:2], null, v0, s9, v[123:124]
	ds_load_2addr_stride64_b32 v[2:3], v3 offset1:13
	ds_load_2addr_stride64_b32 v[4:5], v4 offset1:13
	v_mul_lo_u32 v0, v1, 48
	v_ashrrev_i32_e32 v1, 31, v0
	v_or_b32_e32 v0, v0, v6
	s_delay_alu instid0(VALU_DEP_2) | instskip(SKIP_3) | instid1(VALU_DEP_3)
	v_or_b32_e32 v1, 0, v1
	s_waitcnt lgkmcnt(0)
	v_fma_mix_f32 v6, v4, v2, 0 op_sel_hi:[0,1,0]
	v_fma_mix_f32 v4, v4, v2, 0 op_sel:[0,1,0] op_sel_hi:[0,1,0]
	v_lshlrev_b64 v[0:1], 3, v[0:1]
	s_delay_alu instid0(VALU_DEP_3) | instskip(NEXT) | instid1(VALU_DEP_3)
	v_fma_mix_f32 v2, v5, v3, v6 op_sel_hi:[0,1,0]
	v_fma_mix_f32 v3, v5, v3, v4 op_sel:[0,1,0] op_sel_hi:[0,1,0]
	s_delay_alu instid0(VALU_DEP_3) | instskip(NEXT) | instid1(VALU_DEP_1)
	v_add_co_u32 v4, s3, s62, v0
	v_add_co_ci_u32_e64 v5, s3, s49, v1, s3
	v_mov_b32_e32 v1, 0
	global_store_b64 v[4:5], v[2:3], off offset:256
.LBB14_161:                             ;   in Loop: Header=BB14_12 Depth=1
	s_or_b32 exec_lo, exec_lo, s4
	s_mov_b32 s4, -1
	s_mov_b32 s6, exec_lo
	v_cmpx_gt_i32_e32 0x47, v1
; %bb.162:                              ;   in Loop: Header=BB14_12 Depth=1
	v_cmp_eq_u32_e64 s3, 0, v1
	s_delay_alu instid0(VALU_DEP_1)
	s_or_not1_b32 s4, s3, exec_lo
; %bb.163:                              ;   in Loop: Header=BB14_12 Depth=1
	s_or_b32 exec_lo, exec_lo, s6
	s_delay_alu instid0(SALU_CYCLE_1)
	s_and_b32 exec_lo, exec_lo, s4
	s_cbranch_execz .LBB14_196
; %bb.164:                              ;   in Loop: Header=BB14_12 Depth=1
	scratch_load_b32 v0, off, off offset:36 ; 4-byte Folded Reload
	s_waitcnt vmcnt(0)
	v_dual_mov_b32 v0, 0x47 :: v_dual_add_nc_u32 v1, s66, v0
	s_delay_alu instid0(VALU_DEP_1) | instskip(NEXT) | instid1(VALU_DEP_1)
	v_cmp_gt_i32_e64 s3, s8, v1
	s_and_b32 s3, s3, vcc_lo
	s_delay_alu instid0(SALU_CYCLE_1)
	s_and_saveexec_b32 s4, s3
	s_cbranch_execz .LBB14_166
; %bb.165:                              ;   in Loop: Header=BB14_12 Depth=1
	s_clause 0x1
	scratch_load_b32 v0, off, off offset:164
	scratch_load_b32 v2, off, off offset:168
	s_waitcnt vmcnt(1)
	v_add_nc_u32_e32 v0, 0, v0
	s_waitcnt vmcnt(0)
	v_add_nc_u32_e32 v4, 0x80, v2
	v_mad_u64_u32 v[2:3], null, v1, s9, v[123:124]
	s_delay_alu instid0(VALU_DEP_3) | instskip(SKIP_4) | instid1(VALU_DEP_2)
	v_add_nc_u32_e32 v5, 0xc0, v0
	ds_load_2addr_stride64_b32 v[0:1], v4 offset1:13
	ds_load_2addr_stride64_b32 v[3:4], v5 offset1:13
	v_mul_lo_u32 v2, v2, 48
	v_and_b32_e32 v5, 15, v209
	v_ashrrev_i32_e32 v6, 31, v2
	s_delay_alu instid0(VALU_DEP_2) | instskip(NEXT) | instid1(VALU_DEP_2)
	v_or_b32_e32 v5, v2, v5
	v_or_b32_e32 v6, 0, v6
	s_waitcnt lgkmcnt(0)
	v_fma_mix_f32 v7, v3, v0, 0 op_sel_hi:[0,1,0]
	v_fma_mix_f32 v0, v3, v0, 0 op_sel:[0,1,0] op_sel_hi:[0,1,0]
	s_delay_alu instid0(VALU_DEP_3) | instskip(NEXT) | instid1(VALU_DEP_3)
	v_lshlrev_b64 v[2:3], 3, v[5:6]
	v_fma_mix_f32 v5, v4, v1, v7 op_sel_hi:[0,1,0]
	s_delay_alu instid0(VALU_DEP_3) | instskip(SKIP_1) | instid1(VALU_DEP_4)
	v_fma_mix_f32 v6, v4, v1, v0 op_sel:[0,1,0] op_sel_hi:[0,1,0]
	v_mov_b32_e32 v0, 0
	v_add_co_u32 v1, s3, s62, v2
	s_delay_alu instid0(VALU_DEP_1)
	v_add_co_ci_u32_e64 v2, s3, s49, v3, s3
	global_store_b64 v[1:2], v[5:6], off offset:256
.LBB14_166:                             ;   in Loop: Header=BB14_12 Depth=1
	s_or_b32 exec_lo, exec_lo, s4
	s_mov_b32 s4, -1
	s_mov_b32 s6, exec_lo
	v_cmpx_gt_i32_e32 0x47, v0
; %bb.167:                              ;   in Loop: Header=BB14_12 Depth=1
	v_cmp_eq_u32_e64 s3, 0, v0
	s_delay_alu instid0(VALU_DEP_1)
	s_or_not1_b32 s4, s3, exec_lo
; %bb.168:                              ;   in Loop: Header=BB14_12 Depth=1
	s_or_b32 exec_lo, exec_lo, s6
	s_delay_alu instid0(SALU_CYCLE_1)
	s_and_b32 exec_lo, exec_lo, s4
	s_cbranch_execz .LBB14_196
; %bb.169:                              ;   in Loop: Header=BB14_12 Depth=1
	scratch_load_b32 v0, off, off offset:172 ; 4-byte Folded Reload
	s_waitcnt vmcnt(0)
	v_dual_mov_b32 v0, 0x47 :: v_dual_add_nc_u32 v1, s66, v0
	s_delay_alu instid0(VALU_DEP_1) | instskip(NEXT) | instid1(VALU_DEP_1)
	v_cmp_gt_i32_e64 s3, s8, v1
	s_and_b32 s3, s3, vcc_lo
	s_delay_alu instid0(SALU_CYCLE_1)
	s_and_saveexec_b32 s4, s3
	s_cbranch_execz .LBB14_171
; %bb.170:                              ;   in Loop: Header=BB14_12 Depth=1
	s_clause 0x1
	scratch_load_b32 v0, off, off offset:192
	scratch_load_b32 v2, off, off offset:196
	s_waitcnt vmcnt(1)
	v_add_nc_u32_e32 v0, 0, v0
	s_waitcnt vmcnt(0)
	v_add_nc_u32_e32 v4, 0x80, v2
	v_mad_u64_u32 v[2:3], null, v1, s9, v[123:124]
	s_delay_alu instid0(VALU_DEP_3) | instskip(SKIP_4) | instid1(VALU_DEP_2)
	v_add_nc_u32_e32 v5, 0xc0, v0
	ds_load_2addr_stride64_b32 v[0:1], v4 offset1:13
	ds_load_2addr_stride64_b32 v[3:4], v5 offset1:13
	v_mul_lo_u32 v2, v2, 48
	v_and_b32_e32 v5, 15, v209
	v_ashrrev_i32_e32 v6, 31, v2
	s_delay_alu instid0(VALU_DEP_2) | instskip(NEXT) | instid1(VALU_DEP_2)
	v_or_b32_e32 v5, v2, v5
	v_or_b32_e32 v6, 0, v6
	s_waitcnt lgkmcnt(0)
	v_fma_mix_f32 v7, v3, v0, 0 op_sel_hi:[0,1,0]
	v_fma_mix_f32 v0, v3, v0, 0 op_sel:[0,1,0] op_sel_hi:[0,1,0]
	s_delay_alu instid0(VALU_DEP_3) | instskip(NEXT) | instid1(VALU_DEP_3)
	v_lshlrev_b64 v[2:3], 3, v[5:6]
	v_fma_mix_f32 v5, v4, v1, v7 op_sel_hi:[0,1,0]
	s_delay_alu instid0(VALU_DEP_3) | instskip(SKIP_1) | instid1(VALU_DEP_4)
	v_fma_mix_f32 v6, v4, v1, v0 op_sel:[0,1,0] op_sel_hi:[0,1,0]
	v_mov_b32_e32 v0, 0
	v_add_co_u32 v1, s3, s62, v2
	s_delay_alu instid0(VALU_DEP_1)
	v_add_co_ci_u32_e64 v2, s3, s49, v3, s3
	global_store_b64 v[1:2], v[5:6], off offset:256
.LBB14_171:                             ;   in Loop: Header=BB14_12 Depth=1
	;; [unrolled: 56-line block ×6, first 2 shown]
	s_or_b32 exec_lo, exec_lo, s4
	s_mov_b32 s4, -1
	s_mov_b32 s6, exec_lo
	v_cmpx_gt_i32_e32 0x47, v0
; %bb.192:                              ;   in Loop: Header=BB14_12 Depth=1
	v_cmp_eq_u32_e64 s3, 0, v0
	s_delay_alu instid0(VALU_DEP_1)
	s_or_not1_b32 s4, s3, exec_lo
; %bb.193:                              ;   in Loop: Header=BB14_12 Depth=1
	s_or_b32 exec_lo, exec_lo, s6
	s_delay_alu instid0(SALU_CYCLE_1)
	s_and_b32 exec_lo, exec_lo, s4
	s_cbranch_execz .LBB14_196
; %bb.194:                              ;   in Loop: Header=BB14_12 Depth=1
	scratch_load_b32 v0, off, off offset:312 ; 4-byte Folded Reload
	s_waitcnt vmcnt(0)
	v_add_nc_u32_e32 v0, s66, v0
	s_delay_alu instid0(VALU_DEP_1) | instskip(NEXT) | instid1(VALU_DEP_1)
	v_cmp_gt_i32_e64 s3, s8, v0
	s_and_b32 s3, s3, vcc_lo
	s_delay_alu instid0(SALU_CYCLE_1)
	s_and_b32 exec_lo, exec_lo, s3
	s_cbranch_execz .LBB14_196
; %bb.195:                              ;   in Loop: Header=BB14_12 Depth=1
	s_clause 0x1
	scratch_load_b32 v1, off, off offset:332
	scratch_load_b32 v2, off, off offset:336
	v_and_b32_e32 v6, 15, v209
	s_waitcnt vmcnt(1)
	v_add_nc_u32_e32 v1, 0, v1
	s_waitcnt vmcnt(0)
	v_add_nc_u32_e32 v3, 0x80, v2
	s_delay_alu instid0(VALU_DEP_2) | instskip(SKIP_4) | instid1(VALU_DEP_1)
	v_add_nc_u32_e32 v4, 0xc0, v1
	v_mad_u64_u32 v[1:2], null, v0, s9, v[123:124]
	ds_load_2addr_stride64_b32 v[2:3], v3 offset1:13
	ds_load_2addr_stride64_b32 v[4:5], v4 offset1:13
	v_mul_lo_u32 v0, v1, 48
	v_ashrrev_i32_e32 v1, 31, v0
	v_or_b32_e32 v0, v0, v6
	s_delay_alu instid0(VALU_DEP_2) | instskip(SKIP_3) | instid1(VALU_DEP_3)
	v_or_b32_e32 v1, 0, v1
	s_waitcnt lgkmcnt(0)
	v_fma_mix_f32 v6, v4, v2, 0 op_sel_hi:[0,1,0]
	v_fma_mix_f32 v4, v4, v2, 0 op_sel:[0,1,0] op_sel_hi:[0,1,0]
	v_lshlrev_b64 v[0:1], 3, v[0:1]
	s_delay_alu instid0(VALU_DEP_3) | instskip(NEXT) | instid1(VALU_DEP_3)
	v_fma_mix_f32 v2, v5, v3, v6 op_sel_hi:[0,1,0]
	v_fma_mix_f32 v3, v5, v3, v4 op_sel:[0,1,0] op_sel_hi:[0,1,0]
	s_delay_alu instid0(VALU_DEP_3) | instskip(NEXT) | instid1(VALU_DEP_4)
	v_add_co_u32 v0, vcc_lo, s62, v0
	v_add_co_ci_u32_e32 v1, vcc_lo, s49, v1, vcc_lo
	global_store_b64 v[0:1], v[2:3], off offset:256
.LBB14_196:                             ;   in Loop: Header=BB14_12 Depth=1
	s_or_b32 exec_lo, exec_lo, s5
	s_waitcnt_vscnt null, 0x0
	s_barrier
	s_branch .LBB14_11
.LBB14_197:                             ;   in Loop: Header=BB14_12 Depth=1
	s_lshl_b32 s74, s46, 3
	v_cmp_gt_i32_e32 vcc_lo, s33, v176
	v_add_nc_u32_e32 v0, s74, v187
	s_xor_b32 s4, vcc_lo, -1
	s_delay_alu instid0(VALU_DEP_1) | instskip(NEXT) | instid1(VALU_DEP_1)
	v_cmp_le_i32_e64 s3, s8, v0
	s_or_b32 s3, s3, s4
	s_delay_alu instid0(SALU_CYCLE_1) | instskip(NEXT) | instid1(SALU_CYCLE_1)
	s_and_saveexec_b32 s5, s3
	s_xor_b32 s3, exec_lo, s5
	s_cbranch_execz .LBB14_199
; %bb.198:                              ;   in Loop: Header=BB14_12 Depth=1
	ds_store_b32 v202, v234
                                        ; implicit-def: $vgpr0
.LBB14_199:                             ;   in Loop: Header=BB14_12 Depth=1
	s_and_not1_saveexec_b32 s3, s3
	s_cbranch_execz .LBB14_201
; %bb.200:                              ;   in Loop: Header=BB14_12 Depth=1
	v_mad_u64_u32 v[1:2], null, v0, s59, v[133:134]
	s_delay_alu instid0(VALU_DEP_1) | instskip(NEXT) | instid1(VALU_DEP_1)
	v_ashrrev_i32_e32 v2, 31, v1
	v_lshlrev_b64 v[0:1], 3, v[1:2]
	s_delay_alu instid0(VALU_DEP_1) | instskip(NEXT) | instid1(VALU_DEP_2)
	v_add_co_u32 v0, vcc_lo, s63, v0
	v_add_co_ci_u32_e32 v1, vcc_lo, s15, v1, vcc_lo
	global_load_b64 v[0:1], v[0:1], off
	s_waitcnt vmcnt(0)
	v_cvt_f16_f32_e32 v0, v0
	v_cvt_f16_f32_e32 v1, v1
	s_delay_alu instid0(VALU_DEP_1) | instskip(NEXT) | instid1(VALU_DEP_1)
	v_pack_b32_f16 v0, v0, v1
	v_pk_mul_f16 v0, v179, v0
	ds_store_b32 v202, v0
.LBB14_201:                             ;   in Loop: Header=BB14_12 Depth=1
	s_or_b32 exec_lo, exec_lo, s3
	v_add_nc_u32_e32 v0, s74, v127
	s_delay_alu instid0(VALU_DEP_1) | instskip(SKIP_1) | instid1(SALU_CYCLE_1)
	v_cmp_le_i32_e32 vcc_lo, s8, v0
	s_or_b32 s3, vcc_lo, s4
	s_and_saveexec_b32 s5, s3
	s_delay_alu instid0(SALU_CYCLE_1)
	s_xor_b32 s3, exec_lo, s5
	s_cbranch_execz .LBB14_203
; %bb.202:                              ;   in Loop: Header=BB14_12 Depth=1
	ds_store_b32 v202, v234 offset:832
                                        ; implicit-def: $vgpr0
.LBB14_203:                             ;   in Loop: Header=BB14_12 Depth=1
	s_and_not1_saveexec_b32 s3, s3
	s_cbranch_execz .LBB14_205
; %bb.204:                              ;   in Loop: Header=BB14_12 Depth=1
	v_mad_u64_u32 v[1:2], null, v0, s59, v[133:134]
	s_delay_alu instid0(VALU_DEP_1) | instskip(NEXT) | instid1(VALU_DEP_1)
	v_ashrrev_i32_e32 v2, 31, v1
	v_lshlrev_b64 v[0:1], 3, v[1:2]
	s_delay_alu instid0(VALU_DEP_1) | instskip(NEXT) | instid1(VALU_DEP_2)
	v_add_co_u32 v0, vcc_lo, s63, v0
	v_add_co_ci_u32_e32 v1, vcc_lo, s15, v1, vcc_lo
	global_load_b64 v[0:1], v[0:1], off
	s_waitcnt vmcnt(0)
	v_cvt_f16_f32_e32 v0, v0
	v_cvt_f16_f32_e32 v1, v1
	s_delay_alu instid0(VALU_DEP_1) | instskip(NEXT) | instid1(VALU_DEP_1)
	v_pack_b32_f16 v0, v0, v1
	v_pk_mul_f16 v0, v179, v0
	ds_store_b32 v202, v0 offset:832
.LBB14_205:                             ;   in Loop: Header=BB14_12 Depth=1
	s_or_b32 exec_lo, exec_lo, s3
	v_add_nc_u32_e32 v0, s74, v219
	s_delay_alu instid0(VALU_DEP_1) | instskip(SKIP_1) | instid1(SALU_CYCLE_1)
	v_cmp_le_i32_e32 vcc_lo, s8, v0
	s_or_b32 s3, vcc_lo, s4
	s_and_saveexec_b32 s5, s3
	s_delay_alu instid0(SALU_CYCLE_1)
	s_xor_b32 s3, exec_lo, s5
	s_cbranch_execz .LBB14_207
; %bb.206:                              ;   in Loop: Header=BB14_12 Depth=1
	ds_store_b32 v202, v234 offset:1664
                                        ; implicit-def: $vgpr0
.LBB14_207:                             ;   in Loop: Header=BB14_12 Depth=1
	s_and_not1_saveexec_b32 s3, s3
	s_cbranch_execz .LBB14_209
; %bb.208:                              ;   in Loop: Header=BB14_12 Depth=1
	v_mad_u64_u32 v[1:2], null, v0, s59, v[133:134]
	s_delay_alu instid0(VALU_DEP_1) | instskip(NEXT) | instid1(VALU_DEP_1)
	v_ashrrev_i32_e32 v2, 31, v1
	v_lshlrev_b64 v[0:1], 3, v[1:2]
	s_delay_alu instid0(VALU_DEP_1) | instskip(NEXT) | instid1(VALU_DEP_2)
	v_add_co_u32 v0, vcc_lo, s63, v0
	v_add_co_ci_u32_e32 v1, vcc_lo, s15, v1, vcc_lo
	global_load_b64 v[0:1], v[0:1], off
	s_waitcnt vmcnt(0)
	v_cvt_f16_f32_e32 v0, v0
	v_cvt_f16_f32_e32 v1, v1
	s_delay_alu instid0(VALU_DEP_1) | instskip(NEXT) | instid1(VALU_DEP_1)
	v_pack_b32_f16 v0, v0, v1
	v_pk_mul_f16 v0, v179, v0
	ds_store_b32 v202, v0 offset:1664
.LBB14_209:                             ;   in Loop: Header=BB14_12 Depth=1
	;; [unrolled: 32-line block ×7, first 2 shown]
	s_or_b32 exec_lo, exec_lo, s3
	v_or_b32_e32 v1, s94, v207
	v_add_nc_u32_e32 v0, s74, v206
	s_delay_alu instid0(VALU_DEP_2) | instskip(NEXT) | instid1(VALU_DEP_2)
	v_cmp_gt_i32_e32 vcc_lo, s33, v1
	v_cmp_le_i32_e64 s3, s8, v0
	s_xor_b32 s4, vcc_lo, -1
	s_delay_alu instid0(VALU_DEP_1) | instid1(SALU_CYCLE_1)
	s_or_b32 s3, s3, s4
	s_delay_alu instid0(SALU_CYCLE_1) | instskip(NEXT) | instid1(SALU_CYCLE_1)
	s_and_saveexec_b32 s5, s3
	s_xor_b32 s3, exec_lo, s5
	s_cbranch_execz .LBB14_231
; %bb.230:                              ;   in Loop: Header=BB14_12 Depth=1
	ds_store_b32 v203, v234 offset:128
                                        ; implicit-def: $vgpr0
.LBB14_231:                             ;   in Loop: Header=BB14_12 Depth=1
	s_and_not1_saveexec_b32 s3, s3
	s_cbranch_execz .LBB14_233
; %bb.232:                              ;   in Loop: Header=BB14_12 Depth=1
	v_mad_u64_u32 v[1:2], null, v0, s59, v[124:125]
	s_delay_alu instid0(VALU_DEP_1) | instskip(NEXT) | instid1(VALU_DEP_1)
	v_ashrrev_i32_e32 v2, 31, v1
	v_lshlrev_b64 v[0:1], 3, v[1:2]
	s_delay_alu instid0(VALU_DEP_1) | instskip(NEXT) | instid1(VALU_DEP_2)
	v_add_co_u32 v0, vcc_lo, s63, v0
	v_add_co_ci_u32_e32 v1, vcc_lo, s15, v1, vcc_lo
	global_load_b64 v[0:1], v[0:1], off
	s_waitcnt vmcnt(0)
	v_cvt_f16_f32_e32 v0, v0
	v_cvt_f16_f32_e32 v1, v1
	s_delay_alu instid0(VALU_DEP_1) | instskip(NEXT) | instid1(VALU_DEP_1)
	v_pack_b32_f16 v0, v0, v1
	v_pk_mul_f16 v0, v179, v0
	ds_store_b32 v203, v0 offset:128
.LBB14_233:                             ;   in Loop: Header=BB14_12 Depth=1
	s_or_b32 exec_lo, exec_lo, s3
	v_add_nc_u32_e32 v0, s74, v205
	s_delay_alu instid0(VALU_DEP_1) | instskip(SKIP_1) | instid1(SALU_CYCLE_1)
	v_cmp_le_i32_e32 vcc_lo, s8, v0
	s_or_b32 s3, vcc_lo, s4
	s_and_saveexec_b32 s5, s3
	s_delay_alu instid0(SALU_CYCLE_1)
	s_xor_b32 s3, exec_lo, s5
	s_cbranch_execz .LBB14_235
; %bb.234:                              ;   in Loop: Header=BB14_12 Depth=1
	ds_store_b32 v203, v234 offset:1792
                                        ; implicit-def: $vgpr0
.LBB14_235:                             ;   in Loop: Header=BB14_12 Depth=1
	s_and_not1_saveexec_b32 s3, s3
	s_cbranch_execz .LBB14_237
; %bb.236:                              ;   in Loop: Header=BB14_12 Depth=1
	v_mad_u64_u32 v[1:2], null, v0, s59, v[124:125]
	s_delay_alu instid0(VALU_DEP_1) | instskip(NEXT) | instid1(VALU_DEP_1)
	v_ashrrev_i32_e32 v2, 31, v1
	v_lshlrev_b64 v[0:1], 3, v[1:2]
	s_delay_alu instid0(VALU_DEP_1) | instskip(NEXT) | instid1(VALU_DEP_2)
	v_add_co_u32 v0, vcc_lo, s63, v0
	v_add_co_ci_u32_e32 v1, vcc_lo, s15, v1, vcc_lo
	global_load_b64 v[0:1], v[0:1], off
	s_waitcnt vmcnt(0)
	v_cvt_f16_f32_e32 v0, v0
	v_cvt_f16_f32_e32 v1, v1
	s_delay_alu instid0(VALU_DEP_1) | instskip(NEXT) | instid1(VALU_DEP_1)
	v_pack_b32_f16 v0, v0, v1
	v_pk_mul_f16 v0, v179, v0
	ds_store_b32 v203, v0 offset:1792
.LBB14_237:                             ;   in Loop: Header=BB14_12 Depth=1
	s_or_b32 exec_lo, exec_lo, s3
	v_add_nc_u32_e32 v0, s74, v244
	s_delay_alu instid0(VALU_DEP_1) | instskip(SKIP_1) | instid1(SALU_CYCLE_1)
	v_cmp_le_i32_e32 vcc_lo, s8, v0
	s_or_b32 s3, vcc_lo, s4
	s_and_saveexec_b32 s5, s3
	s_delay_alu instid0(SALU_CYCLE_1)
	;; [unrolled: 32-line block ×3, first 2 shown]
	s_xor_b32 s3, exec_lo, s4
	s_cbranch_execz .LBB14_243
; %bb.242:                              ;   in Loop: Header=BB14_12 Depth=1
	ds_store_b32 v203, v234 offset:5120
                                        ; implicit-def: $vgpr0
.LBB14_243:                             ;   in Loop: Header=BB14_12 Depth=1
	s_and_not1_saveexec_b32 s3, s3
	s_cbranch_execz .LBB14_245
; %bb.244:                              ;   in Loop: Header=BB14_12 Depth=1
	v_mad_u64_u32 v[1:2], null, v0, s59, v[124:125]
	s_delay_alu instid0(VALU_DEP_1) | instskip(NEXT) | instid1(VALU_DEP_1)
	v_ashrrev_i32_e32 v2, 31, v1
	v_lshlrev_b64 v[0:1], 3, v[1:2]
	s_delay_alu instid0(VALU_DEP_1) | instskip(NEXT) | instid1(VALU_DEP_2)
	v_add_co_u32 v0, vcc_lo, s63, v0
	v_add_co_ci_u32_e32 v1, vcc_lo, s15, v1, vcc_lo
	global_load_b64 v[0:1], v[0:1], off
	s_waitcnt vmcnt(0)
	v_cvt_f16_f32_e32 v0, v0
	v_cvt_f16_f32_e32 v1, v1
	s_delay_alu instid0(VALU_DEP_1) | instskip(NEXT) | instid1(VALU_DEP_1)
	v_pack_b32_f16 v0, v0, v1
	v_pk_mul_f16 v0, v179, v0
	ds_store_b32 v203, v0 offset:5120
.LBB14_245:                             ;   in Loop: Header=BB14_12 Depth=1
	s_or_b32 exec_lo, exec_lo, s3
	v_add_nc_u32_e32 v0, v197, v132
	s_waitcnt lgkmcnt(0)
	s_waitcnt_vscnt null, 0x0
	s_barrier
	buffer_gl0_inv
	s_cmp_gt_i32 s99, 1
	ds_load_b128 v[32:35], v0
	ds_load_b128 v[36:39], v0 offset:16
	ds_load_b128 v[24:27], v0 offset:32
	;; [unrolled: 1-line block ×11, first 2 shown]
	s_waitcnt lgkmcnt(0)
	s_barrier
	buffer_gl0_inv
	s_cbranch_scc1 .LBB14_247
; %bb.246:                              ;   in Loop: Header=BB14_12 Depth=1
	v_add_nc_u32_e32 v0, s74, v210
	v_dual_mov_b32 v144, 32 :: v_dual_add_nc_u32 v1, s74, v251
	v_xor_b32_e32 v125, 16, v252
	s_mov_b32 s6, 0
	s_delay_alu instid0(VALU_DEP_3) | instskip(NEXT) | instid1(VALU_DEP_3)
	v_mul_hi_u32 v2, s34, v0
	v_mul_hi_u32 v3, s34, v1
	s_mov_b32 s3, 0xfeffffff
	s_delay_alu instid0(VALU_DEP_2) | instskip(NEXT) | instid1(VALU_DEP_2)
	v_add_nc_u32_e32 v2, v0, v2
	v_add_nc_u32_e32 v3, v1, v3
	s_delay_alu instid0(VALU_DEP_2) | instskip(NEXT) | instid1(VALU_DEP_2)
	v_lshrrev_b32_e32 v2, s35, v2
	v_lshrrev_b32_e32 v3, s35, v3
	s_delay_alu instid0(VALU_DEP_2) | instskip(NEXT) | instid1(VALU_DEP_2)
	v_mul_lo_u32 v2, v2, s8
	v_mul_lo_u32 v3, v3, s8
	s_delay_alu instid0(VALU_DEP_2) | instskip(NEXT) | instid1(VALU_DEP_2)
	v_sub_nc_u32_e32 v0, v0, v2
	v_sub_nc_u32_e32 v1, v1, v3
	s_delay_alu instid0(VALU_DEP_2) | instskip(NEXT) | instid1(VALU_DEP_2)
	v_mad_i64_i32 v[137:138], null, v0, s82, 0
	v_mad_i64_i32 v[135:136], null, v1, s82, 0
	s_branch .LBB14_248
.LBB14_247:                             ;   in Loop: Header=BB14_12 Depth=1
	s_mov_b32 s6, -1
                                        ; implicit-def: $sgpr3
                                        ; implicit-def: $vgpr137_vgpr138
                                        ; implicit-def: $vgpr135_vgpr136
                                        ; implicit-def: $vgpr125
                                        ; implicit-def: $vgpr144
.LBB14_248:                             ;   in Loop: Header=BB14_12 Depth=1
	s_delay_alu instid0(SALU_CYCLE_1)
	v_dual_mov_b32 v15, s6 :: v_dual_mov_b32 v14, s6
	v_dual_mov_b32 v143, s6 :: v_dual_mov_b32 v12, s6
	;; [unrolled: 1-line block ×12, first 2 shown]
	v_mov_b32_e32 v3, s6
	v_mov_b32_e32 v1, s6
	s_and_not1_b32 vcc_lo, exec_lo, s6
	s_cbranch_vccnz .LBB14_251
; %bb.249:                              ;   in Loop: Header=BB14_12 Depth=1
	s_clause 0x1
	scratch_load_b32 v4, off, off offset:140
	scratch_load_b32 v74, off, off offset:44
	v_dual_mov_b32 v143, 0 :: v_dual_add_nc_u32 v0, s74, v210
	v_add_nc_u32_e32 v1, s74, v251
	v_readlane_b32 s4, v255, 8
	v_xor_b32_e32 v125, 16, v252
	s_delay_alu instid0(VALU_DEP_4)
	v_mul_hi_u32 v2, s34, v0
	s_add_i32 s6, s99, -1
	v_mul_hi_u32 v3, s34, v1
	s_add_u32 s3, s104, s64
	v_readlane_b32 s5, v255, 9
	s_mov_b32 s7, s6
	v_dual_mov_b32 v145, 0xfeffffff :: v_dual_mov_b32 v144, 32
	s_delay_alu instid0(VALU_DEP_4) | instskip(NEXT) | instid1(VALU_DEP_4)
	v_add_nc_u32_e32 v2, v0, v2
	v_add_nc_u32_e32 v3, v1, v3
	s_delay_alu instid0(VALU_DEP_2) | instskip(NEXT) | instid1(VALU_DEP_2)
	v_lshrrev_b32_e32 v2, s35, v2
	v_lshrrev_b32_e32 v3, s35, v3
	s_delay_alu instid0(VALU_DEP_2) | instskip(NEXT) | instid1(VALU_DEP_2)
	v_mul_lo_u32 v2, v2, s8
	v_mul_lo_u32 v3, v3, s8
	s_delay_alu instid0(VALU_DEP_2) | instskip(NEXT) | instid1(VALU_DEP_2)
	v_sub_nc_u32_e32 v72, v0, v2
	v_sub_nc_u32_e32 v73, v1, v3
	s_delay_alu instid0(VALU_DEP_2) | instskip(NEXT) | instid1(VALU_DEP_2)
	v_mad_i64_i32 v[0:1], null, s4, v72, v[88:89]
	v_mad_i64_i32 v[2:3], null, s4, v73, v[88:89]
	;; [unrolled: 1-line block ×3, first 2 shown]
	scratch_load_b32 v72, off, off offset:76 ; 4-byte Folded Reload
	s_addc_u32 s4, vcc_hi, s60
	s_add_u32 s5, s100, s102
	s_addc_u32 s14, s101, s103
	v_mad_i64_i32 v[135:136], null, v73, s82, 0
	s_waitcnt vmcnt(2)
	v_add_co_u32 v139, vcc_lo, v4, v0
	v_add_co_ci_u32_e32 v140, vcc_lo, v248, v1, vcc_lo
	v_add_co_u32 v141, vcc_lo, v4, v2
	v_add_co_ci_u32_e32 v142, vcc_lo, v248, v3, vcc_lo
	v_cmp_gt_i32_e32 vcc_lo, 32, v125
	v_mov_b32_e32 v0, 0
	v_cndmask_b32_e32 v8, v252, v125, vcc_lo
	s_delay_alu instid0(VALU_DEP_2)
	v_mov_b32_e32 v2, v0
	s_waitcnt vmcnt(1)
	v_add_co_u32 v147, vcc_lo, v74, s3
	scratch_load_b32 v74, off, off offset:48 ; 4-byte Folded Reload
	v_dual_mov_b32 v1, v0 :: v_dual_lshlrev_b32 v146, 2, v8
	v_mov_b32_e32 v3, v0
	v_mov_b32_e32 v4, v0
	;; [unrolled: 1-line block ×21, first 2 shown]
	s_waitcnt vmcnt(0)
	v_add_co_ci_u32_e32 v148, vcc_lo, s4, v74, vcc_lo
	scratch_load_b32 v74, off, off offset:52 ; 4-byte Folded Reload
	s_waitcnt vmcnt(0)
	v_add_co_u32 v149, vcc_lo, v74, s3
	scratch_load_b32 v74, off, off offset:56 ; 4-byte Folded Reload
	s_waitcnt vmcnt(0)
	v_add_co_ci_u32_e32 v150, vcc_lo, s4, v74, vcc_lo
	v_add_co_u32 v151, vcc_lo, v72, s3
	scratch_load_b32 v72, off, off offset:80 ; 4-byte Folded Reload
	s_waitcnt vmcnt(0)
	v_add_co_ci_u32_e32 v152, vcc_lo, s4, v72, vcc_lo
	scratch_load_b32 v72, off, off offset:84 ; 4-byte Folded Reload
	s_waitcnt vmcnt(0)
	v_add_co_u32 v153, vcc_lo, v72, s3
	scratch_load_b32 v72, off, off offset:88 ; 4-byte Folded Reload
	s_waitcnt vmcnt(0)
	v_add_co_ci_u32_e32 v154, vcc_lo, s4, v72, vcc_lo
	scratch_load_b32 v72, off, off offset:92 ; 4-byte Folded Reload
	s_waitcnt vmcnt(0)
	;; [unrolled: 6-line block ×9, first 2 shown]
	v_add_co_u32 v169, vcc_lo, v72, s5
	scratch_load_b32 v72, off, off offset:136 ; 4-byte Folded Reload
	s_waitcnt vmcnt(0)
	v_add_co_ci_u32_e32 v170, vcc_lo, s14, v72, vcc_lo
.LBB14_250:                             ;   Parent Loop BB14_12 Depth=1
                                        ; =>  This Inner Loop Header: Depth=2
	global_load_b32 v74, v[139:140], off
	global_load_b32 v76, v[141:142], off
	v_add_nc_u32_e32 v75, v201, v128
	v_dual_mov_b32 v97, s43 :: v_dual_add_nc_u32 v98, v237, v198
	v_mov_b32_e32 v96, s42
	s_delay_alu instid0(VALU_DEP_3)
	v_dual_mov_b32 v94, s40 :: v_dual_add_nc_u32 v75, 0x3400, v75
	v_dual_mov_b32 v95, s41 :: v_dual_mov_b32 v92, s38
	v_dual_mov_b32 v93, s39 :: v_dual_mov_b32 v90, s36
	v_mov_b32_e32 v91, s37
	v_dual_mov_b32 v73, v145 :: v_dual_mov_b32 v72, v143
	v_cmp_eq_u32_e64 s3, 0, v224
	v_cmp_eq_u32_e64 s4, 0, v188
	;; [unrolled: 1-line block ×3, first 2 shown]
	s_add_i32 s7, s7, -1
	v_add_nc_u32_e32 v189, 0x800, v193
	s_cmp_lg_u32 s7, 0
	s_waitcnt vmcnt(0)
	ds_store_2addr_b32 v75, v74, v76 offset1:144
	v_add_co_u32 v74, vcc_lo, v159, v126
	v_add_co_ci_u32_e32 v75, vcc_lo, 0, v160, vcc_lo
	global_load_b128 v[74:77], v[74:75], off
	s_waitcnt vmcnt(0)
	ds_store_b128 v199, v[74:77]
	v_add_co_u32 v74, vcc_lo, v161, v126
	v_add_co_ci_u32_e32 v75, vcc_lo, 0, v162, vcc_lo
	global_load_b128 v[74:77], v[74:75], off
	s_waitcnt vmcnt(0)
	ds_store_b128 v200, v[74:77]
	;; [unrolled: 5-line block ×6, first 2 shown]
	s_waitcnt lgkmcnt(0)
	s_barrier
	buffer_gl0_inv
	ds_load_b128 v[74:77], v98
	ds_load_b128 v[78:81], v98 offset:16
	ds_load_b128 v[82:85], v98 offset:32
	;; [unrolled: 1-line block ×3, first 2 shown]
	s_waitcnt lgkmcnt(2)
	v_wmma_f32_16x16x16_f16 v[171:178], v[74:81], v[32:39], v[90:97]
	ds_load_b128 v[74:77], v98 offset:64
	ds_load_b128 v[78:81], v98 offset:80
	s_waitcnt lgkmcnt(2)
	v_wmma_f32_16x16x16_f16 v[171:178], v[82:89], v[24:31], v[171:178]
	s_waitcnt lgkmcnt(0)
	s_delay_alu instid0(VALU_DEP_1)
	v_wmma_f32_16x16x16_f16 v[171:178], v[74:81], v[40:47], v[171:178]
	ds_load_b128 v[74:77], v98 offset:96
	ds_load_b128 v[78:81], v98 offset:112
	s_waitcnt lgkmcnt(0)
	v_wmma_f32_16x16x16_f16 v[171:178], v[74:81], v[48:55], v[171:178]
	ds_load_b128 v[74:77], v98 offset:128
	ds_load_b128 v[78:81], v98 offset:144
	s_waitcnt lgkmcnt(0)
	;; [unrolled: 4-line block ×9, first 2 shown]
	s_barrier
	buffer_gl0_inv
	v_wmma_f32_16x16x16_f16 v[82:89], v[74:81], v[64:71], v[82:89]
	ds_load_u16 v74, v192 offset:13312
	ds_load_u16 v75, v192 offset:13316
	;; [unrolled: 1-line block ×16, first 2 shown]
	s_waitcnt lgkmcnt(15)
	v_cvt_f32_f16_e32 v74, v74
	s_waitcnt lgkmcnt(14)
	v_cvt_f32_f16_e32 v75, v75
	;; [unrolled: 2-line block ×4, first 2 shown]
	v_cvt_f32_f16_e32 v77, v77
	v_cvt_f32_f16_e32 v78, v78
	v_dual_add_f32 v75, v172, v75 :: v_dual_add_f32 v76, v173, v76
	s_delay_alu instid0(VALU_DEP_4)
	v_add_f32_e32 v82, v82, v90
	s_waitcnt lgkmcnt(6)
	v_cvt_f32_f16_e32 v90, v91
	v_dual_add_f32 v77, v174, v77 :: v_dual_add_f32 v78, v175, v78
	v_cvt_f32_f16_e32 v81, v81
	v_cvt_f32_f16_e32 v79, v79
	s_delay_alu instid0(VALU_DEP_4)
	v_add_f32_e32 v83, v83, v90
	s_waitcnt lgkmcnt(5)
	v_cvt_f32_f16_e32 v90, v92
	v_add_f32_e32 v92, 0x40051340, v77
	v_cvt_f32_f16_e32 v80, v80
	v_add_f32_e32 v81, v178, v81
	v_add_f32_e32 v79, v176, v79
	;; [unrolled: 1-line block ×3, first 2 shown]
	s_waitcnt lgkmcnt(4)
	v_cvt_f32_f16_e32 v90, v93
	v_add_f32_e32 v80, v177, v80
	v_dual_add_f32 v74, v171, v74 :: v_dual_add_f32 v91, 0x40051340, v75
	s_delay_alu instid0(VALU_DEP_3) | instskip(SKIP_2) | instid1(VALU_DEP_1)
	v_add_f32_e32 v85, v85, v90
	s_waitcnt lgkmcnt(3)
	v_cvt_f32_f16_e32 v90, v94
	v_add_f32_e32 v86, v86, v90
	s_waitcnt lgkmcnt(2)
	v_cvt_f32_f16_e32 v90, v95
	s_delay_alu instid0(VALU_DEP_1) | instskip(SKIP_2) | instid1(VALU_DEP_1)
	v_add_f32_e32 v87, v87, v90
	s_waitcnt lgkmcnt(1)
	v_cvt_f32_f16_e32 v90, v96
	v_add_f32_e32 v88, v88, v90
	s_waitcnt lgkmcnt(0)
	v_cvt_f32_f16_e32 v90, v97
	s_delay_alu instid0(VALU_DEP_1) | instskip(SKIP_1) | instid1(VALU_DEP_1)
	v_add_f32_e32 v89, v89, v90
	v_add_f32_e32 v90, 0x40051340, v74
	v_max3_f32 v90, v73, v90, v91
	v_add_f32_e32 v91, 0x40051340, v76
	s_delay_alu instid0(VALU_DEP_1) | instskip(SKIP_1) | instid1(VALU_DEP_1)
	v_max3_f32 v90, v90, v91, v92
	v_dual_add_f32 v92, 0x40051340, v79 :: v_dual_add_f32 v91, 0x40051340, v78
	v_max3_f32 v90, v90, v91, v92
	v_dual_add_f32 v91, 0x40051340, v80 :: v_dual_add_f32 v92, 0x40051340, v81
	s_delay_alu instid0(VALU_DEP_1) | instskip(SKIP_1) | instid1(VALU_DEP_1)
	v_max3_f32 v90, v90, v91, v92
	v_dual_add_f32 v91, 0x40051340, v82 :: v_dual_add_f32 v92, 0x40051340, v83
	v_max3_f32 v90, v90, v91, v92
	v_dual_add_f32 v91, 0x40051340, v84 :: v_dual_add_f32 v92, 0x40051340, v85
	;; [unrolled: 5-line block ×3, first 2 shown]
	s_delay_alu instid0(VALU_DEP_1) | instskip(SKIP_3) | instid1(VALU_DEP_1)
	v_max3_f32 v90, v90, v91, v92
	ds_bpermute_b32 v91, v146, v90
	s_waitcnt lgkmcnt(0)
	v_max_f32_e32 v91, v91, v91
	v_max_f32_e32 v145, v90, v91
	s_delay_alu instid0(VALU_DEP_1) | instskip(NEXT) | instid1(VALU_DEP_1)
	v_sub_f32_e32 v74, v74, v145
	v_mul_f32_e32 v90, 0x3fb8aa3b, v74
	v_cmp_ngt_f32_e32 vcc_lo, 0xc2ce8ed0, v74
	s_delay_alu instid0(VALU_DEP_2) | instskip(SKIP_1) | instid1(VALU_DEP_1)
	v_fma_f32 v91, 0x3fb8aa3b, v74, -v90
	v_rndne_f32_e32 v92, v90
	v_dual_fmac_f32 v91, 0x32a5705f, v74 :: v_dual_sub_f32 v90, v90, v92
	s_delay_alu instid0(VALU_DEP_1) | instskip(SKIP_1) | instid1(VALU_DEP_2)
	v_add_f32_e32 v90, v90, v91
	v_cvt_i32_f32_e32 v91, v92
	v_exp_f32_e32 v90, v90
	s_waitcnt_depctr 0xfff
	v_ldexp_f32 v90, v90, v91
	s_delay_alu instid0(VALU_DEP_1)
	v_dual_cndmask_b32 v90, 0, v90 :: v_dual_sub_f32 v75, v75, v145
	v_cmp_nlt_f32_e32 vcc_lo, 0x42b17218, v74
	v_sub_f32_e32 v76, v76, v145
	v_sub_f32_e32 v77, v77, v145
	;; [unrolled: 1-line block ×4, first 2 shown]
	v_cndmask_b32_e32 v74, 0x7f800000, v90, vcc_lo
	v_mul_f32_e32 v90, 0x3fb8aa3b, v75
	v_cmp_ngt_f32_e32 vcc_lo, 0xc2ce8ed0, v75
	v_sub_f32_e32 v79, v79, v145
	v_sub_f32_e32 v81, v81, v145
	v_sub_f32_e32 v73, v73, v145
	v_fma_f32 v91, 0x3fb8aa3b, v75, -v90
	v_rndne_f32_e32 v92, v90
	s_delay_alu instid0(VALU_DEP_1) | instskip(NEXT) | instid1(VALU_DEP_1)
	v_dual_fmac_f32 v91, 0x32a5705f, v75 :: v_dual_sub_f32 v90, v90, v92
	v_add_f32_e32 v90, v90, v91
	v_cvt_i32_f32_e32 v91, v92
	s_delay_alu instid0(VALU_DEP_2) | instskip(SKIP_3) | instid1(VALU_DEP_1)
	v_exp_f32_e32 v90, v90
	s_waitcnt_depctr 0xfff
	v_ldexp_f32 v90, v90, v91
	v_mul_f32_e32 v91, 0x3fb8aa3b, v76
	v_fma_f32 v92, 0x3fb8aa3b, v76, -v91
	v_rndne_f32_e32 v93, v91
	s_delay_alu instid0(VALU_DEP_1) | instskip(NEXT) | instid1(VALU_DEP_1)
	v_dual_fmac_f32 v92, 0x32a5705f, v76 :: v_dual_sub_f32 v91, v91, v93
	v_add_f32_e32 v91, v91, v92
	v_cvt_i32_f32_e32 v92, v93
	s_delay_alu instid0(VALU_DEP_2) | instskip(SKIP_4) | instid1(VALU_DEP_2)
	v_exp_f32_e32 v91, v91
	s_waitcnt_depctr 0xfff
	v_ldexp_f32 v91, v91, v92
	v_cndmask_b32_e32 v90, 0, v90, vcc_lo
	v_cmp_nlt_f32_e32 vcc_lo, 0x42b17218, v75
	v_cndmask_b32_e32 v75, 0x7f800000, v90, vcc_lo
	v_cmp_ngt_f32_e32 vcc_lo, 0xc2ce8ed0, v76
	s_delay_alu instid0(VALU_DEP_2) | instskip(SKIP_2) | instid1(VALU_DEP_2)
	v_add_f32_e32 v90, v74, v75
	v_cndmask_b32_e32 v91, 0, v91, vcc_lo
	v_cmp_nlt_f32_e32 vcc_lo, 0x42b17218, v76
	v_cndmask_b32_e32 v76, 0x7f800000, v91, vcc_lo
	v_mul_f32_e32 v91, 0x3fb8aa3b, v77
	v_cmp_ngt_f32_e32 vcc_lo, 0xc2ce8ed0, v77
	s_delay_alu instid0(VALU_DEP_2) | instskip(SKIP_1) | instid1(VALU_DEP_2)
	v_fma_f32 v92, 0x3fb8aa3b, v77, -v91
	v_rndne_f32_e32 v93, v91
	v_fmac_f32_e32 v92, 0x32a5705f, v77
	s_delay_alu instid0(VALU_DEP_2) | instskip(NEXT) | instid1(VALU_DEP_1)
	v_sub_f32_e32 v91, v91, v93
	v_add_f32_e32 v91, v91, v92
	v_cvt_i32_f32_e32 v92, v93
	s_delay_alu instid0(VALU_DEP_2) | instskip(SKIP_2) | instid1(VALU_DEP_1)
	v_exp_f32_e32 v91, v91
	s_waitcnt_depctr 0xfff
	v_ldexp_f32 v91, v91, v92
	v_cndmask_b32_e32 v91, 0, v91, vcc_lo
	v_cmp_nlt_f32_e32 vcc_lo, 0x42b17218, v77
	s_delay_alu instid0(VALU_DEP_2) | instskip(SKIP_2) | instid1(VALU_DEP_2)
	v_cndmask_b32_e32 v77, 0x7f800000, v91, vcc_lo
	v_mul_f32_e32 v91, 0x3fb8aa3b, v78
	v_cmp_ngt_f32_e32 vcc_lo, 0xc2ce8ed0, v78
	v_fma_f32 v92, 0x3fb8aa3b, v78, -v91
	v_rndne_f32_e32 v93, v91
	s_delay_alu instid0(VALU_DEP_1) | instskip(NEXT) | instid1(VALU_DEP_1)
	v_dual_fmac_f32 v92, 0x32a5705f, v78 :: v_dual_sub_f32 v91, v91, v93
	v_dual_add_f32 v90, v76, v90 :: v_dual_add_f32 v91, v91, v92
	v_cvt_i32_f32_e32 v92, v93
	s_delay_alu instid0(VALU_DEP_2) | instskip(NEXT) | instid1(VALU_DEP_3)
	v_add_f32_e32 v90, v77, v90
	v_exp_f32_e32 v91, v91
	s_waitcnt_depctr 0xfff
	v_ldexp_f32 v91, v91, v92
	s_delay_alu instid0(VALU_DEP_1) | instskip(SKIP_1) | instid1(VALU_DEP_2)
	v_cndmask_b32_e32 v91, 0, v91, vcc_lo
	v_cmp_nlt_f32_e32 vcc_lo, 0x42b17218, v78
	v_cndmask_b32_e32 v78, 0x7f800000, v91, vcc_lo
	v_cmp_ngt_f32_e32 vcc_lo, 0xc2ce8ed0, v79
	s_delay_alu instid0(VALU_DEP_2) | instskip(NEXT) | instid1(VALU_DEP_1)
	v_dual_add_f32 v90, v78, v90 :: v_dual_mul_f32 v91, 0x3fb8aa3b, v79
	v_fma_f32 v92, 0x3fb8aa3b, v79, -v91
	v_rndne_f32_e32 v93, v91
	s_delay_alu instid0(VALU_DEP_1) | instskip(NEXT) | instid1(VALU_DEP_1)
	v_dual_fmac_f32 v92, 0x32a5705f, v79 :: v_dual_sub_f32 v91, v91, v93
	v_add_f32_e32 v91, v91, v92
	v_cvt_i32_f32_e32 v92, v93
	s_delay_alu instid0(VALU_DEP_2) | instskip(SKIP_2) | instid1(VALU_DEP_1)
	v_exp_f32_e32 v91, v91
	s_waitcnt_depctr 0xfff
	v_ldexp_f32 v91, v91, v92
	v_cndmask_b32_e32 v91, 0, v91, vcc_lo
	v_cmp_nlt_f32_e32 vcc_lo, 0x42b17218, v79
	s_delay_alu instid0(VALU_DEP_2) | instskip(SKIP_2) | instid1(VALU_DEP_3)
	v_cndmask_b32_e32 v79, 0x7f800000, v91, vcc_lo
	v_mul_f32_e32 v91, 0x3fb8aa3b, v80
	v_cmp_ngt_f32_e32 vcc_lo, 0xc2ce8ed0, v80
	v_add_f32_e32 v90, v79, v90
	s_delay_alu instid0(VALU_DEP_3) | instskip(SKIP_1) | instid1(VALU_DEP_1)
	v_fma_f32 v92, 0x3fb8aa3b, v80, -v91
	v_rndne_f32_e32 v93, v91
	v_dual_fmac_f32 v92, 0x32a5705f, v80 :: v_dual_sub_f32 v91, v91, v93
	s_delay_alu instid0(VALU_DEP_1) | instskip(SKIP_1) | instid1(VALU_DEP_2)
	v_add_f32_e32 v91, v91, v92
	v_cvt_i32_f32_e32 v92, v93
	v_exp_f32_e32 v91, v91
	s_waitcnt_depctr 0xfff
	v_ldexp_f32 v91, v91, v92
	s_delay_alu instid0(VALU_DEP_1) | instskip(SKIP_1) | instid1(VALU_DEP_2)
	v_cndmask_b32_e32 v91, 0, v91, vcc_lo
	v_cmp_nlt_f32_e32 vcc_lo, 0x42b17218, v80
	v_cndmask_b32_e32 v91, 0x7f800000, v91, vcc_lo
	v_cmp_ngt_f32_e32 vcc_lo, 0xc2ce8ed0, v81
	s_delay_alu instid0(VALU_DEP_2) | instskip(SKIP_1) | instid1(VALU_DEP_1)
	v_add_f32_e32 v80, v91, v90
	v_mul_f32_e32 v90, 0x3fb8aa3b, v81
	v_fma_f32 v92, 0x3fb8aa3b, v81, -v90
	v_rndne_f32_e32 v93, v90
	s_delay_alu instid0(VALU_DEP_2) | instskip(NEXT) | instid1(VALU_DEP_2)
	v_fmac_f32_e32 v92, 0x32a5705f, v81
	v_sub_f32_e32 v90, v90, v93
	s_delay_alu instid0(VALU_DEP_1) | instskip(SKIP_1) | instid1(VALU_DEP_2)
	v_add_f32_e32 v90, v90, v92
	v_cvt_i32_f32_e32 v92, v93
	v_exp_f32_e32 v90, v90
	s_waitcnt_depctr 0xfff
	v_ldexp_f32 v90, v90, v92
	s_delay_alu instid0(VALU_DEP_1) | instskip(SKIP_1) | instid1(VALU_DEP_2)
	v_cndmask_b32_e32 v90, 0, v90, vcc_lo
	v_cmp_nlt_f32_e32 vcc_lo, 0x42b17218, v81
	v_dual_sub_f32 v81, v82, v145 :: v_dual_cndmask_b32 v90, 0x7f800000, v90
	s_delay_alu instid0(VALU_DEP_1) | instskip(SKIP_1) | instid1(VALU_DEP_3)
	v_mul_f32_e32 v82, 0x3fb8aa3b, v81
	v_cmp_ngt_f32_e32 vcc_lo, 0xc2ce8ed0, v81
	v_add_f32_e32 v80, v90, v80
	s_delay_alu instid0(VALU_DEP_3) | instskip(SKIP_1) | instid1(VALU_DEP_2)
	v_fma_f32 v92, 0x3fb8aa3b, v81, -v82
	v_rndne_f32_e32 v93, v82
	v_fmac_f32_e32 v92, 0x32a5705f, v81
	s_delay_alu instid0(VALU_DEP_2) | instskip(NEXT) | instid1(VALU_DEP_1)
	v_sub_f32_e32 v82, v82, v93
	v_add_f32_e32 v82, v82, v92
	v_cvt_i32_f32_e32 v92, v93
	s_delay_alu instid0(VALU_DEP_2) | instskip(SKIP_2) | instid1(VALU_DEP_1)
	v_exp_f32_e32 v82, v82
	s_waitcnt_depctr 0xfff
	v_ldexp_f32 v82, v82, v92
	v_cndmask_b32_e32 v82, 0, v82, vcc_lo
	v_cmp_nlt_f32_e32 vcc_lo, 0x42b17218, v81
	s_delay_alu instid0(VALU_DEP_2) | instskip(NEXT) | instid1(VALU_DEP_1)
	v_dual_sub_f32 v81, v83, v145 :: v_dual_cndmask_b32 v92, 0x7f800000, v82
	v_mul_f32_e32 v82, 0x3fb8aa3b, v81
	v_cmp_ngt_f32_e32 vcc_lo, 0xc2ce8ed0, v81
	s_delay_alu instid0(VALU_DEP_2) | instskip(SKIP_1) | instid1(VALU_DEP_2)
	v_fma_f32 v83, 0x3fb8aa3b, v81, -v82
	v_rndne_f32_e32 v93, v82
	v_fmac_f32_e32 v83, 0x32a5705f, v81
	s_delay_alu instid0(VALU_DEP_2) | instskip(NEXT) | instid1(VALU_DEP_1)
	v_sub_f32_e32 v82, v82, v93
	v_add_f32_e32 v82, v82, v83
	v_cvt_i32_f32_e32 v83, v93
	s_delay_alu instid0(VALU_DEP_2) | instskip(SKIP_2) | instid1(VALU_DEP_1)
	v_exp_f32_e32 v82, v82
	s_waitcnt_depctr 0xfff
	v_ldexp_f32 v82, v82, v83
	v_cndmask_b32_e32 v82, 0, v82, vcc_lo
	v_cmp_nlt_f32_e32 vcc_lo, 0x42b17218, v81
	v_sub_f32_e32 v81, v84, v145
	s_delay_alu instid0(VALU_DEP_3) | instskip(NEXT) | instid1(VALU_DEP_2)
	v_dual_add_f32 v80, v92, v80 :: v_dual_cndmask_b32 v93, 0x7f800000, v82
	v_mul_f32_e32 v82, 0x3fb8aa3b, v81
	v_cmp_ngt_f32_e32 vcc_lo, 0xc2ce8ed0, v81
	s_delay_alu instid0(VALU_DEP_2) | instskip(SKIP_1) | instid1(VALU_DEP_1)
	v_fma_f32 v83, 0x3fb8aa3b, v81, -v82
	v_rndne_f32_e32 v84, v82
	v_dual_fmac_f32 v83, 0x32a5705f, v81 :: v_dual_sub_f32 v82, v82, v84
	s_delay_alu instid0(VALU_DEP_1) | instskip(SKIP_1) | instid1(VALU_DEP_2)
	v_add_f32_e32 v82, v82, v83
	v_cvt_i32_f32_e32 v83, v84
	v_exp_f32_e32 v82, v82
	s_waitcnt_depctr 0xfff
	v_ldexp_f32 v82, v82, v83
	s_delay_alu instid0(VALU_DEP_1) | instskip(SKIP_1) | instid1(VALU_DEP_2)
	v_cndmask_b32_e32 v82, 0, v82, vcc_lo
	v_cmp_nlt_f32_e32 vcc_lo, 0x42b17218, v81
	v_dual_sub_f32 v81, v85, v145 :: v_dual_cndmask_b32 v94, 0x7f800000, v82
	s_delay_alu instid0(VALU_DEP_1) | instskip(SKIP_1) | instid1(VALU_DEP_2)
	v_mul_f32_e32 v82, 0x3fb8aa3b, v81
	v_cmp_ngt_f32_e32 vcc_lo, 0xc2ce8ed0, v81
	v_fma_f32 v83, 0x3fb8aa3b, v81, -v82
	v_rndne_f32_e32 v84, v82
	s_delay_alu instid0(VALU_DEP_2) | instskip(NEXT) | instid1(VALU_DEP_2)
	v_dual_add_f32 v80, v93, v80 :: v_dual_fmac_f32 v83, 0x32a5705f, v81
	v_sub_f32_e32 v82, v82, v84
	s_delay_alu instid0(VALU_DEP_1) | instskip(SKIP_1) | instid1(VALU_DEP_2)
	v_add_f32_e32 v82, v82, v83
	v_cvt_i32_f32_e32 v83, v84
	v_exp_f32_e32 v82, v82
	s_waitcnt_depctr 0xfff
	v_ldexp_f32 v82, v82, v83
	s_delay_alu instid0(VALU_DEP_1) | instskip(SKIP_2) | instid1(VALU_DEP_3)
	v_cndmask_b32_e32 v82, 0, v82, vcc_lo
	v_cmp_nlt_f32_e32 vcc_lo, 0x42b17218, v81
	v_sub_f32_e32 v81, v86, v145
	v_cndmask_b32_e32 v95, 0x7f800000, v82, vcc_lo
	s_delay_alu instid0(VALU_DEP_2) | instskip(SKIP_1) | instid1(VALU_DEP_2)
	v_mul_f32_e32 v82, 0x3fb8aa3b, v81
	v_cmp_ngt_f32_e32 vcc_lo, 0xc2ce8ed0, v81
	v_fma_f32 v83, 0x3fb8aa3b, v81, -v82
	v_rndne_f32_e32 v84, v82
	s_delay_alu instid0(VALU_DEP_1) | instskip(NEXT) | instid1(VALU_DEP_1)
	v_dual_fmac_f32 v83, 0x32a5705f, v81 :: v_dual_sub_f32 v82, v82, v84
	v_add_f32_e32 v82, v82, v83
	v_cvt_i32_f32_e32 v83, v84
	s_delay_alu instid0(VALU_DEP_2) | instskip(SKIP_2) | instid1(VALU_DEP_1)
	v_exp_f32_e32 v82, v82
	s_waitcnt_depctr 0xfff
	v_ldexp_f32 v82, v82, v83
	v_cndmask_b32_e32 v82, 0, v82, vcc_lo
	v_cmp_nlt_f32_e32 vcc_lo, 0x42b17218, v81
	s_delay_alu instid0(VALU_DEP_2) | instskip(NEXT) | instid1(VALU_DEP_1)
	v_dual_sub_f32 v81, v87, v145 :: v_dual_cndmask_b32 v96, 0x7f800000, v82
	v_mul_f32_e32 v82, 0x3fb8aa3b, v81
	v_cmp_ngt_f32_e32 vcc_lo, 0xc2ce8ed0, v81
	s_delay_alu instid0(VALU_DEP_2) | instskip(SKIP_1) | instid1(VALU_DEP_2)
	v_fma_f32 v83, 0x3fb8aa3b, v81, -v82
	v_rndne_f32_e32 v84, v82
	v_dual_add_f32 v80, v94, v80 :: v_dual_fmac_f32 v83, 0x32a5705f, v81
	s_delay_alu instid0(VALU_DEP_2) | instskip(NEXT) | instid1(VALU_DEP_1)
	v_sub_f32_e32 v82, v82, v84
	v_add_f32_e32 v82, v82, v83
	v_cvt_i32_f32_e32 v83, v84
	s_delay_alu instid0(VALU_DEP_2) | instskip(SKIP_2) | instid1(VALU_DEP_1)
	v_exp_f32_e32 v82, v82
	s_waitcnt_depctr 0xfff
	v_ldexp_f32 v82, v82, v83
	v_cndmask_b32_e32 v82, 0, v82, vcc_lo
	v_cmp_nlt_f32_e32 vcc_lo, 0x42b17218, v81
	v_dual_sub_f32 v81, v88, v145 :: v_dual_add_f32 v80, v95, v80
	s_delay_alu instid0(VALU_DEP_3) | instskip(NEXT) | instid1(VALU_DEP_2)
	v_cndmask_b32_e32 v97, 0x7f800000, v82, vcc_lo
	v_mul_f32_e32 v82, 0x3fb8aa3b, v81
	v_cmp_ngt_f32_e32 vcc_lo, 0xc2ce8ed0, v81
	s_delay_alu instid0(VALU_DEP_2) | instskip(SKIP_1) | instid1(VALU_DEP_1)
	v_fma_f32 v83, 0x3fb8aa3b, v81, -v82
	v_rndne_f32_e32 v84, v82
	v_dual_fmac_f32 v83, 0x32a5705f, v81 :: v_dual_sub_f32 v82, v82, v84
	s_delay_alu instid0(VALU_DEP_1) | instskip(SKIP_1) | instid1(VALU_DEP_2)
	v_add_f32_e32 v82, v82, v83
	v_cvt_i32_f32_e32 v83, v84
	v_exp_f32_e32 v82, v82
	s_waitcnt_depctr 0xfff
	v_ldexp_f32 v82, v82, v83
	s_delay_alu instid0(VALU_DEP_1) | instskip(SKIP_1) | instid1(VALU_DEP_2)
	v_cndmask_b32_e32 v82, 0, v82, vcc_lo
	v_cmp_nlt_f32_e32 vcc_lo, 0x42b17218, v81
	v_dual_sub_f32 v81, v89, v145 :: v_dual_cndmask_b32 v88, 0x7f800000, v82
	s_delay_alu instid0(VALU_DEP_1) | instskip(SKIP_1) | instid1(VALU_DEP_2)
	v_mul_f32_e32 v82, 0x3fb8aa3b, v81
	v_cmp_ngt_f32_e32 vcc_lo, 0xc2ce8ed0, v81
	v_fma_f32 v83, 0x3fb8aa3b, v81, -v82
	v_rndne_f32_e32 v84, v82
	s_delay_alu instid0(VALU_DEP_1) | instskip(NEXT) | instid1(VALU_DEP_1)
	v_dual_fmac_f32 v83, 0x32a5705f, v81 :: v_dual_sub_f32 v82, v82, v84
	v_add_f32_e32 v82, v82, v83
	v_cvt_i32_f32_e32 v83, v84
	s_delay_alu instid0(VALU_DEP_2) | instskip(SKIP_2) | instid1(VALU_DEP_1)
	v_exp_f32_e32 v82, v82
	s_waitcnt_depctr 0xfff
	v_ldexp_f32 v82, v82, v83
	v_cndmask_b32_e32 v82, 0, v82, vcc_lo
	v_cmp_nlt_f32_e32 vcc_lo, 0x42b17218, v81
	s_delay_alu instid0(VALU_DEP_2) | instskip(NEXT) | instid1(VALU_DEP_1)
	v_dual_add_f32 v80, v96, v80 :: v_dual_cndmask_b32 v89, 0x7f800000, v82
	v_add_f32_e32 v80, v97, v80
	v_cmp_ngt_f32_e32 vcc_lo, 0xc2ce8ed0, v73
	s_delay_alu instid0(VALU_DEP_2) | instskip(NEXT) | instid1(VALU_DEP_1)
	v_add_f32_e32 v80, v88, v80
	v_dual_add_f32 v143, v89, v80 :: v_dual_mul_f32 v80, 0x3fb8aa3b, v73
	s_delay_alu instid0(VALU_DEP_1) | instskip(SKIP_1) | instid1(VALU_DEP_1)
	v_fma_f32 v81, 0x3fb8aa3b, v73, -v80
	v_rndne_f32_e32 v82, v80
	v_dual_fmac_f32 v81, 0x32a5705f, v73 :: v_dual_sub_f32 v80, v80, v82
	s_delay_alu instid0(VALU_DEP_1) | instskip(SKIP_1) | instid1(VALU_DEP_2)
	v_add_f32_e32 v80, v80, v81
	v_cvt_i32_f32_e32 v81, v82
	v_exp_f32_e32 v80, v80
	s_waitcnt_depctr 0xfff
	v_ldexp_f32 v80, v80, v81
	s_delay_alu instid0(VALU_DEP_1) | instskip(SKIP_1) | instid1(VALU_DEP_2)
	v_cndmask_b32_e32 v80, 0, v80, vcc_lo
	v_cmp_nlt_f32_e32 vcc_lo, 0x42b17218, v73
	v_cndmask_b32_e32 v80, 0x7f800000, v80, vcc_lo
	v_cmp_le_f32_e32 vcc_lo, 0xc1a00000, v73
	s_delay_alu instid0(VALU_DEP_2) | instskip(SKIP_1) | instid1(VALU_DEP_2)
	v_cndmask_b32_e32 v73, 0, v80, vcc_lo
	v_cmp_eq_u32_e32 vcc_lo, 1, v224
	v_fmac_f32_e32 v143, v72, v73
	v_cvt_f16_f32_e32 v72, v73
	s_delay_alu instid0(VALU_DEP_1)
	v_pk_mul_f16 v0, v72, v0 op_sel_hi:[0,1]
	v_pk_mul_f16 v1, v72, v1 op_sel_hi:[0,1]
	;; [unrolled: 1-line block ×24, first 2 shown]
	ds_bpermute_b32 v72, v146, v74
	s_waitcnt lgkmcnt(0)
	v_cndmask_b32_e32 v73, v74, v72, vcc_lo
	v_cndmask_b32_e64 v72, v74, v72, s3
	s_delay_alu instid0(VALU_DEP_2) | instskip(NEXT) | instid1(VALU_DEP_2)
	v_cvt_f16_f32_e32 v80, v73
	v_cvt_f16_f32_e32 v74, v72
	v_cndmask_b32_e64 v72, v72, v75, s4
	v_cndmask_b32_e64 v73, v73, v75, s5
	s_delay_alu instid0(VALU_DEP_3) | instskip(SKIP_4) | instid1(VALU_DEP_2)
	v_pack_b32_f16 v80, v74, v80
	ds_bpermute_b32 v74, v146, v75
	s_waitcnt lgkmcnt(0)
	v_cndmask_b32_e32 v73, v73, v74, vcc_lo
	v_cndmask_b32_e64 v72, v72, v74, s3
	v_cvt_f16_f32_e32 v75, v73
	s_delay_alu instid0(VALU_DEP_2) | instskip(SKIP_2) | instid1(VALU_DEP_3)
	v_cvt_f16_f32_e32 v74, v72
	v_cndmask_b32_e64 v72, v72, v76, s4
	v_cndmask_b32_e64 v73, v73, v76, s5
	v_pack_b32_f16 v81, v74, v75
	ds_bpermute_b32 v74, v146, v76
	s_waitcnt lgkmcnt(0)
	v_cndmask_b32_e32 v73, v73, v74, vcc_lo
	v_cndmask_b32_e64 v72, v72, v74, s3
	s_delay_alu instid0(VALU_DEP_2) | instskip(NEXT) | instid1(VALU_DEP_2)
	v_cvt_f16_f32_e32 v75, v73
	v_cvt_f16_f32_e32 v74, v72
	v_cndmask_b32_e64 v72, v72, v77, s4
	v_cndmask_b32_e64 v73, v73, v77, s5
	s_delay_alu instid0(VALU_DEP_3) | instskip(SKIP_4) | instid1(VALU_DEP_2)
	v_pack_b32_f16 v82, v74, v75
	ds_bpermute_b32 v74, v146, v77
	s_waitcnt lgkmcnt(0)
	v_cndmask_b32_e32 v73, v73, v74, vcc_lo
	v_cndmask_b32_e64 v72, v72, v74, s3
	v_cvt_f16_f32_e32 v75, v73
	s_delay_alu instid0(VALU_DEP_2) | instskip(SKIP_2) | instid1(VALU_DEP_3)
	v_cvt_f16_f32_e32 v74, v72
	v_cndmask_b32_e64 v72, v72, v78, s4
	v_cndmask_b32_e64 v73, v73, v78, s5
	v_pack_b32_f16 v83, v74, v75
	;; [unrolled: 21-line block ×3, first 2 shown]
	ds_bpermute_b32 v74, v146, v91
	s_waitcnt lgkmcnt(0)
	v_cndmask_b32_e32 v73, v73, v74, vcc_lo
	v_cndmask_b32_e64 v72, v72, v74, s3
	s_delay_alu instid0(VALU_DEP_2) | instskip(NEXT) | instid1(VALU_DEP_2)
	v_cvt_f16_f32_e32 v75, v73
	v_cvt_f16_f32_e32 v74, v72
	v_cndmask_b32_e64 v72, v72, v90, s4
	v_cndmask_b32_e64 v73, v73, v90, s5
	s_delay_alu instid0(VALU_DEP_3) | instskip(SKIP_4) | instid1(VALU_DEP_2)
	v_pack_b32_f16 v86, v74, v75
	ds_bpermute_b32 v74, v146, v90
	s_waitcnt lgkmcnt(0)
	v_cndmask_b32_e32 v73, v73, v74, vcc_lo
	v_cndmask_b32_e64 v72, v72, v74, s3
	v_cvt_f16_f32_e32 v73, v73
	s_delay_alu instid0(VALU_DEP_2) | instskip(NEXT) | instid1(VALU_DEP_1)
	v_cvt_f16_f32_e32 v72, v72
	v_pack_b32_f16 v87, v72, v73
	ds_bpermute_b32 v72, v146, v92
	s_waitcnt lgkmcnt(0)
	v_cndmask_b32_e32 v73, v92, v72, vcc_lo
	v_cndmask_b32_e64 v74, v92, v72, s3
	s_delay_alu instid0(VALU_DEP_2) | instskip(NEXT) | instid1(VALU_DEP_2)
	v_cvt_f16_f32_e32 v75, v73
	v_cvt_f16_f32_e32 v72, v74
	v_cndmask_b32_e64 v74, v74, v93, s4
	v_cndmask_b32_e64 v73, v73, v93, s5
	s_delay_alu instid0(VALU_DEP_3) | instskip(SKIP_4) | instid1(VALU_DEP_2)
	v_pack_b32_f16 v72, v72, v75
	ds_bpermute_b32 v75, v146, v93
	s_waitcnt lgkmcnt(0)
	v_cndmask_b32_e32 v76, v73, v75, vcc_lo
	v_cndmask_b32_e64 v74, v74, v75, s3
	v_cvt_f16_f32_e32 v75, v76
	s_delay_alu instid0(VALU_DEP_2) | instskip(SKIP_1) | instid1(VALU_DEP_2)
	v_cvt_f16_f32_e32 v73, v74
	v_cndmask_b32_e64 v74, v74, v94, s4
	v_pack_b32_f16 v73, v73, v75
	v_cndmask_b32_e64 v75, v76, v94, s5
	ds_bpermute_b32 v76, v146, v94
	s_waitcnt lgkmcnt(0)
	v_cndmask_b32_e32 v75, v75, v76, vcc_lo
	v_cndmask_b32_e64 v76, v74, v76, s3
	s_delay_alu instid0(VALU_DEP_2) | instskip(NEXT) | instid1(VALU_DEP_2)
	v_cvt_f16_f32_e32 v77, v75
	v_cvt_f16_f32_e32 v74, v76
	v_cndmask_b32_e64 v76, v76, v95, s4
	v_cndmask_b32_e64 v75, v75, v95, s5
	s_delay_alu instid0(VALU_DEP_3) | instskip(SKIP_4) | instid1(VALU_DEP_2)
	v_pack_b32_f16 v74, v74, v77
	ds_bpermute_b32 v77, v146, v95
	s_waitcnt lgkmcnt(0)
	v_cndmask_b32_e32 v78, v75, v77, vcc_lo
	v_cndmask_b32_e64 v76, v76, v77, s3
	v_cvt_f16_f32_e32 v77, v78
	s_delay_alu instid0(VALU_DEP_2) | instskip(SKIP_1) | instid1(VALU_DEP_2)
	v_cvt_f16_f32_e32 v75, v76
	v_cndmask_b32_e64 v76, v76, v96, s4
	v_pack_b32_f16 v75, v75, v77
	v_cndmask_b32_e64 v77, v78, v96, s5
	;; [unrolled: 21-line block ×3, first 2 shown]
	ds_bpermute_b32 v88, v146, v88
	s_waitcnt lgkmcnt(0)
	v_cndmask_b32_e32 v79, v79, v88, vcc_lo
	v_cndmask_b32_e64 v88, v78, v88, s3
	s_delay_alu instid0(VALU_DEP_2) | instskip(NEXT) | instid1(VALU_DEP_2)
	v_cvt_f16_f32_e32 v90, v79
	v_cvt_f16_f32_e32 v78, v88
	v_cndmask_b32_e64 v88, v88, v89, s4
	v_cndmask_b32_e64 v79, v79, v89, s5
	ds_bpermute_b32 v89, v146, v89
	v_pack_b32_f16 v78, v78, v90
	s_waitcnt lgkmcnt(0)
	v_cndmask_b32_e32 v79, v79, v89, vcc_lo
	v_cndmask_b32_e64 v88, v88, v89, s3
	s_delay_alu instid0(VALU_DEP_2) | instskip(NEXT) | instid1(VALU_DEP_2)
	v_cvt_f16_f32_e32 v79, v79
	v_cvt_f16_f32_e32 v88, v88
	s_delay_alu instid0(VALU_DEP_1)
	v_pack_b32_f16 v79, v88, v79
	v_add_co_u32 v88, vcc_lo, v147, v126
	v_add_co_ci_u32_e32 v89, vcc_lo, 0, v148, vcc_lo
	global_load_b128 v[88:91], v[88:89], off
	s_waitcnt vmcnt(0)
	ds_store_b128 v199, v[88:91]
	v_add_co_u32 v88, vcc_lo, v149, v126
	v_add_co_ci_u32_e32 v89, vcc_lo, 0, v150, vcc_lo
	global_load_b128 v[88:91], v[88:89], off
	s_waitcnt vmcnt(0)
	ds_store_b128 v200, v[88:91]
	;; [unrolled: 5-line block ×5, first 2 shown]
	v_add_co_u32 v88, vcc_lo, v157, v229
	v_add_co_ci_u32_e32 v89, vcc_lo, 0, v158, vcc_lo
	v_add_co_u32 v139, vcc_lo, 0x80, v139
	v_add_co_ci_u32_e32 v140, vcc_lo, 0, v140, vcc_lo
	global_load_b128 v[88:91], v[88:89], off
	v_add_co_u32 v141, vcc_lo, 0x80, v141
	v_add_co_ci_u32_e32 v142, vcc_lo, 0, v142, vcc_lo
	v_add_co_u32 v147, vcc_lo, v147, s68
	v_add_co_ci_u32_e32 v148, vcc_lo, s69, v148, vcc_lo
	;; [unrolled: 2-line block ×13, first 2 shown]
	s_waitcnt vmcnt(0)
	ds_store_b128 v241, v[88:91]
	s_waitcnt lgkmcnt(0)
	s_barrier
	buffer_gl0_inv
	ds_load_2addr_b32 v[95:96], v193 offset1:16
	ds_load_2addr_b32 v[97:98], v193 offset0:32 offset1:52
	ds_load_2addr_b32 v[129:130], v193 offset0:104 offset1:120
	;; [unrolled: 1-line block ×3, first 2 shown]
	v_add_nc_u32_e32 v90, 0x200, v193
	ds_load_2addr_b32 v[91:92], v90 offset0:80 offset1:132
	s_waitcnt lgkmcnt(3)
	v_perm_b32 v88, v98, v95, 0x5040100
	v_perm_b32 v171, v98, v95, 0x7060302
	v_add_nc_u32_e32 v98, 0x400, v193
	s_waitcnt lgkmcnt(1)
	v_perm_b32 v89, v182, v129, 0x5040100
	v_perm_b32 v172, v182, v129, 0x7060302
	ds_load_2addr_b32 v[182:183], v98 offset0:56 offset1:72
	ds_load_2addr_b32 v[184:185], v98 offset0:88 offset1:108
	s_waitcnt lgkmcnt(2)
	v_perm_b32 v90, v92, v91, 0x5040100
	v_perm_b32 v173, v92, v91, 0x7060302
	ds_load_2addr_b32 v[93:94], v98 offset0:160 offset1:212
	v_add_nc_u32_e32 v95, 0xa00, v193
	s_waitcnt lgkmcnt(1)
	v_perm_b32 v91, v185, v182, 0x5040100
	v_perm_b32 v174, v185, v182, 0x7060302
	ds_load_2addr_b32 v[185:186], v189 offset0:8 offset1:24
	ds_load_2addr_b32 v[212:213], v189 offset0:40 offset1:60
	s_waitcnt lgkmcnt(2)
	v_perm_b32 v92, v94, v93, 0x5040100
	v_perm_b32 v175, v94, v93, 0x7060302
	ds_load_2addr_b32 v[177:178], v189 offset0:112 offset1:164
	ds_load_2addr_b32 v[215:216], v95 offset0:120 offset1:140
	ds_load_b32 v129, v193 offset:9776
	ds_load_2addr_b32 v[230:231], v193 offset0:68 offset1:84
	s_waitcnt lgkmcnt(4)
	v_perm_b32 v93, v213, v185, 0x5040100
	v_perm_b32 v176, v213, v185, 0x7060302
	ds_load_2addr_b32 v[213:214], v189 offset0:216 offset1:232
	s_waitcnt lgkmcnt(4)
	v_perm_b32 v94, v178, v177, 0x5040100
	v_perm_b32 v177, v178, v177, 0x7060302
	s_waitcnt lgkmcnt(0)
	v_perm_b32 v95, v216, v213, 0x5040100
	v_perm_b32 v178, v216, v213, 0x7060302
	s_delay_alu instid0(VALU_DEP_2) | instskip(SKIP_1) | instid1(VALU_DEP_2)
	v_wmma_f16_16x16x16_f16 v[0:7], v[88:95], v[80:87], v[0:7]
	v_add_nc_u32_e32 v88, 0x1800, v193
	v_wmma_f16_16x16x16_f16 v[0:7], v[171:178], v[80:87], v[0:7] op_sel:[0,0,1]
	ds_load_2addr_b32 v[89:90], v88 offset0:128 offset1:180
	s_waitcnt lgkmcnt(0)
	v_perm_b32 v88, v90, v89, 0x5040100
	v_perm_b32 v171, v90, v89, 0x7060302
	v_add_nc_u32_e32 v89, 0x1a00, v193
	ds_load_2addr_b32 v[90:91], v89 offset0:104 offset1:156
	s_waitcnt lgkmcnt(0)
	v_perm_b32 v89, v91, v90, 0x5040100
	v_perm_b32 v172, v91, v90, 0x7060302
	v_add_nc_u32_e32 v90, 0x300, v222
	v_add_nc_u32_e32 v91, 0x1e00, v193
	ds_load_2addr_b32 v[92:93], v90 offset0:16 offset1:224
	v_add_nc_u32_e32 v90, 0x1c00, v193
	ds_load_2addr_b32 v[174:175], v91 offset0:108 offset1:212
	ds_load_2addr_b32 v[94:95], v90 offset0:132 offset1:184
	s_waitcnt lgkmcnt(0)
	v_perm_b32 v90, v94, v92, 0x5040100
	v_perm_b32 v173, v94, v92, 0x7060302
	v_perm_b32 v92, v175, v93, 0x5040100
	v_perm_b32 v175, v175, v93, 0x7060302
	v_add_nc_u32_e32 v93, 0x2000, v193
	v_perm_b32 v91, v174, v95, 0x5040100
	v_perm_b32 v174, v174, v95, 0x7060302
	ds_load_2addr_b32 v[94:95], v93 offset0:136 offset1:188
	s_waitcnt lgkmcnt(0)
	v_perm_b32 v93, v95, v94, 0x5040100
	v_perm_b32 v176, v95, v94, 0x7060302
	v_add_nc_u32_e32 v94, 0x2400, v193
	ds_load_b32 v95, v222 offset:2496
	ds_load_2addr_b32 v[177:178], v94 offset0:36 offset1:88
	s_waitcnt lgkmcnt(0)
	v_perm_b32 v94, v177, v95, 0x5040100
	v_perm_b32 v177, v177, v95, 0x7060302
	;; [unrolled: 1-line block ×4, first 2 shown]
	s_delay_alu instid0(VALU_DEP_2) | instskip(SKIP_2) | instid1(VALU_DEP_3)
	v_wmma_f16_16x16x16_f16 v[0:7], v[88:95], v[72:79], v[0:7]
	v_perm_b32 v88, v230, v96, 0x5040100
	v_add_nc_u32_e32 v90, 0x300, v223
	v_wmma_f16_16x16x16_f16 v[0:7], v[171:178], v[72:79], v[0:7] op_sel:[0,0,1]
	v_perm_b32 v171, v230, v96, 0x7060302
	ds_load_2addr_b32 v[95:96], v193 offset0:172 offset1:188
	s_waitcnt lgkmcnt(0)
	v_perm_b32 v89, v95, v130, 0x5040100
	v_perm_b32 v172, v95, v130, 0x7060302
	ds_load_2addr_b32 v[92:93], v90 offset0:16 offset1:224
	ds_load_2addr_b32 v[129:130], v98 offset0:20 offset1:36
	;; [unrolled: 1-line block ×4, first 2 shown]
	s_waitcnt lgkmcnt(2)
	v_perm_b32 v90, v129, v92, 0x5040100
	s_waitcnt lgkmcnt(1)
	v_perm_b32 v91, v232, v183, 0x5040100
	v_perm_b32 v174, v232, v183, 0x7060302
	ds_load_2addr_b32 v[182:183], v98 offset0:228 offset1:244
	v_perm_b32 v173, v129, v92, 0x7060302
	s_waitcnt lgkmcnt(1)
	v_perm_b32 v176, v235, v186, 0x7060302
	s_waitcnt lgkmcnt(0)
	v_perm_b32 v92, v182, v93, 0x5040100
	v_perm_b32 v175, v182, v93, 0x7060302
	v_perm_b32 v93, v235, v186, 0x5040100
	ds_load_b32 v95, v223 offset:2496
	ds_load_2addr_b32 v[185:186], v189 offset0:180 offset1:196
	ds_load_b32 v98, v223 offset:9776
	s_waitcnt lgkmcnt(1)
	v_perm_b32 v94, v185, v95, 0x5040100
	v_perm_b32 v177, v185, v95, 0x7060302
	v_add_nc_u32_e32 v95, 0xc00, v193
	ds_load_2addr_b32 v[249:250], v95 offset0:28 offset1:44
	s_waitcnt lgkmcnt(0)
	v_perm_b32 v95, v249, v214, 0x5040100
	v_perm_b32 v178, v249, v214, 0x7060302
	s_delay_alu instid0(VALU_DEP_2) | instskip(SKIP_1) | instid1(VALU_DEP_2)
	v_wmma_f16_16x16x16_f16 v[16:23], v[88:95], v[80:87], v[16:23]
	v_add_nc_u32_e32 v88, 0x1800, v223
	v_wmma_f16_16x16x16_f16 v[16:23], v[171:178], v[80:87], v[16:23] op_sel:[0,0,1]
	ds_load_2addr_b32 v[89:90], v88 offset0:128 offset1:180
	s_waitcnt lgkmcnt(0)
	v_perm_b32 v88, v90, v89, 0x5040100
	v_perm_b32 v171, v90, v89, 0x7060302
	v_add_nc_u32_e32 v89, 0x1a00, v223
	ds_load_2addr_b32 v[90:91], v89 offset0:104 offset1:156
	s_waitcnt lgkmcnt(0)
	v_perm_b32 v89, v91, v90, 0x5040100
	v_perm_b32 v172, v91, v90, 0x7060302
	v_add_nc_u32_e32 v90, 0x300, v194
	v_add_nc_u32_e32 v91, 0x1e00, v223
	ds_load_2addr_b32 v[92:93], v90 offset0:16 offset1:224
	v_add_nc_u32_e32 v90, 0x1c00, v223
	ds_load_2addr_b32 v[174:175], v91 offset0:108 offset1:212
	ds_load_2addr_b32 v[94:95], v90 offset0:132 offset1:184
	s_waitcnt lgkmcnt(0)
	v_perm_b32 v90, v94, v92, 0x5040100
	v_perm_b32 v173, v94, v92, 0x7060302
	;; [unrolled: 1-line block ×4, first 2 shown]
	v_add_nc_u32_e32 v93, 0x2000, v223
	v_perm_b32 v91, v174, v95, 0x5040100
	v_perm_b32 v174, v174, v95, 0x7060302
	ds_load_2addr_b32 v[94:95], v93 offset0:136 offset1:188
	s_waitcnt lgkmcnt(0)
	v_perm_b32 v93, v95, v94, 0x5040100
	v_perm_b32 v176, v95, v94, 0x7060302
	v_add_nc_u32_e32 v94, 0x2400, v223
	ds_load_b32 v95, v194 offset:2496
	ds_load_2addr_b32 v[177:178], v94 offset0:36 offset1:88
	s_waitcnt lgkmcnt(0)
	v_perm_b32 v94, v177, v95, 0x5040100
	v_perm_b32 v177, v177, v95, 0x7060302
	;; [unrolled: 1-line block ×4, first 2 shown]
	s_delay_alu instid0(VALU_DEP_2)
	v_wmma_f16_16x16x16_f16 v[16:23], v[88:95], v[72:79], v[16:23]
	v_add_nc_u32_e32 v90, 0x300, v243
	ds_load_b32 v95, v243 offset:2496
	v_perm_b32 v88, v231, v97, 0x5040100
	v_perm_b32 v89, v96, v181, 0x5040100
	v_wmma_f16_16x16x16_f16 v[16:23], v[171:178], v[72:79], v[16:23] op_sel:[0,0,1]
	ds_load_2addr_b32 v[92:93], v90 offset0:16 offset1:224
	v_perm_b32 v91, v233, v184, 0x5040100
	v_perm_b32 v171, v231, v97, 0x7060302
	;; [unrolled: 1-line block ×6, first 2 shown]
	ds_load_b32 v96, v243 offset:9776
	s_waitcnt lgkmcnt(2)
	v_perm_b32 v94, v186, v95, 0x5040100
	v_perm_b32 v177, v186, v95, 0x7060302
	;; [unrolled: 1-line block ×3, first 2 shown]
	s_waitcnt lgkmcnt(1)
	v_perm_b32 v90, v130, v92, 0x5040100
	v_perm_b32 v173, v130, v92, 0x7060302
	;; [unrolled: 1-line block ×5, first 2 shown]
	s_delay_alu instid0(VALU_DEP_1)
	v_wmma_f16_16x16x16_f16 v[8:15], v[88:95], v[80:87], v[8:15]
	ds_load_b32 v95, v195 offset:2496
	v_wmma_f16_16x16x16_f16 v[8:15], v[171:178], v[80:87], v[8:15] op_sel:[0,0,1]
	v_add_nc_u32_e32 v80, 0x1800, v243
	ds_load_2addr_b32 v[80:81], v80 offset0:128 offset1:180
	s_waitcnt lgkmcnt(0)
	v_perm_b32 v88, v81, v80, 0x5040100
	v_perm_b32 v80, v81, v80, 0x7060302
	v_add_nc_u32_e32 v81, 0x1a00, v243
	ds_load_2addr_b32 v[81:82], v81 offset0:104 offset1:156
	s_waitcnt lgkmcnt(0)
	v_perm_b32 v89, v82, v81, 0x5040100
	v_perm_b32 v81, v82, v81, 0x7060302
	v_add_nc_u32_e32 v82, 0x300, v195
	ds_load_2addr_b32 v[83:84], v82 offset0:16 offset1:224
	v_add_nc_u32_e32 v82, 0x1c00, v243
	ds_load_2addr_b32 v[85:86], v82 offset0:132 offset1:184
	s_waitcnt lgkmcnt(0)
	v_perm_b32 v90, v85, v83, 0x5040100
	v_perm_b32 v82, v85, v83, 0x7060302
	v_add_nc_u32_e32 v83, 0x1e00, v243
	v_add_nc_u32_e32 v85, 0x2000, v243
	ds_load_2addr_b32 v[92:93], v83 offset0:108 offset1:212
	s_waitcnt lgkmcnt(0)
	v_perm_b32 v91, v92, v86, 0x5040100
	v_perm_b32 v83, v92, v86, 0x7060302
	ds_load_2addr_b32 v[85:86], v85 offset0:136 offset1:188
	v_perm_b32 v92, v93, v84, 0x5040100
	v_perm_b32 v84, v93, v84, 0x7060302
	s_waitcnt lgkmcnt(0)
	v_perm_b32 v93, v86, v85, 0x5040100
	v_perm_b32 v85, v86, v85, 0x7060302
	v_add_nc_u32_e32 v86, 0x2400, v243
	ds_load_2addr_b32 v[86:87], v86 offset0:36 offset1:88
	s_waitcnt lgkmcnt(0)
	s_barrier
	buffer_gl0_inv
	v_perm_b32 v94, v86, v95, 0x5040100
	v_perm_b32 v86, v86, v95, 0x7060302
	;; [unrolled: 1-line block ×4, first 2 shown]
	s_delay_alu instid0(VALU_DEP_2) | instskip(NEXT) | instid1(VALU_DEP_1)
	v_wmma_f16_16x16x16_f16 v[8:15], v[88:95], v[72:79], v[8:15]
	v_wmma_f16_16x16x16_f16 v[8:15], v[80:87], v[72:79], v[8:15] op_sel:[0,0,1]
	s_cbranch_scc1 .LBB14_250
.LBB14_251:                             ;   in Loop: Header=BB14_12 Depth=1
	s_lshl_b32 s64, s6, 6
	v_lshlrev_b32_e32 v73, 1, v131
	s_lshl_b64 s[4:5], s[64:65], 1
	v_dual_mov_b32 v95, s43 :: v_dual_add_nc_u32 v96, v237, v198
	v_add_co_u32 v72, vcc_lo, v247, s4
	v_add_co_ci_u32_e32 v74, vcc_lo, s5, v253, vcc_lo
	v_mov_b32_e32 v94, s42
	s_delay_alu instid0(VALU_DEP_3) | instskip(SKIP_1) | instid1(VALU_DEP_4)
	v_add_co_u32 v76, vcc_lo, v72, v73
	v_lshlrev_b64 v[72:73], 1, v[137:138]
	v_add_co_ci_u32_e32 v77, vcc_lo, 0, v74, vcc_lo
	v_lshlrev_b64 v[74:75], 1, v[135:136]
	s_mul_i32 s3, s13, s64
	s_mul_hi_u32 s5, s12, s64
	s_delay_alu instid0(VALU_DEP_3) | instskip(SKIP_1) | instid1(VALU_DEP_3)
	v_add_co_u32 v72, vcc_lo, v76, v72
	v_add_co_ci_u32_e32 v73, vcc_lo, v77, v73, vcc_lo
	v_add_co_u32 v74, vcc_lo, v76, v74
	v_add_co_ci_u32_e32 v75, vcc_lo, v77, v75, vcc_lo
	s_clause 0x1
	global_load_b32 v72, v[72:73], off
	global_load_b32 v73, v[74:75], off
	v_dual_mov_b32 v93, s41 :: v_dual_add_nc_u32 v74, v201, v128
	s_mul_i32 s4, s12, s64
	s_add_i32 s5, s5, s3
	s_delay_alu instid0(VALU_DEP_1)
	v_dual_mov_b32 v91, s39 :: v_dual_add_nc_u32 v74, 0x3400, v74
	s_lshl_b64 s[4:5], s[4:5], 2
	v_dual_mov_b32 v92, s40 :: v_dual_mov_b32 v89, s37
	s_add_u32 s3, s97, s4
	s_addc_u32 s4, s98, s5
	v_mov_b32_e32 v90, s38
	v_mov_b32_e32 v88, s36
	s_mul_hi_u32 s5, s10, s64
	s_waitcnt vmcnt(0)
	ds_store_2addr_b32 v74, v72, v73 offset1:144
	v_add_co_u32 v72, vcc_lo, s3, v103
	v_add_co_ci_u32_e32 v73, vcc_lo, s4, v104, vcc_lo
	s_delay_alu instid0(VALU_DEP_2) | instskip(NEXT) | instid1(VALU_DEP_2)
	v_add_co_u32 v72, vcc_lo, v72, v227
	v_add_co_ci_u32_e32 v73, vcc_lo, 0, v73, vcc_lo
	v_add_co_u32 v74, vcc_lo, s3, v113
	v_add_co_ci_u32_e32 v75, vcc_lo, s4, v114, vcc_lo
	s_delay_alu instid0(VALU_DEP_2) | instskip(NEXT) | instid1(VALU_DEP_2)
	v_add_co_u32 v76, vcc_lo, v74, v227
	v_add_co_ci_u32_e32 v77, vcc_lo, 0, v75, vcc_lo
	s_clause 0x1
	global_load_b128 v[72:75], v[72:73], off offset:128
	global_load_b128 v[76:79], v[76:77], off offset:128
	s_waitcnt vmcnt(1)
	ds_store_b128 v199, v[72:75]
	s_waitcnt vmcnt(0)
	ds_store_b128 v200, v[76:79]
	v_add_co_u32 v72, vcc_lo, s3, v115
	v_add_co_ci_u32_e32 v73, vcc_lo, s4, v116, vcc_lo
	s_delay_alu instid0(VALU_DEP_2) | instskip(NEXT) | instid1(VALU_DEP_2)
	v_add_co_u32 v72, vcc_lo, v72, v228
	v_add_co_ci_u32_e32 v73, vcc_lo, 0, v73, vcc_lo
	v_add_co_u32 v74, vcc_lo, s3, v117
	v_add_co_ci_u32_e32 v75, vcc_lo, s4, v118, vcc_lo
	s_delay_alu instid0(VALU_DEP_2) | instskip(NEXT) | instid1(VALU_DEP_2)
	v_add_co_u32 v76, vcc_lo, v74, v228
	v_add_co_ci_u32_e32 v77, vcc_lo, 0, v75, vcc_lo
	s_clause 0x1
	global_load_b128 v[72:75], v[72:73], off
	global_load_b128 v[76:79], v[76:77], off
	s_waitcnt vmcnt(1)
	ds_store_b128 v191, v[72:75]
	s_waitcnt vmcnt(0)
	ds_store_b128 v225, v[76:79]
	v_add_co_u32 v72, vcc_lo, s3, v119
	v_add_co_ci_u32_e32 v73, vcc_lo, s4, v120, vcc_lo
	s_delay_alu instid0(VALU_DEP_2) | instskip(NEXT) | instid1(VALU_DEP_2)
	v_add_co_u32 v72, vcc_lo, v72, v228
	v_add_co_ci_u32_e32 v73, vcc_lo, 0, v73, vcc_lo
	v_add_co_u32 v74, vcc_lo, s3, v121
	v_add_co_ci_u32_e32 v75, vcc_lo, s4, v122, vcc_lo
	s_mul_i32 s3, s11, s64
	s_delay_alu instid0(VALU_DEP_2) | instskip(NEXT) | instid1(VALU_DEP_2)
	v_add_co_u32 v76, vcc_lo, v74, v228
	v_add_co_ci_u32_e32 v77, vcc_lo, 0, v75, vcc_lo
	s_clause 0x1
	global_load_b128 v[72:75], v[72:73], off
	global_load_b128 v[76:79], v[76:77], off
	v_cmp_lt_i32_e32 vcc_lo, v125, v144
	s_mul_i32 s4, s10, s64
	s_add_i32 s5, s5, s3
	s_waitcnt vmcnt(1)
	ds_store_b128 v226, v[72:75]
	s_waitcnt vmcnt(0)
	ds_store_b128 v241, v[76:79]
	s_waitcnt lgkmcnt(0)
	s_barrier
	buffer_gl0_inv
	ds_load_b128 v[72:75], v96
	ds_load_b128 v[76:79], v96 offset:16
	ds_load_b128 v[80:83], v96 offset:6656
	;; [unrolled: 1-line block ×3, first 2 shown]
	s_lshl_b64 s[4:5], s[4:5], 2
	s_delay_alu instid0(SALU_CYCLE_1)
	s_add_u32 s3, s95, s4
	s_addc_u32 s4, s96, s5
	v_cmp_eq_u32_e64 s5, 1, v188
	s_cmp_lg_u64 s[72:73], 0
	s_waitcnt lgkmcnt(2)
	v_wmma_f32_16x16x16_f16 v[135:142], v[72:79], v[32:39], v[88:95]
	s_waitcnt lgkmcnt(0)
	v_wmma_f32_16x16x16_f16 v[146:153], v[80:87], v[32:39], v[88:95]
	ds_load_b128 v[32:35], v96 offset:32
	ds_load_b128 v[36:39], v96 offset:48
	v_add_nc_u32_e32 v72, 0x800, v193
	v_add_nc_u32_e32 v94, 0xc00, v193
	s_waitcnt lgkmcnt(0)
	v_wmma_f32_16x16x16_f16 v[135:142], v[32:39], v[24:31], v[135:142]
	ds_load_b128 v[32:35], v96 offset:6688
	ds_load_b128 v[36:39], v96 offset:6704
	s_waitcnt lgkmcnt(0)
	v_wmma_f32_16x16x16_f16 v[146:153], v[32:39], v[24:31], v[146:153]
	ds_load_b128 v[24:27], v96 offset:64
	ds_load_b128 v[28:31], v96 offset:80
	;; [unrolled: 4-line block ×4, first 2 shown]
	v_add_nc_u32_e32 v40, 0x200, v193
	s_waitcnt lgkmcnt(0)
	v_wmma_f32_16x16x16_f16 v[135:142], v[24:31], v[48:55], v[135:142]
	ds_load_b128 v[24:27], v96 offset:6752
	ds_load_b128 v[28:31], v96 offset:6768
	s_waitcnt lgkmcnt(0)
	v_wmma_f32_16x16x16_f16 v[146:153], v[24:31], v[48:55], v[146:153]
	ds_load_b128 v[24:27], v96 offset:128
	ds_load_b128 v[28:31], v96 offset:144
	v_add_nc_u32_e32 v52, 0xa00, v193
	s_waitcnt lgkmcnt(0)
	v_wmma_f32_16x16x16_f16 v[135:142], v[24:31], v[56:63], v[135:142]
	ds_load_b128 v[24:27], v96 offset:6784
	ds_load_b128 v[28:31], v96 offset:6800
	s_waitcnt lgkmcnt(0)
	v_wmma_f32_16x16x16_f16 v[146:153], v[24:31], v[56:63], v[146:153]
	ds_load_b128 v[24:27], v96 offset:160
	ds_load_b128 v[28:31], v96 offset:176
	;; [unrolled: 4-line block ×3, first 2 shown]
	s_waitcnt lgkmcnt(0)
	s_barrier
	buffer_gl0_inv
	v_add_nc_u32_e32 v96, 0x300, v243
	v_wmma_f32_16x16x16_f16 v[146:153], v[24:31], v[64:71], v[146:153]
	ds_load_u16 v24, v196 offset:13312
	ds_load_u16 v25, v196 offset:13316
	;; [unrolled: 1-line block ×16, first 2 shown]
	v_add_nc_u32_e32 v66, 0x400, v193
	s_waitcnt lgkmcnt(15)
	v_cvt_f32_f16_e32 v24, v24
	s_waitcnt lgkmcnt(14)
	v_cvt_f32_f16_e32 v25, v25
	;; [unrolled: 2-line block ×5, first 2 shown]
	v_cvt_f32_f16_e32 v29, v29
	v_cvt_f32_f16_e32 v30, v30
	v_dual_add_f32 v24, v135, v24 :: v_dual_add_f32 v25, v136, v25
	s_waitcnt lgkmcnt(6)
	v_cvt_f32_f16_e32 v33, v33
	v_add_f32_e32 v29, v140, v29
	s_waitcnt lgkmcnt(0)
	v_cvt_f32_f16_e32 v39, v39
	v_cvt_f32_f16_e32 v28, v28
	;; [unrolled: 1-line block ×3, first 2 shown]
	v_dual_add_f32 v26, v137, v26 :: v_dual_add_f32 v27, v138, v27
	v_dual_add_f32 v30, v141, v30 :: v_dual_add_f32 v83, v147, v33
	v_cvt_f32_f16_e32 v34, v34
	v_cvt_f32_f16_e32 v37, v37
	;; [unrolled: 1-line block ×3, first 2 shown]
	v_add_f32_e32 v82, v146, v32
	v_dual_add_f32 v76, v153, v39 :: v_dual_add_f32 v33, 0x40051340, v25
	v_add_f32_e32 v32, 0x40051340, v24
	v_dual_add_f32 v28, v139, v28 :: v_dual_add_f32 v81, v148, v34
	v_dual_add_f32 v31, v142, v31 :: v_dual_add_f32 v78, v151, v37
	s_delay_alu instid0(VALU_DEP_3) | instskip(SKIP_4) | instid1(VALU_DEP_4)
	v_max3_f32 v32, v145, v32, v33
	v_dual_add_f32 v33, 0x40051340, v26 :: v_dual_add_f32 v34, 0x40051340, v27
	v_add_f32_e32 v77, v152, v38
	v_cvt_f32_f16_e32 v35, v35
	v_cvt_f32_f16_e32 v36, v36
	v_max3_f32 v32, v32, v33, v34
	v_dual_add_f32 v33, 0x40051340, v28 :: v_dual_add_f32 v34, 0x40051340, v29
	s_delay_alu instid0(VALU_DEP_3) | instskip(NEXT) | instid1(VALU_DEP_2)
	v_dual_add_f32 v80, v149, v35 :: v_dual_add_f32 v79, v150, v36
	v_max3_f32 v32, v32, v33, v34
	v_dual_add_f32 v33, 0x40051340, v30 :: v_dual_add_f32 v34, 0x40051340, v31
	s_delay_alu instid0(VALU_DEP_1) | instskip(SKIP_1) | instid1(VALU_DEP_1)
	v_max3_f32 v32, v32, v33, v34
	v_dual_add_f32 v33, 0x40051340, v82 :: v_dual_add_f32 v34, 0x40051340, v83
	v_max3_f32 v32, v32, v33, v34
	v_dual_add_f32 v33, 0x40051340, v81 :: v_dual_add_f32 v34, 0x40051340, v80
	s_delay_alu instid0(VALU_DEP_1) | instskip(SKIP_1) | instid1(VALU_DEP_1)
	v_max3_f32 v32, v32, v33, v34
	;; [unrolled: 5-line block ×3, first 2 shown]
	v_cndmask_b32_e32 v33, v252, v125, vcc_lo
	v_lshlrev_b32_e32 v74, 2, v33
	ds_bpermute_b32 v33, v74, v32
	s_waitcnt lgkmcnt(0)
	v_max_f32_e32 v33, v33, v33
	s_delay_alu instid0(VALU_DEP_1) | instskip(NEXT) | instid1(VALU_DEP_1)
	v_max_f32_e32 v75, v32, v33
	v_sub_f32_e32 v32, v145, v75
	s_delay_alu instid0(VALU_DEP_1) | instskip(SKIP_1) | instid1(VALU_DEP_2)
	v_mul_f32_e32 v33, 0x3fb8aa3b, v32
	v_cmp_ngt_f32_e32 vcc_lo, 0xc2ce8ed0, v32
	v_fma_f32 v34, 0x3fb8aa3b, v32, -v33
	v_rndne_f32_e32 v35, v33
	s_delay_alu instid0(VALU_DEP_2) | instskip(NEXT) | instid1(VALU_DEP_2)
	v_dual_fmac_f32 v34, 0x32a5705f, v32 :: v_dual_sub_f32 v25, v25, v75
	v_sub_f32_e32 v33, v33, v35
	v_sub_f32_e32 v24, v24, v75
	;; [unrolled: 1-line block ×4, first 2 shown]
	s_delay_alu instid0(VALU_DEP_4) | instskip(SKIP_1) | instid1(VALU_DEP_4)
	v_dual_sub_f32 v28, v28, v75 :: v_dual_add_f32 v33, v33, v34
	v_cvt_i32_f32_e32 v34, v35
	v_cmp_ngt_f32_e64 s6, 0xc2ce8ed0, v26
	v_sub_f32_e32 v30, v30, v75
	s_delay_alu instid0(VALU_DEP_4) | instskip(SKIP_2) | instid1(VALU_DEP_1)
	v_exp_f32_e32 v33, v33
	s_waitcnt_depctr 0xfff
	v_ldexp_f32 v33, v33, v34
	v_cndmask_b32_e32 v33, 0, v33, vcc_lo
	v_cmp_nlt_f32_e32 vcc_lo, 0x42b17218, v32
	s_delay_alu instid0(VALU_DEP_2) | instskip(SKIP_1) | instid1(VALU_DEP_2)
	v_cndmask_b32_e32 v33, 0x7f800000, v33, vcc_lo
	v_cmp_le_f32_e32 vcc_lo, 0xc1a00000, v32
	v_cndmask_b32_e32 v84, 0, v33, vcc_lo
	s_delay_alu instid0(VALU_DEP_1) | instskip(NEXT) | instid1(VALU_DEP_1)
	v_cvt_f16_f32_e32 v32, v84
	v_pk_mul_f16 v0, v32, v0 op_sel_hi:[0,1]
	v_pk_mul_f16 v1, v32, v1 op_sel_hi:[0,1]
	;; [unrolled: 1-line block ×24, first 2 shown]
	v_add_co_u32 v32, vcc_lo, s3, v99
	v_add_co_ci_u32_e32 v33, vcc_lo, s4, v100, vcc_lo
	s_delay_alu instid0(VALU_DEP_2) | instskip(NEXT) | instid1(VALU_DEP_2)
	v_add_co_u32 v32, vcc_lo, v32, v227
	v_add_co_ci_u32_e32 v33, vcc_lo, 0, v33, vcc_lo
	v_add_co_u32 v34, vcc_lo, s3, v101
	v_add_co_ci_u32_e32 v35, vcc_lo, s4, v102, vcc_lo
	s_delay_alu instid0(VALU_DEP_2) | instskip(NEXT) | instid1(VALU_DEP_2)
	v_add_co_u32 v36, vcc_lo, v34, v227
	v_add_co_ci_u32_e32 v37, vcc_lo, 0, v35, vcc_lo
	s_clause 0x1
	global_load_b128 v[32:35], v[32:33], off offset:128
	global_load_b128 v[36:39], v[36:37], off offset:128
	s_waitcnt vmcnt(1)
	ds_store_b128 v199, v[32:35]
	s_waitcnt vmcnt(0)
	ds_store_b128 v200, v[36:39]
	v_add_co_u32 v32, vcc_lo, s3, v105
	v_add_co_ci_u32_e32 v33, vcc_lo, s4, v106, vcc_lo
	s_delay_alu instid0(VALU_DEP_2) | instskip(NEXT) | instid1(VALU_DEP_2)
	v_add_co_u32 v32, vcc_lo, v32, v228
	v_add_co_ci_u32_e32 v33, vcc_lo, 0, v33, vcc_lo
	v_add_co_u32 v34, vcc_lo, s3, v107
	v_add_co_ci_u32_e32 v35, vcc_lo, s4, v108, vcc_lo
	s_delay_alu instid0(VALU_DEP_2) | instskip(NEXT) | instid1(VALU_DEP_2)
	v_add_co_u32 v36, vcc_lo, v34, v228
	v_add_co_ci_u32_e32 v37, vcc_lo, 0, v35, vcc_lo
	s_clause 0x1
	global_load_b128 v[32:35], v[32:33], off
	global_load_b128 v[36:39], v[36:37], off
	s_waitcnt vmcnt(1)
	ds_store_b128 v191, v[32:35]
	s_waitcnt vmcnt(0)
	ds_store_b128 v225, v[36:39]
	v_add_co_u32 v32, vcc_lo, s3, v109
	v_add_co_ci_u32_e32 v33, vcc_lo, s4, v110, vcc_lo
	s_delay_alu instid0(VALU_DEP_2) | instskip(NEXT) | instid1(VALU_DEP_2)
	v_add_co_u32 v32, vcc_lo, v32, v228
	v_add_co_ci_u32_e32 v33, vcc_lo, 0, v33, vcc_lo
	v_add_co_u32 v34, vcc_lo, s3, v111
	v_add_co_ci_u32_e32 v35, vcc_lo, s4, v112, vcc_lo
	v_cmp_ngt_f32_e64 s3, 0xc2ce8ed0, v24
	s_delay_alu instid0(VALU_DEP_3) | instskip(NEXT) | instid1(VALU_DEP_3)
	v_add_co_u32 v36, vcc_lo, v34, v228
	v_add_co_ci_u32_e32 v37, vcc_lo, 0, v35, vcc_lo
	s_clause 0x1
	global_load_b128 v[32:35], v[32:33], off
	global_load_b128 v[36:39], v[36:37], off
	s_waitcnt vmcnt(1)
	ds_store_b128 v226, v[32:35]
	s_waitcnt vmcnt(0)
	ds_store_b128 v241, v[36:39]
	v_mul_f32_e32 v32, 0x3fb8aa3b, v25
	v_cmp_eq_u32_e64 s4, 0, v188
	s_waitcnt lgkmcnt(0)
	s_barrier
	buffer_gl0_inv
	v_fma_f32 v33, 0x3fb8aa3b, v25, -v32
	v_rndne_f32_e32 v34, v32
	s_delay_alu instid0(VALU_DEP_1) | instskip(SKIP_1) | instid1(VALU_DEP_2)
	v_dual_fmac_f32 v33, 0x32a5705f, v25 :: v_dual_sub_f32 v32, v32, v34
	v_cvt_i32_f32_e32 v34, v34
	v_dual_add_f32 v32, v32, v33 :: v_dual_mul_f32 v33, 0x3fb8aa3b, v24
	v_cmp_ngt_f32_e32 vcc_lo, 0xc2ce8ed0, v25
	s_delay_alu instid0(VALU_DEP_2) | instskip(NEXT) | instid1(VALU_DEP_2)
	v_exp_f32_e32 v32, v32
	v_fma_f32 v35, 0x3fb8aa3b, v24, -v33
	v_rndne_f32_e32 v36, v33
	s_delay_alu instid0(VALU_DEP_2) | instskip(NEXT) | instid1(VALU_DEP_2)
	v_fmac_f32_e32 v35, 0x32a5705f, v24
	v_sub_f32_e32 v33, v33, v36
	s_waitcnt_depctr 0xfff
	v_ldexp_f32 v32, v32, v34
	v_cvt_i32_f32_e32 v34, v36
	s_delay_alu instid0(VALU_DEP_2) | instskip(SKIP_1) | instid1(VALU_DEP_2)
	v_cndmask_b32_e32 v32, 0, v32, vcc_lo
	v_cmp_nlt_f32_e32 vcc_lo, 0x42b17218, v25
	v_dual_add_f32 v33, v33, v35 :: v_dual_cndmask_b32 v86, 0x7f800000, v32
	s_delay_alu instid0(VALU_DEP_1)
	v_exp_f32_e32 v33, v33
	v_cmp_eq_u32_e32 vcc_lo, 1, v224
	v_sub_f32_e32 v29, v29, v75
	v_sub_f32_e32 v31, v31, v75
	ds_bpermute_b32 v32, v74, v86
	v_ldexp_f32 v33, v33, v34
	s_delay_alu instid0(VALU_DEP_1) | instskip(SKIP_1) | instid1(VALU_DEP_1)
	v_cndmask_b32_e64 v25, 0, v33, s3
	v_cmp_nlt_f32_e64 s3, 0x42b17218, v24
	v_cndmask_b32_e64 v85, 0x7f800000, v25, s3
	v_cmp_eq_u32_e64 s3, 0, v224
	ds_bpermute_b32 v24, v74, v85
	s_waitcnt lgkmcnt(0)
	v_cndmask_b32_e32 v25, v85, v24, vcc_lo
	v_cndmask_b32_e64 v24, v85, v24, s3
	s_delay_alu instid0(VALU_DEP_2) | instskip(NEXT) | instid1(VALU_DEP_2)
	v_cndmask_b32_e64 v34, v25, v86, s5
	v_cndmask_b32_e64 v33, v24, v86, s4
	v_cvt_f16_f32_e32 v24, v24
	v_cvt_f16_f32_e32 v25, v25
	s_delay_alu instid0(VALU_DEP_3) | instskip(SKIP_1) | instid1(VALU_DEP_3)
	v_cndmask_b32_e64 v33, v33, v32, s3
	v_cndmask_b32_e32 v32, v34, v32, vcc_lo
	v_pack_b32_f16 v24, v24, v25
	s_delay_alu instid0(VALU_DEP_3) | instskip(NEXT) | instid1(VALU_DEP_3)
	v_cvt_f16_f32_e32 v34, v33
	v_cvt_f16_f32_e32 v35, v32
	s_delay_alu instid0(VALU_DEP_1) | instskip(SKIP_1) | instid1(VALU_DEP_1)
	v_pack_b32_f16 v25, v34, v35
	v_mul_f32_e32 v34, 0x3fb8aa3b, v26
	v_fma_f32 v35, 0x3fb8aa3b, v26, -v34
	v_rndne_f32_e32 v36, v34
	s_delay_alu instid0(VALU_DEP_1) | instskip(NEXT) | instid1(VALU_DEP_1)
	v_dual_fmac_f32 v35, 0x32a5705f, v26 :: v_dual_sub_f32 v34, v34, v36
	v_add_f32_e32 v34, v34, v35
	v_cvt_i32_f32_e32 v35, v36
	s_delay_alu instid0(VALU_DEP_2) | instskip(SKIP_2) | instid1(VALU_DEP_1)
	v_exp_f32_e32 v34, v34
	s_waitcnt_depctr 0xfff
	v_ldexp_f32 v34, v34, v35
	v_cndmask_b32_e64 v34, 0, v34, s6
	v_cmp_nlt_f32_e64 s6, 0x42b17218, v26
	s_delay_alu instid0(VALU_DEP_1) | instskip(SKIP_1) | instid1(VALU_DEP_2)
	v_cndmask_b32_e64 v87, 0x7f800000, v34, s6
	v_cmp_ngt_f32_e64 s6, 0xc2ce8ed0, v27
	v_cndmask_b32_e64 v26, v33, v87, s4
	ds_bpermute_b32 v33, v74, v87
	v_cndmask_b32_e64 v32, v32, v87, s5
	s_waitcnt lgkmcnt(0)
	v_cndmask_b32_e64 v34, v26, v33, s3
	s_delay_alu instid0(VALU_DEP_2) | instskip(NEXT) | instid1(VALU_DEP_2)
	v_cndmask_b32_e32 v32, v32, v33, vcc_lo
	v_cvt_f16_f32_e32 v26, v34
	s_delay_alu instid0(VALU_DEP_2) | instskip(NEXT) | instid1(VALU_DEP_1)
	v_cvt_f16_f32_e32 v33, v32
	v_pack_b32_f16 v26, v26, v33
	v_mul_f32_e32 v33, 0x3fb8aa3b, v27
	s_delay_alu instid0(VALU_DEP_1) | instskip(SKIP_1) | instid1(VALU_DEP_2)
	v_fma_f32 v35, 0x3fb8aa3b, v27, -v33
	v_rndne_f32_e32 v36, v33
	v_fmac_f32_e32 v35, 0x32a5705f, v27
	s_delay_alu instid0(VALU_DEP_2) | instskip(NEXT) | instid1(VALU_DEP_1)
	v_sub_f32_e32 v33, v33, v36
	v_add_f32_e32 v33, v33, v35
	v_cvt_i32_f32_e32 v35, v36
	s_delay_alu instid0(VALU_DEP_2) | instskip(SKIP_2) | instid1(VALU_DEP_1)
	v_exp_f32_e32 v33, v33
	s_waitcnt_depctr 0xfff
	v_ldexp_f32 v33, v33, v35
	v_cndmask_b32_e64 v33, 0, v33, s6
	v_cmp_nlt_f32_e64 s6, 0x42b17218, v27
	s_delay_alu instid0(VALU_DEP_1)
	v_cndmask_b32_e64 v88, 0x7f800000, v33, s6
	v_cmp_ngt_f32_e64 s6, 0xc2ce8ed0, v28
	ds_bpermute_b32 v33, v74, v88
	v_cndmask_b32_e64 v27, v34, v88, s4
	v_cndmask_b32_e64 v32, v32, v88, s5
	s_waitcnt lgkmcnt(0)
	s_delay_alu instid0(VALU_DEP_2) | instskip(NEXT) | instid1(VALU_DEP_2)
	v_cndmask_b32_e64 v34, v27, v33, s3
	v_cndmask_b32_e32 v32, v32, v33, vcc_lo
	s_delay_alu instid0(VALU_DEP_2) | instskip(NEXT) | instid1(VALU_DEP_2)
	v_cvt_f16_f32_e32 v27, v34
	v_cvt_f16_f32_e32 v33, v32
	s_delay_alu instid0(VALU_DEP_1) | instskip(SKIP_1) | instid1(VALU_DEP_1)
	v_pack_b32_f16 v27, v27, v33
	v_mul_f32_e32 v33, 0x3fb8aa3b, v28
	v_fma_f32 v35, 0x3fb8aa3b, v28, -v33
	v_rndne_f32_e32 v36, v33
	s_delay_alu instid0(VALU_DEP_2) | instskip(NEXT) | instid1(VALU_DEP_2)
	v_fmac_f32_e32 v35, 0x32a5705f, v28
	v_sub_f32_e32 v33, v33, v36
	s_delay_alu instid0(VALU_DEP_1) | instskip(SKIP_1) | instid1(VALU_DEP_2)
	v_add_f32_e32 v33, v33, v35
	v_cvt_i32_f32_e32 v35, v36
	v_exp_f32_e32 v33, v33
	s_waitcnt_depctr 0xfff
	v_ldexp_f32 v33, v33, v35
	s_delay_alu instid0(VALU_DEP_1) | instskip(SKIP_1) | instid1(VALU_DEP_1)
	v_cndmask_b32_e64 v33, 0, v33, s6
	v_cmp_nlt_f32_e64 s6, 0x42b17218, v28
	v_cndmask_b32_e64 v89, 0x7f800000, v33, s6
	v_cmp_ngt_f32_e64 s6, 0xc2ce8ed0, v29
	ds_bpermute_b32 v33, v74, v89
	v_cndmask_b32_e64 v28, v34, v89, s4
	v_cndmask_b32_e64 v32, v32, v89, s5
	s_waitcnt lgkmcnt(0)
	s_delay_alu instid0(VALU_DEP_2) | instskip(NEXT) | instid1(VALU_DEP_2)
	v_cndmask_b32_e64 v34, v28, v33, s3
	v_cndmask_b32_e32 v32, v32, v33, vcc_lo
	s_delay_alu instid0(VALU_DEP_2) | instskip(NEXT) | instid1(VALU_DEP_2)
	v_cvt_f16_f32_e32 v28, v34
	v_cvt_f16_f32_e32 v33, v32
	s_delay_alu instid0(VALU_DEP_1) | instskip(SKIP_1) | instid1(VALU_DEP_1)
	v_pack_b32_f16 v28, v28, v33
	v_mul_f32_e32 v33, 0x3fb8aa3b, v29
	v_fma_f32 v35, 0x3fb8aa3b, v29, -v33
	v_rndne_f32_e32 v36, v33
	s_delay_alu instid0(VALU_DEP_2) | instskip(NEXT) | instid1(VALU_DEP_2)
	v_fmac_f32_e32 v35, 0x32a5705f, v29
	v_sub_f32_e32 v33, v33, v36
	s_delay_alu instid0(VALU_DEP_1) | instskip(SKIP_1) | instid1(VALU_DEP_2)
	v_add_f32_e32 v33, v33, v35
	v_cvt_i32_f32_e32 v35, v36
	v_exp_f32_e32 v33, v33
	s_waitcnt_depctr 0xfff
	v_ldexp_f32 v33, v33, v35
	s_delay_alu instid0(VALU_DEP_1) | instskip(SKIP_1) | instid1(VALU_DEP_1)
	v_cndmask_b32_e64 v33, 0, v33, s6
	v_cmp_nlt_f32_e64 s6, 0x42b17218, v29
	;; [unrolled: 29-line block ×4, first 2 shown]
	v_cndmask_b32_e64 v92, 0x7f800000, v33, s6
	ds_bpermute_b32 v33, v74, v92
	v_cndmask_b32_e64 v31, v34, v92, s4
	v_cndmask_b32_e64 v32, v32, v92, s5
	s_waitcnt lgkmcnt(0)
	s_delay_alu instid0(VALU_DEP_2) | instskip(NEXT) | instid1(VALU_DEP_2)
	v_cndmask_b32_e64 v31, v31, v33, s3
	v_cndmask_b32_e32 v32, v32, v33, vcc_lo
	s_delay_alu instid0(VALU_DEP_2) | instskip(NEXT) | instid1(VALU_DEP_2)
	v_cvt_f16_f32_e32 v31, v31
	v_cvt_f16_f32_e32 v32, v32
	s_delay_alu instid0(VALU_DEP_1)
	v_pack_b32_f16 v31, v31, v32
	ds_load_2addr_b32 v[36:37], v193 offset1:16
	ds_load_2addr_b32 v[32:33], v193 offset0:32 offset1:52
	ds_load_2addr_b32 v[38:39], v193 offset0:104 offset1:120
	;; [unrolled: 1-line block ×12, first 2 shown]
	s_waitcnt lgkmcnt(11)
	v_perm_b32 v58, v33, v36, 0x5040100
	s_waitcnt lgkmcnt(9)
	v_perm_b32 v59, v35, v38, 0x5040100
	s_waitcnt lgkmcnt(8)
	v_perm_b32 v60, v45, v44, 0x5040100
	s_waitcnt lgkmcnt(6)
	v_perm_b32 v61, v41, v42, 0x5040100
	s_waitcnt lgkmcnt(5)
	v_perm_b32 v62, v49, v48, 0x5040100
	s_waitcnt lgkmcnt(3)
	v_perm_b32 v63, v47, v50, 0x5040100
	s_waitcnt lgkmcnt(2)
	v_perm_b32 v64, v55, v54, 0x5040100
	s_waitcnt lgkmcnt(0)
	v_perm_b32 v65, v53, v56, 0x5040100
	s_delay_alu instid0(VALU_DEP_1)
	v_wmma_f16_16x16x16_f16 v[0:7], v[58:65], v[24:31], v[0:7]
	v_add_nc_u32_e32 v62, 0x300, v223
	ds_load_2addr_b32 v[58:59], v193 offset0:68 offset1:84
	ds_load_2addr_b32 v[60:61], v193 offset0:172 offset1:188
	;; [unrolled: 1-line block ×7, first 2 shown]
	ds_load_b32 v93, v223 offset:2496
	ds_load_2addr_b32 v[72:73], v72 offset0:180 offset1:196
	ds_load_b32 v98, v223 offset:9776
	ds_load_b32 v125, v222 offset:2496
	ds_load_2addr_b32 v[94:95], v94 offset0:28 offset1:44
	ds_load_2addr_b32 v[96:97], v96 offset0:16 offset1:224
	ds_load_b32 v129, v243 offset:2496
	ds_load_b32 v130, v243 offset:9776
	ds_load_b32 v144, v194 offset:2496
	s_waitcnt lgkmcnt(15)
	v_perm_b32 v135, v58, v37, 0x5040100
	s_waitcnt lgkmcnt(14)
	v_perm_b32 v136, v60, v39, 0x5040100
	;; [unrolled: 2-line block ×8, first 2 shown]
	s_delay_alu instid0(VALU_DEP_1)
	v_wmma_f16_16x16x16_f16 v[16:23], v[135:142], v[24:31], v[16:23]
	v_perm_b32 v135, v59, v32, 0x5040100
	v_perm_b32 v136, v61, v34, 0x5040100
	s_waitcnt lgkmcnt(3)
	v_perm_b32 v137, v63, v96, 0x5040100
	v_perm_b32 v138, v65, v40, 0x5040100
	;; [unrolled: 1-line block ×4, first 2 shown]
	s_waitcnt lgkmcnt(2)
	v_perm_b32 v141, v73, v129, 0x5040100
	v_perm_b32 v142, v95, v52, 0x5040100
	v_perm_b32 v32, v59, v32, 0x7060302
	s_delay_alu instid0(VALU_DEP_2)
	v_wmma_f16_16x16x16_f16 v[8:15], v[135:142], v[24:31], v[8:15]
	v_perm_b32 v137, v45, v44, 0x7060302
	v_perm_b32 v139, v49, v48, 0x7060302
	;; [unrolled: 1-line block ×12, first 2 shown]
	v_wmma_f16_16x16x16_f16 v[0:7], v[135:142], v[24:31], v[0:7] op_sel:[0,0,1]
	v_perm_b32 v135, v58, v37, 0x7060302
	v_perm_b32 v136, v60, v39, 0x7060302
	v_perm_b32 v138, v64, v43, 0x7060302
	v_perm_b32 v137, v62, v70, 0x7060302
	v_perm_b32 v139, v66, v71, 0x7060302
	v_perm_b32 v140, v68, v51, 0x7060302
	v_perm_b32 v142, v94, v57, 0x7060302
	v_perm_b32 v141, v72, v93, 0x7060302
	v_perm_b32 v37, v69, v46, 0x7060302
	v_perm_b32 v39, v95, v52, 0x7060302
	v_perm_b32 v38, v73, v129, 0x7060302
	s_delay_alu instid0(VALU_DEP_4) | instskip(NEXT) | instid1(VALU_DEP_2)
	v_wmma_f16_16x16x16_f16 v[16:23], v[135:142], v[24:31], v[16:23] op_sel:[0,0,1]
	v_wmma_f16_16x16x16_f16 v[8:15], v[32:39], v[24:31], v[8:15] op_sel:[0,0,1]
	v_dual_sub_f32 v24, v83, v75 :: v_dual_add_nc_u32 v37, 0x2000, v193
	v_add_nc_u32_e32 v38, 0x2400, v193
	s_delay_alu instid0(VALU_DEP_2) | instskip(SKIP_1) | instid1(VALU_DEP_2)
	v_mul_f32_e32 v25, 0x3fb8aa3b, v24
	v_cmp_ngt_f32_e64 s6, 0xc2ce8ed0, v24
	v_fma_f32 v26, 0x3fb8aa3b, v24, -v25
	v_rndne_f32_e32 v27, v25
	s_delay_alu instid0(VALU_DEP_1) | instskip(SKIP_1) | instid1(VALU_DEP_2)
	v_dual_fmac_f32 v26, 0x32a5705f, v24 :: v_dual_sub_f32 v25, v25, v27
	v_cvt_i32_f32_e32 v27, v27
	v_dual_add_f32 v25, v25, v26 :: v_dual_sub_f32 v26, v82, v75
	s_delay_alu instid0(VALU_DEP_1) | instskip(NEXT) | instid1(VALU_DEP_1)
	v_exp_f32_e32 v25, v25
	v_mul_f32_e32 v28, 0x3fb8aa3b, v26
	v_cmp_ngt_f32_e64 s7, 0xc2ce8ed0, v26
	s_delay_alu instid0(VALU_DEP_2)
	v_fma_f32 v29, 0x3fb8aa3b, v26, -v28
	v_rndne_f32_e32 v30, v28
	s_waitcnt_depctr 0xfff
	v_ldexp_f32 v25, v25, v27
	v_fmac_f32_e32 v29, 0x32a5705f, v26
	v_sub_f32_e32 v28, v28, v30
	s_delay_alu instid0(VALU_DEP_3) | instskip(SKIP_1) | instid1(VALU_DEP_3)
	v_cndmask_b32_e64 v25, 0, v25, s6
	v_cmp_nlt_f32_e64 s6, 0x42b17218, v24
	v_add_f32_e32 v28, v28, v29
	s_delay_alu instid0(VALU_DEP_2) | instskip(NEXT) | instid1(VALU_DEP_2)
	v_cndmask_b32_e64 v55, 0x7f800000, v25, s6
	v_exp_f32_e32 v27, v28
	v_cvt_i32_f32_e32 v28, v30
	s_waitcnt_depctr 0xfff
	v_ldexp_f32 v27, v27, v28
	s_delay_alu instid0(VALU_DEP_1)
	v_cndmask_b32_e64 v24, 0, v27, s7
	v_cmp_nlt_f32_e64 s7, 0x42b17218, v26
	ds_bpermute_b32 v26, v74, v55
	v_cndmask_b32_e64 v54, 0x7f800000, v24, s7
	ds_bpermute_b32 v24, v74, v54
	s_waitcnt lgkmcnt(0)
	v_cndmask_b32_e32 v25, v54, v24, vcc_lo
	v_cndmask_b32_e64 v24, v54, v24, s3
	s_delay_alu instid0(VALU_DEP_2) | instskip(NEXT) | instid1(VALU_DEP_2)
	v_cndmask_b32_e64 v28, v25, v55, s5
	v_cndmask_b32_e64 v27, v24, v55, s4
	v_cvt_f16_f32_e32 v24, v24
	v_cvt_f16_f32_e32 v25, v25
	s_delay_alu instid0(VALU_DEP_3) | instskip(SKIP_1) | instid1(VALU_DEP_3)
	v_cndmask_b32_e64 v27, v27, v26, s3
	v_cndmask_b32_e32 v26, v28, v26, vcc_lo
	v_pack_b32_f16 v24, v24, v25
	s_delay_alu instid0(VALU_DEP_3) | instskip(NEXT) | instid1(VALU_DEP_3)
	v_cvt_f16_f32_e32 v28, v27
	v_cvt_f16_f32_e32 v29, v26
	s_delay_alu instid0(VALU_DEP_1) | instskip(SKIP_1) | instid1(VALU_DEP_1)
	v_pack_b32_f16 v25, v28, v29
	v_sub_f32_e32 v28, v81, v75
	v_mul_f32_e32 v29, 0x3fb8aa3b, v28
	v_cmp_ngt_f32_e64 s6, 0xc2ce8ed0, v28
	s_delay_alu instid0(VALU_DEP_2) | instskip(SKIP_1) | instid1(VALU_DEP_1)
	v_fma_f32 v30, 0x3fb8aa3b, v28, -v29
	v_rndne_f32_e32 v31, v29
	v_dual_fmac_f32 v30, 0x32a5705f, v28 :: v_dual_sub_f32 v29, v29, v31
	s_delay_alu instid0(VALU_DEP_1) | instskip(SKIP_1) | instid1(VALU_DEP_2)
	v_add_f32_e32 v29, v29, v30
	v_cvt_i32_f32_e32 v30, v31
	v_exp_f32_e32 v29, v29
	s_waitcnt_depctr 0xfff
	v_ldexp_f32 v29, v29, v30
	s_delay_alu instid0(VALU_DEP_1) | instskip(SKIP_1) | instid1(VALU_DEP_1)
	v_cndmask_b32_e64 v29, 0, v29, s6
	v_cmp_nlt_f32_e64 s6, 0x42b17218, v28
	v_cndmask_b32_e64 v56, 0x7f800000, v29, s6
	ds_bpermute_b32 v28, v74, v56
	v_cndmask_b32_e64 v27, v27, v56, s4
	v_cndmask_b32_e64 v26, v26, v56, s5
	s_waitcnt lgkmcnt(0)
	s_delay_alu instid0(VALU_DEP_2) | instskip(NEXT) | instid1(VALU_DEP_2)
	v_cndmask_b32_e64 v27, v27, v28, s3
	v_cndmask_b32_e32 v28, v26, v28, vcc_lo
	s_delay_alu instid0(VALU_DEP_2) | instskip(NEXT) | instid1(VALU_DEP_2)
	v_cvt_f16_f32_e32 v26, v27
	v_cvt_f16_f32_e32 v29, v28
	s_delay_alu instid0(VALU_DEP_1) | instskip(SKIP_1) | instid1(VALU_DEP_1)
	v_pack_b32_f16 v26, v26, v29
	v_sub_f32_e32 v29, v80, v75
	v_mul_f32_e32 v30, 0x3fb8aa3b, v29
	v_cmp_ngt_f32_e64 s6, 0xc2ce8ed0, v29
	s_delay_alu instid0(VALU_DEP_2) | instskip(SKIP_1) | instid1(VALU_DEP_1)
	v_fma_f32 v31, 0x3fb8aa3b, v29, -v30
	v_rndne_f32_e32 v32, v30
	v_dual_fmac_f32 v31, 0x32a5705f, v29 :: v_dual_sub_f32 v30, v30, v32
	s_delay_alu instid0(VALU_DEP_1) | instskip(SKIP_1) | instid1(VALU_DEP_2)
	v_add_f32_e32 v30, v30, v31
	v_cvt_i32_f32_e32 v31, v32
	v_exp_f32_e32 v30, v30
	s_waitcnt_depctr 0xfff
	v_ldexp_f32 v30, v30, v31
	s_delay_alu instid0(VALU_DEP_1) | instskip(SKIP_1) | instid1(VALU_DEP_1)
	v_cndmask_b32_e64 v30, 0, v30, s6
	v_cmp_nlt_f32_e64 s6, 0x42b17218, v29
	v_cndmask_b32_e64 v57, 0x7f800000, v30, s6
	ds_bpermute_b32 v29, v74, v57
	v_cndmask_b32_e64 v27, v27, v57, s4
	v_cndmask_b32_e64 v28, v28, v57, s5
	s_waitcnt lgkmcnt(0)
	s_delay_alu instid0(VALU_DEP_2) | instskip(NEXT) | instid1(VALU_DEP_2)
	v_cndmask_b32_e64 v30, v27, v29, s3
	v_cndmask_b32_e32 v28, v28, v29, vcc_lo
	s_delay_alu instid0(VALU_DEP_2) | instskip(NEXT) | instid1(VALU_DEP_2)
	v_cvt_f16_f32_e32 v27, v30
	v_cvt_f16_f32_e32 v29, v28
	s_delay_alu instid0(VALU_DEP_1) | instskip(SKIP_1) | instid1(VALU_DEP_1)
	v_pack_b32_f16 v27, v27, v29
	v_sub_f32_e32 v29, v79, v75
	v_mul_f32_e32 v31, 0x3fb8aa3b, v29
	v_cmp_ngt_f32_e64 s6, 0xc2ce8ed0, v29
	s_delay_alu instid0(VALU_DEP_2) | instskip(SKIP_1) | instid1(VALU_DEP_2)
	v_fma_f32 v32, 0x3fb8aa3b, v29, -v31
	v_rndne_f32_e32 v33, v31
	v_fmac_f32_e32 v32, 0x32a5705f, v29
	s_delay_alu instid0(VALU_DEP_2) | instskip(NEXT) | instid1(VALU_DEP_1)
	v_sub_f32_e32 v31, v31, v33
	v_add_f32_e32 v31, v31, v32
	v_cvt_i32_f32_e32 v32, v33
	s_delay_alu instid0(VALU_DEP_2) | instskip(SKIP_2) | instid1(VALU_DEP_1)
	v_exp_f32_e32 v31, v31
	s_waitcnt_depctr 0xfff
	v_ldexp_f32 v31, v31, v32
	v_cndmask_b32_e64 v31, 0, v31, s6
	v_cmp_nlt_f32_e64 s6, 0x42b17218, v29
	s_delay_alu instid0(VALU_DEP_1) | instskip(NEXT) | instid1(VALU_DEP_1)
	v_cndmask_b32_e64 v58, 0x7f800000, v31, s6
	v_cndmask_b32_e64 v29, v30, v58, s4
	ds_bpermute_b32 v30, v74, v58
	v_cndmask_b32_e64 v28, v28, v58, s5
	s_waitcnt lgkmcnt(0)
	v_cndmask_b32_e64 v29, v29, v30, s3
	s_delay_alu instid0(VALU_DEP_2) | instskip(NEXT) | instid1(VALU_DEP_2)
	v_cndmask_b32_e32 v30, v28, v30, vcc_lo
	v_cvt_f16_f32_e32 v28, v29
	s_delay_alu instid0(VALU_DEP_2) | instskip(NEXT) | instid1(VALU_DEP_1)
	v_cvt_f16_f32_e32 v31, v30
	v_pack_b32_f16 v28, v28, v31
	v_sub_f32_e32 v31, v78, v75
	s_delay_alu instid0(VALU_DEP_1) | instskip(SKIP_1) | instid1(VALU_DEP_2)
	v_mul_f32_e32 v32, 0x3fb8aa3b, v31
	v_cmp_ngt_f32_e64 s6, 0xc2ce8ed0, v31
	v_fma_f32 v33, 0x3fb8aa3b, v31, -v32
	v_rndne_f32_e32 v34, v32
	s_delay_alu instid0(VALU_DEP_1) | instskip(NEXT) | instid1(VALU_DEP_1)
	v_dual_fmac_f32 v33, 0x32a5705f, v31 :: v_dual_sub_f32 v32, v32, v34
	v_add_f32_e32 v32, v32, v33
	v_cvt_i32_f32_e32 v33, v34
	s_delay_alu instid0(VALU_DEP_2) | instskip(SKIP_2) | instid1(VALU_DEP_1)
	v_exp_f32_e32 v32, v32
	s_waitcnt_depctr 0xfff
	v_ldexp_f32 v32, v32, v33
	v_cndmask_b32_e64 v32, 0, v32, s6
	v_cmp_nlt_f32_e64 s6, 0x42b17218, v31
	s_delay_alu instid0(VALU_DEP_1) | instskip(SKIP_4) | instid1(VALU_DEP_2)
	v_cndmask_b32_e64 v59, 0x7f800000, v32, s6
	ds_bpermute_b32 v31, v74, v59
	v_cndmask_b32_e64 v29, v29, v59, s4
	v_cndmask_b32_e64 v30, v30, v59, s5
	s_waitcnt lgkmcnt(0)
	v_cndmask_b32_e64 v32, v29, v31, s3
	s_delay_alu instid0(VALU_DEP_2) | instskip(NEXT) | instid1(VALU_DEP_2)
	v_cndmask_b32_e32 v30, v30, v31, vcc_lo
	v_cvt_f16_f32_e32 v29, v32
	s_delay_alu instid0(VALU_DEP_2) | instskip(NEXT) | instid1(VALU_DEP_1)
	v_cvt_f16_f32_e32 v31, v30
	v_pack_b32_f16 v29, v29, v31
	v_sub_f32_e32 v31, v77, v75
	s_delay_alu instid0(VALU_DEP_1) | instskip(SKIP_1) | instid1(VALU_DEP_2)
	v_mul_f32_e32 v33, 0x3fb8aa3b, v31
	v_cmp_ngt_f32_e64 s6, 0xc2ce8ed0, v31
	v_fma_f32 v34, 0x3fb8aa3b, v31, -v33
	v_rndne_f32_e32 v35, v33
	s_delay_alu instid0(VALU_DEP_2) | instskip(NEXT) | instid1(VALU_DEP_2)
	v_fmac_f32_e32 v34, 0x32a5705f, v31
	v_sub_f32_e32 v33, v33, v35
	s_delay_alu instid0(VALU_DEP_1) | instskip(SKIP_1) | instid1(VALU_DEP_2)
	v_add_f32_e32 v33, v33, v34
	v_cvt_i32_f32_e32 v34, v35
	v_exp_f32_e32 v33, v33
	s_waitcnt_depctr 0xfff
	v_ldexp_f32 v33, v33, v34
	s_delay_alu instid0(VALU_DEP_1) | instskip(SKIP_1) | instid1(VALU_DEP_1)
	v_cndmask_b32_e64 v33, 0, v33, s6
	v_cmp_nlt_f32_e64 s6, 0x42b17218, v31
	v_cndmask_b32_e64 v60, 0x7f800000, v33, s6
	s_delay_alu instid0(VALU_DEP_1) | instskip(SKIP_4) | instid1(VALU_DEP_2)
	v_cndmask_b32_e64 v31, v32, v60, s4
	ds_bpermute_b32 v32, v74, v60
	v_cndmask_b32_e64 v30, v30, v60, s5
	s_waitcnt lgkmcnt(0)
	v_cndmask_b32_e64 v31, v31, v32, s3
	v_cndmask_b32_e32 v32, v30, v32, vcc_lo
	s_delay_alu instid0(VALU_DEP_2) | instskip(NEXT) | instid1(VALU_DEP_2)
	v_cvt_f16_f32_e32 v30, v31
	v_cvt_f16_f32_e32 v33, v32
	s_delay_alu instid0(VALU_DEP_1) | instskip(SKIP_1) | instid1(VALU_DEP_1)
	v_pack_b32_f16 v30, v30, v33
	v_sub_f32_e32 v33, v76, v75
	v_mul_f32_e32 v34, 0x3fb8aa3b, v33
	v_cmp_ngt_f32_e64 s6, 0xc2ce8ed0, v33
	s_delay_alu instid0(VALU_DEP_2) | instskip(SKIP_1) | instid1(VALU_DEP_1)
	v_fma_f32 v35, 0x3fb8aa3b, v33, -v34
	v_rndne_f32_e32 v36, v34
	v_dual_fmac_f32 v35, 0x32a5705f, v33 :: v_dual_sub_f32 v34, v34, v36
	s_delay_alu instid0(VALU_DEP_1) | instskip(SKIP_1) | instid1(VALU_DEP_2)
	v_add_f32_e32 v34, v34, v35
	v_cvt_i32_f32_e32 v35, v36
	v_exp_f32_e32 v34, v34
	s_waitcnt_depctr 0xfff
	v_ldexp_f32 v34, v34, v35
	v_add_nc_u32_e32 v35, 0x1c00, v193
	s_delay_alu instid0(VALU_DEP_2) | instskip(SKIP_1) | instid1(VALU_DEP_1)
	v_cndmask_b32_e64 v34, 0, v34, s6
	v_cmp_nlt_f32_e64 s6, 0x42b17218, v33
	v_cndmask_b32_e64 v61, 0x7f800000, v34, s6
	v_add_nc_u32_e32 v34, 0x300, v222
	ds_bpermute_b32 v33, v74, v61
	v_cndmask_b32_e64 v31, v31, v61, s4
	v_cndmask_b32_e64 v32, v32, v61, s5
	s_waitcnt lgkmcnt(0)
	s_delay_alu instid0(VALU_DEP_2) | instskip(NEXT) | instid1(VALU_DEP_2)
	v_cndmask_b32_e64 v31, v31, v33, s3
	v_cndmask_b32_e32 v32, v32, v33, vcc_lo
	v_add_nc_u32_e32 v33, 0x1a00, v193
	s_cselect_b32 s3, -1, 0
	s_delay_alu instid0(VALU_DEP_3) | instskip(NEXT) | instid1(VALU_DEP_3)
	v_cvt_f16_f32_e32 v31, v31
	v_cvt_f16_f32_e32 v32, v32
	s_and_b32 s4, s0, s3
	s_delay_alu instid0(VALU_DEP_1)
	v_pack_b32_f16 v31, v31, v32
	v_add_nc_u32_e32 v32, 0x1800, v193
	ds_load_2addr_b32 v[40:41], v32 offset0:128 offset1:180
	ds_load_2addr_b32 v[42:43], v33 offset0:104 offset1:156
	;; [unrolled: 1-line block ×4, first 2 shown]
	v_add_nc_u32_e32 v35, 0x1e00, v193
	ds_load_2addr_b32 v[50:51], v37 offset0:136 offset1:188
	ds_load_2addr_b32 v[48:49], v35 offset0:108 offset1:212
	;; [unrolled: 1-line block ×3, first 2 shown]
	ds_load_b32 v62, v193 offset:9776
	s_waitcnt lgkmcnt(7)
	v_perm_b32 v32, v41, v40, 0x5040100
	s_waitcnt lgkmcnt(6)
	v_perm_b32 v33, v43, v42, 0x5040100
	;; [unrolled: 2-line block ×5, first 2 shown]
	v_perm_b32 v36, v49, v45, 0x5040100
	s_waitcnt lgkmcnt(1)
	v_perm_b32 v38, v52, v125, 0x5040100
	s_waitcnt lgkmcnt(0)
	v_perm_b32 v39, v62, v53, 0x5040100
	s_delay_alu instid0(VALU_DEP_1)
	v_wmma_f16_16x16x16_f16 v[0:7], v[32:39], v[24:31], v[0:7]
	v_perm_b32 v34, v46, v44, 0x7060302
	v_perm_b32 v35, v48, v47, 0x7060302
	;; [unrolled: 1-line block ×8, first 2 shown]
	s_delay_alu instid0(VALU_DEP_1)
	v_wmma_f16_16x16x16_f16 v[0:7], v[32:39], v[24:31], v[0:7] op_sel:[0,0,1]
	v_add_nc_u32_e32 v32, 0x1800, v223
	v_add_nc_u32_e32 v34, 0x300, v194
	;; [unrolled: 1-line block ×4, first 2 shown]
	ds_load_2addr_b32 v[40:41], v32 offset0:128 offset1:180
	ds_load_2addr_b32 v[42:43], v33 offset0:104 offset1:156
	;; [unrolled: 1-line block ×4, first 2 shown]
	v_add_nc_u32_e32 v35, 0x1e00, v223
	v_add_nc_u32_e32 v37, 0x2000, v223
	;; [unrolled: 1-line block ×3, first 2 shown]
	ds_load_2addr_b32 v[48:49], v35 offset0:108 offset1:212
	ds_load_2addr_b32 v[50:51], v37 offset0:136 offset1:188
	;; [unrolled: 1-line block ×3, first 2 shown]
	s_waitcnt lgkmcnt(6)
	v_perm_b32 v32, v41, v40, 0x5040100
	s_waitcnt lgkmcnt(5)
	v_perm_b32 v33, v43, v42, 0x5040100
	;; [unrolled: 2-line block ×4, first 2 shown]
	v_perm_b32 v36, v49, v45, 0x5040100
	s_waitcnt lgkmcnt(1)
	v_perm_b32 v37, v51, v50, 0x5040100
	s_waitcnt lgkmcnt(0)
	v_perm_b32 v38, v52, v144, 0x5040100
	v_perm_b32 v39, v98, v53, 0x5040100
	s_delay_alu instid0(VALU_DEP_1)
	v_wmma_f16_16x16x16_f16 v[16:23], v[32:39], v[24:31], v[16:23]
	v_perm_b32 v34, v46, v44, 0x7060302
	v_perm_b32 v35, v48, v47, 0x7060302
	;; [unrolled: 1-line block ×8, first 2 shown]
	s_delay_alu instid0(VALU_DEP_1)
	v_wmma_f16_16x16x16_f16 v[16:23], v[32:39], v[24:31], v[16:23] op_sel:[0,0,1]
	v_add_nc_u32_e32 v32, 0x1800, v243
	v_add_nc_u32_e32 v34, 0x300, v195
	;; [unrolled: 1-line block ×4, first 2 shown]
	ds_load_2addr_b32 v[40:41], v32 offset0:128 offset1:180
	ds_load_2addr_b32 v[42:43], v33 offset0:104 offset1:156
	;; [unrolled: 1-line block ×4, first 2 shown]
	v_add_nc_u32_e32 v35, 0x1e00, v243
	v_add_nc_u32_e32 v37, 0x2000, v243
	;; [unrolled: 1-line block ×3, first 2 shown]
	ds_load_2addr_b32 v[48:49], v35 offset0:108 offset1:212
	ds_load_2addr_b32 v[50:51], v37 offset0:136 offset1:188
	ds_load_b32 v62, v195 offset:2496
	ds_load_2addr_b32 v[52:53], v38 offset0:36 offset1:88
	s_waitcnt lgkmcnt(0)
	s_barrier
	buffer_gl0_inv
	v_perm_b32 v32, v41, v40, 0x5040100
	v_perm_b32 v33, v43, v42, 0x5040100
	;; [unrolled: 1-line block ×8, first 2 shown]
	s_delay_alu instid0(VALU_DEP_1)
	v_wmma_f16_16x16x16_f16 v[8:15], v[32:39], v[24:31], v[8:15]
	v_perm_b32 v34, v46, v44, 0x7060302
	v_perm_b32 v35, v48, v47, 0x7060302
	;; [unrolled: 1-line block ×8, first 2 shown]
	s_delay_alu instid0(VALU_DEP_1) | instskip(SKIP_1) | instid1(VALU_DEP_1)
	v_wmma_f16_16x16x16_f16 v[8:15], v[32:39], v[24:31], v[8:15] op_sel:[0,0,1]
	v_add_f32_e32 v24, v85, v86
	v_add_f32_e32 v24, v87, v24
	s_delay_alu instid0(VALU_DEP_1) | instskip(NEXT) | instid1(VALU_DEP_1)
	v_add_f32_e32 v24, v88, v24
	v_add_f32_e32 v24, v89, v24
	s_delay_alu instid0(VALU_DEP_1) | instskip(NEXT) | instid1(VALU_DEP_1)
	;; [unrolled: 3-line block ×7, first 2 shown]
	v_add_f32_e32 v24, v61, v24
	v_fmac_f32_e32 v24, v143, v84
	ds_bpermute_b32 v25, v74, v24
	s_waitcnt lgkmcnt(0)
	v_add_f32_e32 v24, v24, v25
	s_and_saveexec_b32 s3, s4
	s_cbranch_execz .LBB14_253
; %bb.252:                              ;   in Loop: Header=BB14_12 Depth=1
	v_dual_max_f32 v26, v75, v75 :: v_dual_and_b32 v25, 3, v209
	s_delay_alu instid0(VALU_DEP_1) | instskip(SKIP_3) | instid1(VALU_DEP_1)
	v_lshlrev_b32_e32 v25, 2, v25
	global_load_b32 v25, v25, s[72:73]
	s_waitcnt vmcnt(0)
	v_max_f32_e32 v27, v25, v25
	v_max_f32_e32 v26, v26, v27
	s_delay_alu instid0(VALU_DEP_1) | instskip(SKIP_1) | instid1(VALU_DEP_2)
	v_sub_f32_e32 v27, v75, v26
	v_mov_b32_e32 v75, v26
	v_dual_sub_f32 v25, v25, v26 :: v_dual_mul_f32 v28, 0x3fb8aa3b, v27
	s_delay_alu instid0(VALU_DEP_1) | instskip(SKIP_1) | instid1(VALU_DEP_1)
	v_fma_f32 v29, 0x3fb8aa3b, v27, -v28
	v_rndne_f32_e32 v30, v28
	v_dual_fmac_f32 v29, 0x32a5705f, v27 :: v_dual_sub_f32 v28, v28, v30
	v_cvt_i32_f32_e32 v30, v30
	s_delay_alu instid0(VALU_DEP_2) | instskip(SKIP_1) | instid1(VALU_DEP_2)
	v_add_f32_e32 v28, v28, v29
	v_cmp_ngt_f32_e32 vcc_lo, 0xc2ce8ed0, v27
	v_exp_f32_e32 v28, v28
	s_waitcnt_depctr 0xfff
	v_ldexp_f32 v28, v28, v30
	s_delay_alu instid0(VALU_DEP_1) | instskip(NEXT) | instid1(VALU_DEP_1)
	v_dual_mul_f32 v31, 0x3fb8aa3b, v25 :: v_dual_cndmask_b32 v28, 0, v28
	v_fma_f32 v32, 0x3fb8aa3b, v25, -v31
	v_rndne_f32_e32 v33, v31
	v_cmp_nlt_f32_e32 vcc_lo, 0x42b17218, v27
	s_delay_alu instid0(VALU_DEP_3) | instskip(NEXT) | instid1(VALU_DEP_3)
	v_fmac_f32_e32 v32, 0x32a5705f, v25
	v_dual_sub_f32 v29, v31, v33 :: v_dual_cndmask_b32 v28, 0x7f800000, v28
	v_cvt_i32_f32_e32 v30, v33
	v_cmp_ngt_f32_e32 vcc_lo, 0xc2ce8ed0, v25
	s_delay_alu instid0(VALU_DEP_3) | instskip(NEXT) | instid1(VALU_DEP_1)
	v_add_f32_e32 v29, v29, v32
	v_exp_f32_e32 v29, v29
	s_waitcnt_depctr 0xfff
	v_ldexp_f32 v29, v29, v30
	s_delay_alu instid0(VALU_DEP_1) | instskip(SKIP_3) | instid1(VALU_DEP_2)
	v_cndmask_b32_e32 v29, 0, v29, vcc_lo
	v_cmp_le_f32_e32 vcc_lo, 0xc1a00000, v27
	v_cndmask_b32_e32 v27, 0, v28, vcc_lo
	v_cmp_nlt_f32_e32 vcc_lo, 0x42b17218, v25
	v_cvt_f16_f32_e32 v28, v27
	v_cndmask_b32_e32 v25, 0x7f800000, v29, vcc_lo
	s_delay_alu instid0(VALU_DEP_2) | instskip(NEXT) | instid1(VALU_DEP_2)
	v_pk_mul_f16 v0, v28, v0 op_sel_hi:[0,1]
	v_fmac_f32_e32 v25, v24, v27
	v_pk_mul_f16 v1, v28, v1 op_sel_hi:[0,1]
	v_pk_mul_f16 v2, v28, v2 op_sel_hi:[0,1]
	;; [unrolled: 1-line block ×4, first 2 shown]
	v_mov_b32_e32 v24, v25
	v_pk_mul_f16 v5, v28, v5 op_sel_hi:[0,1]
	v_pk_mul_f16 v6, v28, v6 op_sel_hi:[0,1]
	;; [unrolled: 1-line block ×19, first 2 shown]
.LBB14_253:                             ;   in Loop: Header=BB14_12 Depth=1
	s_or_b32 exec_lo, exec_lo, s3
	s_and_saveexec_b32 s3, s2
	s_cbranch_execz .LBB14_255
; %bb.254:                              ;   in Loop: Header=BB14_12 Depth=1
	scratch_load_b32 v25, off, off          ; 4-byte Folded Reload
	s_waitcnt vmcnt(0)
	v_add_nc_u32_e32 v25, 0, v25
	ds_store_2addr_b32 v25, v75, v24 offset0:48 offset1:49
.LBB14_255:                             ;   in Loop: Header=BB14_12 Depth=1
	s_or_b32 exec_lo, exec_lo, s3
	s_waitcnt lgkmcnt(0)
	s_barrier
	buffer_gl0_inv
	s_and_saveexec_b32 s3, s1
	s_delay_alu instid0(SALU_CYCLE_1)
	s_xor_b32 s3, exec_lo, s3
	s_cbranch_execz .LBB14_257
; %bb.256:                              ;   in Loop: Header=BB14_12 Depth=1
	s_barrier
	buffer_gl0_inv
                                        ; implicit-def: $vgpr74
.LBB14_257:                             ;   in Loop: Header=BB14_12 Depth=1
	s_and_not1_saveexec_b32 s3, s3
	s_cbranch_execz .LBB14_259
; %bb.258:                              ;   in Loop: Header=BB14_12 Depth=1
	scratch_load_b32 v24, off, off offset:4 ; 4-byte Folded Reload
	s_waitcnt vmcnt(0)
	v_add_nc_u32_e32 v28, 0, v24
	ds_load_b64 v[24:25], v28 offset:192
	s_waitcnt lgkmcnt(0)
	s_barrier
	buffer_gl0_inv
	ds_bpermute_b32 v26, v74, v24
	s_waitcnt lgkmcnt(0)
	v_dual_max_f32 v27, v24, v24 :: v_dual_max_f32 v26, v26, v26
	s_delay_alu instid0(VALU_DEP_1) | instskip(NEXT) | instid1(VALU_DEP_1)
	v_max_f32_e32 v26, v27, v26
	v_sub_f32_e32 v24, v24, v26
	s_delay_alu instid0(VALU_DEP_1) | instskip(SKIP_1) | instid1(VALU_DEP_2)
	v_mul_f32_e32 v26, 0x3fb8aa3b, v24
	v_cmp_ngt_f32_e32 vcc_lo, 0xc2ce8ed0, v24
	v_fma_f32 v27, 0x3fb8aa3b, v24, -v26
	v_rndne_f32_e32 v29, v26
	s_delay_alu instid0(VALU_DEP_1) | instskip(NEXT) | instid1(VALU_DEP_1)
	v_dual_fmac_f32 v27, 0x32a5705f, v24 :: v_dual_sub_f32 v26, v26, v29
	v_add_f32_e32 v26, v26, v27
	v_cvt_i32_f32_e32 v27, v29
	s_delay_alu instid0(VALU_DEP_2) | instskip(SKIP_2) | instid1(VALU_DEP_1)
	v_exp_f32_e32 v26, v26
	s_waitcnt_depctr 0xfff
	v_ldexp_f32 v26, v26, v27
	v_cndmask_b32_e32 v26, 0, v26, vcc_lo
	v_cmp_nlt_f32_e32 vcc_lo, 0x42b17218, v24
	s_delay_alu instid0(VALU_DEP_2) | instskip(NEXT) | instid1(VALU_DEP_1)
	v_cndmask_b32_e32 v26, 0x7f800000, v26, vcc_lo
	v_mul_f32_e32 v24, v25, v26
	ds_bpermute_b32 v27, v74, v24
	s_waitcnt lgkmcnt(0)
	v_fmac_f32_e32 v27, v25, v26
	ds_store_b64 v28, v[26:27] offset:192
.LBB14_259:                             ;   in Loop: Header=BB14_12 Depth=1
	s_or_b32 exec_lo, exec_lo, s3
	ds_store_2addr_b32 v211, v0, v1 offset1:2
	ds_store_2addr_b32 v211, v2, v3 offset0:4 offset1:6
	ds_store_2addr_b32 v211, v4, v5 offset0:8 offset1:10
	;; [unrolled: 1-line block ×11, first 2 shown]
	s_waitcnt lgkmcnt(0)
	s_barrier
	buffer_gl0_inv
	s_and_saveexec_b32 s5, s0
	s_cbranch_execz .LBB14_10
; %bb.260:                              ;   in Loop: Header=BB14_12 Depth=1
	v_lshrrev_b32_e32 v0, 3, v210
	v_or_b32_e32 v1, s94, v218
	s_delay_alu instid0(VALU_DEP_2) | instskip(NEXT) | instid1(VALU_DEP_2)
	v_add_nc_u32_e32 v0, s74, v0
	v_cmp_gt_i32_e64 s3, s33, v1
	v_mov_b32_e32 v1, 0x47
	s_delay_alu instid0(VALU_DEP_3) | instskip(NEXT) | instid1(VALU_DEP_3)
	v_cmp_gt_i32_e32 vcc_lo, s8, v0
	s_and_b32 s4, vcc_lo, s3
	s_delay_alu instid0(SALU_CYCLE_1)
	s_and_saveexec_b32 s6, s4
	s_cbranch_execz .LBB14_262
; %bb.261:                              ;   in Loop: Header=BB14_12 Depth=1
	scratch_load_b32 v1, off, off offset:20 ; 4-byte Folded Reload
	s_waitcnt vmcnt(0)
	v_add_nc_u32_e32 v5, 0, v1
	scratch_load_b32 v1, off, off offset:24 ; 4-byte Folded Reload
	s_waitcnt vmcnt(0)
	ds_load_2addr_stride64_b32 v[1:2], v1 offset1:13
	ds_load_2addr_b32 v[3:4], v5 offset0:48 offset1:49
	ds_load_b32 v5, v5 offset:3520
	s_waitcnt lgkmcnt(1)
	v_fma_mix_f32 v6, v3, v1, 0 op_sel_hi:[0,1,0]
	v_fma_mix_f32 v1, v3, v1, 0 op_sel:[0,1,0] op_sel_hi:[0,1,0]
	s_waitcnt lgkmcnt(0)
	s_delay_alu instid0(VALU_DEP_2) | instskip(NEXT) | instid1(VALU_DEP_2)
	v_fma_mix_f32 v6, v5, v2, v6 op_sel_hi:[0,1,0]
	v_fma_mix_f32 v5, v5, v2, v1 op_sel:[0,1,0] op_sel_hi:[0,1,0]
	s_delay_alu instid0(VALU_DEP_2) | instskip(NEXT) | instid1(VALU_DEP_2)
	v_div_scale_f32 v7, null, v4, v4, v6
	v_div_scale_f32 v8, null, v4, v4, v5
	v_div_scale_f32 v11, vcc_lo, v6, v4, v6
	s_delay_alu instid0(VALU_DEP_3) | instskip(NEXT) | instid1(VALU_DEP_2)
	v_rcp_f32_e32 v9, v7
	v_rcp_f32_e32 v10, v8
	v_div_scale_f32 v12, s4, v5, v4, v5
	s_waitcnt_depctr 0xfff
	v_fma_f32 v1, -v7, v9, 1.0
	v_fma_f32 v2, -v8, v10, 1.0
	s_delay_alu instid0(VALU_DEP_1) | instskip(SKIP_1) | instid1(VALU_DEP_2)
	v_dual_fmac_f32 v9, v1, v9 :: v_dual_fmac_f32 v10, v2, v10
	v_mad_u64_u32 v[1:2], null, v0, s9, v[218:219]
	v_dual_mul_f32 v0, v11, v9 :: v_dual_mul_f32 v13, v12, v10
	s_delay_alu instid0(VALU_DEP_2) | instskip(NEXT) | instid1(VALU_DEP_2)
	v_mad_u64_u32 v[2:3], null, v1, 48, v[209:210]
	v_fma_f32 v14, -v7, v0, v11
	s_delay_alu instid0(VALU_DEP_3) | instskip(NEXT) | instid1(VALU_DEP_1)
	v_fma_f32 v15, -v8, v13, v12
	v_dual_fmac_f32 v0, v14, v9 :: v_dual_fmac_f32 v13, v15, v10
	s_delay_alu instid0(VALU_DEP_4) | instskip(NEXT) | instid1(VALU_DEP_2)
	v_ashrrev_i32_e32 v3, 31, v2
	v_fma_f32 v1, -v7, v0, v11
	s_delay_alu instid0(VALU_DEP_3) | instskip(NEXT) | instid1(VALU_DEP_2)
	v_fma_f32 v7, -v8, v13, v12
	v_div_fmas_f32 v8, v1, v9, v0
	s_mov_b32 vcc_lo, s4
	v_lshlrev_b64 v[0:1], 3, v[2:3]
	s_delay_alu instid0(VALU_DEP_3) | instskip(NEXT) | instid1(VALU_DEP_3)
	v_div_fmas_f32 v7, v7, v10, v13
	v_div_fixup_f32 v2, v8, v4, v6
	s_delay_alu instid0(VALU_DEP_2) | instskip(NEXT) | instid1(VALU_DEP_4)
	v_div_fixup_f32 v3, v7, v4, v5
	v_add_co_u32 v4, vcc_lo, s62, v0
	v_add_co_ci_u32_e32 v5, vcc_lo, s49, v1, vcc_lo
	v_mov_b32_e32 v1, 0
	global_store_b64 v[4:5], v[2:3], off
.LBB14_262:                             ;   in Loop: Header=BB14_12 Depth=1
	s_or_b32 exec_lo, exec_lo, s6
	s_mov_b32 s4, -1
	s_mov_b32 s6, exec_lo
	v_cmpx_gt_i32_e32 0x47, v1
; %bb.263:                              ;   in Loop: Header=BB14_12 Depth=1
	v_cmp_eq_u32_e32 vcc_lo, 0, v1
	s_or_not1_b32 s4, vcc_lo, exec_lo
; %bb.264:                              ;   in Loop: Header=BB14_12 Depth=1
	s_or_b32 exec_lo, exec_lo, s6
	s_and_saveexec_b32 s6, s4
	s_cbranch_execz .LBB14_337
; %bb.265:                              ;   in Loop: Header=BB14_12 Depth=1
	s_clause 0x1
	scratch_load_b32 v0, off, off offset:40
	scratch_load_b64 v[1:2], off, off offset:12
	s_waitcnt vmcnt(1)
	v_add_nc_u32_e32 v0, s74, v0
	s_waitcnt vmcnt(0)
	v_or_b32_e32 v1, s94, v1
	s_delay_alu instid0(VALU_DEP_1) | instskip(SKIP_2) | instid1(VALU_DEP_3)
	v_cmp_gt_i32_e64 s4, s33, v1
	v_mov_b32_e32 v1, 0x47
	v_cmp_gt_i32_e32 vcc_lo, s8, v0
	s_and_b32 s4, vcc_lo, s4
	s_delay_alu instid0(SALU_CYCLE_1)
	s_and_saveexec_b32 s7, s4
	s_cbranch_execz .LBB14_267
; %bb.266:                              ;   in Loop: Header=BB14_12 Depth=1
	scratch_load_b32 v1, off, off offset:152 ; 4-byte Folded Reload
	s_waitcnt vmcnt(0)
	v_add_nc_u32_e32 v5, 0, v1
	scratch_load_b32 v1, off, off offset:156 ; 4-byte Folded Reload
	s_waitcnt vmcnt(0)
	ds_load_2addr_stride64_b32 v[1:2], v1 offset1:13
	ds_load_2addr_b32 v[3:4], v5 offset0:48 offset1:49
	ds_load_b32 v5, v5 offset:3520
	scratch_load_b64 v[13:14], off, off offset:12 ; 8-byte Folded Reload
	s_waitcnt lgkmcnt(1)
	v_fma_mix_f32 v6, v3, v1, 0 op_sel_hi:[0,1,0]
	v_fma_mix_f32 v1, v3, v1, 0 op_sel:[0,1,0] op_sel_hi:[0,1,0]
	s_waitcnt lgkmcnt(0)
	s_delay_alu instid0(VALU_DEP_2) | instskip(NEXT) | instid1(VALU_DEP_2)
	v_fma_mix_f32 v6, v5, v2, v6 op_sel_hi:[0,1,0]
	v_fma_mix_f32 v5, v5, v2, v1 op_sel:[0,1,0] op_sel_hi:[0,1,0]
	s_delay_alu instid0(VALU_DEP_2) | instskip(NEXT) | instid1(VALU_DEP_2)
	v_div_scale_f32 v7, null, v4, v4, v6
	v_div_scale_f32 v8, null, v4, v4, v5
	v_div_scale_f32 v11, vcc_lo, v6, v4, v6
	s_delay_alu instid0(VALU_DEP_3) | instskip(NEXT) | instid1(VALU_DEP_2)
	v_rcp_f32_e32 v9, v7
	v_rcp_f32_e32 v10, v8
	v_div_scale_f32 v12, s4, v5, v4, v5
	s_waitcnt_depctr 0xfff
	v_fma_f32 v1, -v7, v9, 1.0
	v_fma_f32 v2, -v8, v10, 1.0
	s_delay_alu instid0(VALU_DEP_1) | instskip(SKIP_2) | instid1(VALU_DEP_2)
	v_dual_fmac_f32 v9, v1, v9 :: v_dual_fmac_f32 v10, v2, v10
	s_waitcnt vmcnt(0)
	v_mad_u64_u32 v[1:2], null, v0, s9, v[13:14]
	v_dual_mul_f32 v0, v11, v9 :: v_dual_mul_f32 v13, v12, v10
	s_delay_alu instid0(VALU_DEP_1) | instskip(NEXT) | instid1(VALU_DEP_2)
	v_fma_f32 v14, -v7, v0, v11
	v_fma_f32 v15, -v8, v13, v12
	s_delay_alu instid0(VALU_DEP_4) | instskip(NEXT) | instid1(VALU_DEP_2)
	v_mad_u64_u32 v[2:3], null, v1, 48, v[209:210]
	v_dual_fmac_f32 v0, v14, v9 :: v_dual_fmac_f32 v13, v15, v10
	s_delay_alu instid0(VALU_DEP_1) | instskip(NEXT) | instid1(VALU_DEP_3)
	v_fma_f32 v1, -v7, v0, v11
	v_ashrrev_i32_e32 v3, 31, v2
	s_delay_alu instid0(VALU_DEP_3) | instskip(NEXT) | instid1(VALU_DEP_3)
	v_fma_f32 v7, -v8, v13, v12
	v_div_fmas_f32 v8, v1, v9, v0
	s_mov_b32 vcc_lo, s4
	s_delay_alu instid0(VALU_DEP_3) | instskip(NEXT) | instid1(VALU_DEP_3)
	v_lshlrev_b64 v[0:1], 3, v[2:3]
	v_div_fmas_f32 v7, v7, v10, v13
	s_delay_alu instid0(VALU_DEP_3) | instskip(NEXT) | instid1(VALU_DEP_2)
	v_div_fixup_f32 v2, v8, v4, v6
	v_div_fixup_f32 v3, v7, v4, v5
	s_delay_alu instid0(VALU_DEP_4)
	v_add_co_u32 v4, vcc_lo, s62, v0
	v_add_co_ci_u32_e32 v5, vcc_lo, s49, v1, vcc_lo
	v_mov_b32_e32 v1, 0
	global_store_b64 v[4:5], v[2:3], off
.LBB14_267:                             ;   in Loop: Header=BB14_12 Depth=1
	s_or_b32 exec_lo, exec_lo, s7
	s_mov_b32 s4, -1
	s_mov_b32 s7, exec_lo
	v_cmpx_gt_i32_e32 0x47, v1
; %bb.268:                              ;   in Loop: Header=BB14_12 Depth=1
	v_cmp_eq_u32_e32 vcc_lo, 0, v1
	s_or_not1_b32 s4, vcc_lo, exec_lo
; %bb.269:                              ;   in Loop: Header=BB14_12 Depth=1
	s_or_b32 exec_lo, exec_lo, s7
	s_delay_alu instid0(SALU_CYCLE_1)
	s_and_b32 exec_lo, exec_lo, s4
	s_cbranch_execz .LBB14_337
; %bb.270:                              ;   in Loop: Header=BB14_12 Depth=1
	scratch_load_b32 v0, off, off offset:160 ; 4-byte Folded Reload
	s_waitcnt vmcnt(0)
	v_dual_mov_b32 v1, 0x47 :: v_dual_add_nc_u32 v0, s74, v0
	s_delay_alu instid0(VALU_DEP_1) | instskip(SKIP_1) | instid1(SALU_CYCLE_1)
	v_cmp_gt_i32_e32 vcc_lo, s8, v0
	s_and_b32 s4, vcc_lo, s3
	s_and_saveexec_b32 s7, s4
	s_cbranch_execz .LBB14_272
; %bb.271:                              ;   in Loop: Header=BB14_12 Depth=1
	scratch_load_b32 v1, off, off offset:184 ; 4-byte Folded Reload
	s_waitcnt vmcnt(0)
	v_add_nc_u32_e32 v5, 0, v1
	scratch_load_b32 v1, off, off offset:188 ; 4-byte Folded Reload
	s_waitcnt vmcnt(0)
	ds_load_2addr_stride64_b32 v[1:2], v1 offset1:13
	ds_load_2addr_b32 v[3:4], v5 offset0:48 offset1:49
	ds_load_b32 v5, v5 offset:3520
	s_waitcnt lgkmcnt(1)
	v_fma_mix_f32 v6, v3, v1, 0 op_sel_hi:[0,1,0]
	v_fma_mix_f32 v1, v3, v1, 0 op_sel:[0,1,0] op_sel_hi:[0,1,0]
	s_waitcnt lgkmcnt(0)
	s_delay_alu instid0(VALU_DEP_2) | instskip(NEXT) | instid1(VALU_DEP_2)
	v_fma_mix_f32 v6, v5, v2, v6 op_sel_hi:[0,1,0]
	v_fma_mix_f32 v5, v5, v2, v1 op_sel:[0,1,0] op_sel_hi:[0,1,0]
	s_delay_alu instid0(VALU_DEP_2) | instskip(NEXT) | instid1(VALU_DEP_2)
	v_div_scale_f32 v7, null, v4, v4, v6
	v_div_scale_f32 v8, null, v4, v4, v5
	v_div_scale_f32 v11, vcc_lo, v6, v4, v6
	s_delay_alu instid0(VALU_DEP_3) | instskip(NEXT) | instid1(VALU_DEP_2)
	v_rcp_f32_e32 v9, v7
	v_rcp_f32_e32 v10, v8
	v_div_scale_f32 v12, s4, v5, v4, v5
	s_waitcnt_depctr 0xfff
	v_fma_f32 v1, -v7, v9, 1.0
	v_fma_f32 v2, -v8, v10, 1.0
	s_delay_alu instid0(VALU_DEP_1) | instskip(SKIP_1) | instid1(VALU_DEP_2)
	v_dual_fmac_f32 v9, v1, v9 :: v_dual_fmac_f32 v10, v2, v10
	v_mad_u64_u32 v[1:2], null, v0, s9, v[218:219]
	v_dual_mul_f32 v0, v11, v9 :: v_dual_mul_f32 v13, v12, v10
	s_delay_alu instid0(VALU_DEP_2) | instskip(NEXT) | instid1(VALU_DEP_2)
	v_mad_u64_u32 v[2:3], null, v1, 48, v[209:210]
	v_fma_f32 v14, -v7, v0, v11
	s_delay_alu instid0(VALU_DEP_3) | instskip(NEXT) | instid1(VALU_DEP_1)
	v_fma_f32 v15, -v8, v13, v12
	v_dual_fmac_f32 v0, v14, v9 :: v_dual_fmac_f32 v13, v15, v10
	s_delay_alu instid0(VALU_DEP_4) | instskip(NEXT) | instid1(VALU_DEP_2)
	v_ashrrev_i32_e32 v3, 31, v2
	v_fma_f32 v1, -v7, v0, v11
	s_delay_alu instid0(VALU_DEP_3) | instskip(NEXT) | instid1(VALU_DEP_2)
	v_fma_f32 v7, -v8, v13, v12
	v_div_fmas_f32 v8, v1, v9, v0
	s_mov_b32 vcc_lo, s4
	v_lshlrev_b64 v[0:1], 3, v[2:3]
	s_delay_alu instid0(VALU_DEP_3) | instskip(NEXT) | instid1(VALU_DEP_3)
	v_div_fmas_f32 v7, v7, v10, v13
	v_div_fixup_f32 v2, v8, v4, v6
	s_delay_alu instid0(VALU_DEP_2) | instskip(NEXT) | instid1(VALU_DEP_4)
	v_div_fixup_f32 v3, v7, v4, v5
	v_add_co_u32 v4, vcc_lo, s62, v0
	v_add_co_ci_u32_e32 v5, vcc_lo, s49, v1, vcc_lo
	v_mov_b32_e32 v1, 0
	global_store_b64 v[4:5], v[2:3], off
.LBB14_272:                             ;   in Loop: Header=BB14_12 Depth=1
	s_or_b32 exec_lo, exec_lo, s7
	s_mov_b32 s4, -1
	s_mov_b32 s7, exec_lo
	v_cmpx_gt_i32_e32 0x47, v1
; %bb.273:                              ;   in Loop: Header=BB14_12 Depth=1
	v_cmp_eq_u32_e32 vcc_lo, 0, v1
	s_or_not1_b32 s4, vcc_lo, exec_lo
; %bb.274:                              ;   in Loop: Header=BB14_12 Depth=1
	s_or_b32 exec_lo, exec_lo, s7
	s_delay_alu instid0(SALU_CYCLE_1)
	s_and_b32 exec_lo, exec_lo, s4
	s_cbranch_execz .LBB14_337
; %bb.275:                              ;   in Loop: Header=BB14_12 Depth=1
	s_clause 0x1
	scratch_load_b32 v0, off, off offset:204
	scratch_load_b64 v[1:2], off, off offset:176
	s_waitcnt vmcnt(1)
	v_add_nc_u32_e32 v0, s74, v0
	s_waitcnt vmcnt(0)
	v_or_b32_e32 v1, s94, v1
	s_delay_alu instid0(VALU_DEP_1) | instskip(SKIP_2) | instid1(VALU_DEP_3)
	v_cmp_gt_i32_e64 s4, s33, v1
	v_mov_b32_e32 v1, 0x47
	v_cmp_gt_i32_e32 vcc_lo, s8, v0
	s_and_b32 s4, vcc_lo, s4
	s_delay_alu instid0(SALU_CYCLE_1)
	s_and_saveexec_b32 s7, s4
	s_cbranch_execz .LBB14_277
; %bb.276:                              ;   in Loop: Header=BB14_12 Depth=1
	scratch_load_b32 v1, off, off offset:208 ; 4-byte Folded Reload
	s_waitcnt vmcnt(0)
	v_add_nc_u32_e32 v5, 0, v1
	scratch_load_b32 v1, off, off offset:212 ; 4-byte Folded Reload
	s_waitcnt vmcnt(0)
	ds_load_2addr_stride64_b32 v[1:2], v1 offset1:13
	ds_load_2addr_b32 v[3:4], v5 offset0:48 offset1:49
	ds_load_b32 v5, v5 offset:3520
	scratch_load_b64 v[13:14], off, off offset:176 ; 8-byte Folded Reload
	s_waitcnt lgkmcnt(1)
	v_fma_mix_f32 v6, v3, v1, 0 op_sel_hi:[0,1,0]
	v_fma_mix_f32 v1, v3, v1, 0 op_sel:[0,1,0] op_sel_hi:[0,1,0]
	s_waitcnt lgkmcnt(0)
	s_delay_alu instid0(VALU_DEP_2) | instskip(NEXT) | instid1(VALU_DEP_2)
	v_fma_mix_f32 v6, v5, v2, v6 op_sel_hi:[0,1,0]
	v_fma_mix_f32 v5, v5, v2, v1 op_sel:[0,1,0] op_sel_hi:[0,1,0]
	s_delay_alu instid0(VALU_DEP_2) | instskip(NEXT) | instid1(VALU_DEP_2)
	v_div_scale_f32 v7, null, v4, v4, v6
	v_div_scale_f32 v8, null, v4, v4, v5
	v_div_scale_f32 v11, vcc_lo, v6, v4, v6
	s_delay_alu instid0(VALU_DEP_3) | instskip(NEXT) | instid1(VALU_DEP_2)
	v_rcp_f32_e32 v9, v7
	v_rcp_f32_e32 v10, v8
	v_div_scale_f32 v12, s4, v5, v4, v5
	s_waitcnt_depctr 0xfff
	v_fma_f32 v1, -v7, v9, 1.0
	v_fma_f32 v2, -v8, v10, 1.0
	s_delay_alu instid0(VALU_DEP_1) | instskip(SKIP_2) | instid1(VALU_DEP_2)
	v_dual_fmac_f32 v9, v1, v9 :: v_dual_fmac_f32 v10, v2, v10
	s_waitcnt vmcnt(0)
	v_mad_u64_u32 v[1:2], null, v0, s9, v[13:14]
	v_dual_mul_f32 v0, v11, v9 :: v_dual_mul_f32 v13, v12, v10
	s_delay_alu instid0(VALU_DEP_1) | instskip(NEXT) | instid1(VALU_DEP_2)
	v_fma_f32 v14, -v7, v0, v11
	v_fma_f32 v15, -v8, v13, v12
	s_delay_alu instid0(VALU_DEP_4) | instskip(NEXT) | instid1(VALU_DEP_2)
	v_mad_u64_u32 v[2:3], null, v1, 48, v[209:210]
	v_dual_fmac_f32 v0, v14, v9 :: v_dual_fmac_f32 v13, v15, v10
	s_delay_alu instid0(VALU_DEP_1) | instskip(NEXT) | instid1(VALU_DEP_3)
	v_fma_f32 v1, -v7, v0, v11
	v_ashrrev_i32_e32 v3, 31, v2
	s_delay_alu instid0(VALU_DEP_3) | instskip(NEXT) | instid1(VALU_DEP_3)
	v_fma_f32 v7, -v8, v13, v12
	v_div_fmas_f32 v8, v1, v9, v0
	s_mov_b32 vcc_lo, s4
	s_delay_alu instid0(VALU_DEP_3) | instskip(NEXT) | instid1(VALU_DEP_3)
	v_lshlrev_b64 v[0:1], 3, v[2:3]
	v_div_fmas_f32 v7, v7, v10, v13
	s_delay_alu instid0(VALU_DEP_3) | instskip(NEXT) | instid1(VALU_DEP_2)
	v_div_fixup_f32 v2, v8, v4, v6
	v_div_fixup_f32 v3, v7, v4, v5
	s_delay_alu instid0(VALU_DEP_4)
	v_add_co_u32 v4, vcc_lo, s62, v0
	v_add_co_ci_u32_e32 v5, vcc_lo, s49, v1, vcc_lo
	v_mov_b32_e32 v1, 0
	global_store_b64 v[4:5], v[2:3], off
.LBB14_277:                             ;   in Loop: Header=BB14_12 Depth=1
	s_or_b32 exec_lo, exec_lo, s7
	s_mov_b32 s4, -1
	s_mov_b32 s7, exec_lo
	v_cmpx_gt_i32_e32 0x47, v1
; %bb.278:                              ;   in Loop: Header=BB14_12 Depth=1
	v_cmp_eq_u32_e32 vcc_lo, 0, v1
	s_or_not1_b32 s4, vcc_lo, exec_lo
; %bb.279:                              ;   in Loop: Header=BB14_12 Depth=1
	s_or_b32 exec_lo, exec_lo, s7
	s_delay_alu instid0(SALU_CYCLE_1)
	s_and_b32 exec_lo, exec_lo, s4
	s_cbranch_execz .LBB14_337
; %bb.280:                              ;   in Loop: Header=BB14_12 Depth=1
	scratch_load_b32 v0, off, off offset:216 ; 4-byte Folded Reload
	s_waitcnt vmcnt(0)
	v_dual_mov_b32 v1, 0x47 :: v_dual_add_nc_u32 v0, s74, v0
	s_delay_alu instid0(VALU_DEP_1) | instskip(SKIP_1) | instid1(SALU_CYCLE_1)
	v_cmp_gt_i32_e32 vcc_lo, s8, v0
	s_and_b32 s4, vcc_lo, s3
	s_and_saveexec_b32 s7, s4
	s_cbranch_execz .LBB14_282
; %bb.281:                              ;   in Loop: Header=BB14_12 Depth=1
	scratch_load_b32 v1, off, off offset:240 ; 4-byte Folded Reload
	s_waitcnt vmcnt(0)
	v_add_nc_u32_e32 v5, 0, v1
	scratch_load_b32 v1, off, off offset:244 ; 4-byte Folded Reload
	s_waitcnt vmcnt(0)
	ds_load_2addr_stride64_b32 v[1:2], v1 offset1:13
	ds_load_2addr_b32 v[3:4], v5 offset0:48 offset1:49
	ds_load_b32 v5, v5 offset:3520
	s_waitcnt lgkmcnt(1)
	v_fma_mix_f32 v6, v3, v1, 0 op_sel_hi:[0,1,0]
	v_fma_mix_f32 v1, v3, v1, 0 op_sel:[0,1,0] op_sel_hi:[0,1,0]
	s_waitcnt lgkmcnt(0)
	s_delay_alu instid0(VALU_DEP_2) | instskip(NEXT) | instid1(VALU_DEP_2)
	v_fma_mix_f32 v6, v5, v2, v6 op_sel_hi:[0,1,0]
	v_fma_mix_f32 v5, v5, v2, v1 op_sel:[0,1,0] op_sel_hi:[0,1,0]
	s_delay_alu instid0(VALU_DEP_2) | instskip(NEXT) | instid1(VALU_DEP_2)
	v_div_scale_f32 v7, null, v4, v4, v6
	v_div_scale_f32 v8, null, v4, v4, v5
	v_div_scale_f32 v11, vcc_lo, v6, v4, v6
	s_delay_alu instid0(VALU_DEP_3) | instskip(NEXT) | instid1(VALU_DEP_2)
	v_rcp_f32_e32 v9, v7
	v_rcp_f32_e32 v10, v8
	v_div_scale_f32 v12, s4, v5, v4, v5
	s_waitcnt_depctr 0xfff
	v_fma_f32 v1, -v7, v9, 1.0
	v_fma_f32 v2, -v8, v10, 1.0
	s_delay_alu instid0(VALU_DEP_1) | instskip(SKIP_1) | instid1(VALU_DEP_2)
	v_dual_fmac_f32 v9, v1, v9 :: v_dual_fmac_f32 v10, v2, v10
	v_mad_u64_u32 v[1:2], null, v0, s9, v[218:219]
	v_dual_mul_f32 v0, v11, v9 :: v_dual_mul_f32 v13, v12, v10
	s_delay_alu instid0(VALU_DEP_2) | instskip(NEXT) | instid1(VALU_DEP_2)
	v_mad_u64_u32 v[2:3], null, v1, 48, v[209:210]
	v_fma_f32 v14, -v7, v0, v11
	s_delay_alu instid0(VALU_DEP_3) | instskip(NEXT) | instid1(VALU_DEP_1)
	v_fma_f32 v15, -v8, v13, v12
	v_dual_fmac_f32 v0, v14, v9 :: v_dual_fmac_f32 v13, v15, v10
	s_delay_alu instid0(VALU_DEP_4) | instskip(NEXT) | instid1(VALU_DEP_2)
	v_ashrrev_i32_e32 v3, 31, v2
	v_fma_f32 v1, -v7, v0, v11
	s_delay_alu instid0(VALU_DEP_3) | instskip(NEXT) | instid1(VALU_DEP_2)
	v_fma_f32 v7, -v8, v13, v12
	v_div_fmas_f32 v8, v1, v9, v0
	s_mov_b32 vcc_lo, s4
	v_lshlrev_b64 v[0:1], 3, v[2:3]
	s_delay_alu instid0(VALU_DEP_3) | instskip(NEXT) | instid1(VALU_DEP_3)
	v_div_fmas_f32 v7, v7, v10, v13
	v_div_fixup_f32 v2, v8, v4, v6
	s_delay_alu instid0(VALU_DEP_2) | instskip(NEXT) | instid1(VALU_DEP_4)
	v_div_fixup_f32 v3, v7, v4, v5
	v_add_co_u32 v4, vcc_lo, s62, v0
	v_add_co_ci_u32_e32 v5, vcc_lo, s49, v1, vcc_lo
	v_mov_b32_e32 v1, 0
	global_store_b64 v[4:5], v[2:3], off
.LBB14_282:                             ;   in Loop: Header=BB14_12 Depth=1
	s_or_b32 exec_lo, exec_lo, s7
	s_mov_b32 s4, -1
	s_mov_b32 s7, exec_lo
	v_cmpx_gt_i32_e32 0x47, v1
; %bb.283:                              ;   in Loop: Header=BB14_12 Depth=1
	v_cmp_eq_u32_e32 vcc_lo, 0, v1
	s_or_not1_b32 s4, vcc_lo, exec_lo
; %bb.284:                              ;   in Loop: Header=BB14_12 Depth=1
	s_or_b32 exec_lo, exec_lo, s7
	s_delay_alu instid0(SALU_CYCLE_1)
	s_and_b32 exec_lo, exec_lo, s4
	s_cbranch_execz .LBB14_337
; %bb.285:                              ;   in Loop: Header=BB14_12 Depth=1
	s_clause 0x1
	scratch_load_b32 v0, off, off offset:260
	scratch_load_b64 v[1:2], off, off offset:232
	s_waitcnt vmcnt(1)
	v_add_nc_u32_e32 v0, s74, v0
	s_waitcnt vmcnt(0)
	v_or_b32_e32 v1, s94, v1
	s_delay_alu instid0(VALU_DEP_1) | instskip(SKIP_2) | instid1(VALU_DEP_3)
	v_cmp_gt_i32_e64 s4, s33, v1
	v_mov_b32_e32 v1, 0x47
	v_cmp_gt_i32_e32 vcc_lo, s8, v0
	s_and_b32 s4, vcc_lo, s4
	s_delay_alu instid0(SALU_CYCLE_1)
	s_and_saveexec_b32 s7, s4
	s_cbranch_execz .LBB14_287
; %bb.286:                              ;   in Loop: Header=BB14_12 Depth=1
	scratch_load_b32 v1, off, off offset:264 ; 4-byte Folded Reload
	s_waitcnt vmcnt(0)
	v_add_nc_u32_e32 v5, 0, v1
	scratch_load_b32 v1, off, off offset:268 ; 4-byte Folded Reload
	s_waitcnt vmcnt(0)
	ds_load_2addr_stride64_b32 v[1:2], v1 offset1:13
	ds_load_2addr_b32 v[3:4], v5 offset0:48 offset1:49
	ds_load_b32 v5, v5 offset:3520
	scratch_load_b64 v[13:14], off, off offset:232 ; 8-byte Folded Reload
	s_waitcnt lgkmcnt(1)
	v_fma_mix_f32 v6, v3, v1, 0 op_sel_hi:[0,1,0]
	v_fma_mix_f32 v1, v3, v1, 0 op_sel:[0,1,0] op_sel_hi:[0,1,0]
	s_waitcnt lgkmcnt(0)
	s_delay_alu instid0(VALU_DEP_2) | instskip(NEXT) | instid1(VALU_DEP_2)
	v_fma_mix_f32 v6, v5, v2, v6 op_sel_hi:[0,1,0]
	v_fma_mix_f32 v5, v5, v2, v1 op_sel:[0,1,0] op_sel_hi:[0,1,0]
	s_delay_alu instid0(VALU_DEP_2) | instskip(NEXT) | instid1(VALU_DEP_2)
	v_div_scale_f32 v7, null, v4, v4, v6
	v_div_scale_f32 v8, null, v4, v4, v5
	v_div_scale_f32 v11, vcc_lo, v6, v4, v6
	s_delay_alu instid0(VALU_DEP_3) | instskip(NEXT) | instid1(VALU_DEP_2)
	v_rcp_f32_e32 v9, v7
	v_rcp_f32_e32 v10, v8
	v_div_scale_f32 v12, s4, v5, v4, v5
	s_waitcnt_depctr 0xfff
	v_fma_f32 v1, -v7, v9, 1.0
	v_fma_f32 v2, -v8, v10, 1.0
	s_delay_alu instid0(VALU_DEP_1) | instskip(SKIP_2) | instid1(VALU_DEP_2)
	v_dual_fmac_f32 v9, v1, v9 :: v_dual_fmac_f32 v10, v2, v10
	s_waitcnt vmcnt(0)
	v_mad_u64_u32 v[1:2], null, v0, s9, v[13:14]
	v_dual_mul_f32 v0, v11, v9 :: v_dual_mul_f32 v13, v12, v10
	s_delay_alu instid0(VALU_DEP_1) | instskip(NEXT) | instid1(VALU_DEP_2)
	v_fma_f32 v14, -v7, v0, v11
	v_fma_f32 v15, -v8, v13, v12
	s_delay_alu instid0(VALU_DEP_4) | instskip(NEXT) | instid1(VALU_DEP_2)
	v_mad_u64_u32 v[2:3], null, v1, 48, v[209:210]
	v_dual_fmac_f32 v0, v14, v9 :: v_dual_fmac_f32 v13, v15, v10
	s_delay_alu instid0(VALU_DEP_1) | instskip(NEXT) | instid1(VALU_DEP_3)
	v_fma_f32 v1, -v7, v0, v11
	v_ashrrev_i32_e32 v3, 31, v2
	s_delay_alu instid0(VALU_DEP_3) | instskip(NEXT) | instid1(VALU_DEP_3)
	v_fma_f32 v7, -v8, v13, v12
	v_div_fmas_f32 v8, v1, v9, v0
	s_mov_b32 vcc_lo, s4
	s_delay_alu instid0(VALU_DEP_3) | instskip(NEXT) | instid1(VALU_DEP_3)
	v_lshlrev_b64 v[0:1], 3, v[2:3]
	v_div_fmas_f32 v7, v7, v10, v13
	s_delay_alu instid0(VALU_DEP_3) | instskip(NEXT) | instid1(VALU_DEP_2)
	v_div_fixup_f32 v2, v8, v4, v6
	v_div_fixup_f32 v3, v7, v4, v5
	s_delay_alu instid0(VALU_DEP_4)
	v_add_co_u32 v4, vcc_lo, s62, v0
	v_add_co_ci_u32_e32 v5, vcc_lo, s49, v1, vcc_lo
	v_mov_b32_e32 v1, 0
	global_store_b64 v[4:5], v[2:3], off
.LBB14_287:                             ;   in Loop: Header=BB14_12 Depth=1
	s_or_b32 exec_lo, exec_lo, s7
	s_mov_b32 s4, -1
	s_mov_b32 s7, exec_lo
	v_cmpx_gt_i32_e32 0x47, v1
; %bb.288:                              ;   in Loop: Header=BB14_12 Depth=1
	v_cmp_eq_u32_e32 vcc_lo, 0, v1
	s_or_not1_b32 s4, vcc_lo, exec_lo
; %bb.289:                              ;   in Loop: Header=BB14_12 Depth=1
	s_or_b32 exec_lo, exec_lo, s7
	s_delay_alu instid0(SALU_CYCLE_1)
	s_and_b32 exec_lo, exec_lo, s4
	s_cbranch_execz .LBB14_337
; %bb.290:                              ;   in Loop: Header=BB14_12 Depth=1
	scratch_load_b32 v0, off, off offset:272 ; 4-byte Folded Reload
	s_waitcnt vmcnt(0)
	v_dual_mov_b32 v1, 0x47 :: v_dual_add_nc_u32 v0, s74, v0
	s_delay_alu instid0(VALU_DEP_1) | instskip(SKIP_1) | instid1(SALU_CYCLE_1)
	v_cmp_gt_i32_e32 vcc_lo, s8, v0
	s_and_b32 s4, vcc_lo, s3
	s_and_saveexec_b32 s7, s4
	s_cbranch_execz .LBB14_292
; %bb.291:                              ;   in Loop: Header=BB14_12 Depth=1
	scratch_load_b32 v1, off, off offset:296 ; 4-byte Folded Reload
	s_waitcnt vmcnt(0)
	v_add_nc_u32_e32 v5, 0, v1
	scratch_load_b32 v1, off, off offset:300 ; 4-byte Folded Reload
	s_waitcnt vmcnt(0)
	ds_load_2addr_stride64_b32 v[1:2], v1 offset1:13
	ds_load_2addr_b32 v[3:4], v5 offset0:48 offset1:49
	ds_load_b32 v5, v5 offset:3520
	s_waitcnt lgkmcnt(1)
	v_fma_mix_f32 v6, v3, v1, 0 op_sel_hi:[0,1,0]
	v_fma_mix_f32 v1, v3, v1, 0 op_sel:[0,1,0] op_sel_hi:[0,1,0]
	s_waitcnt lgkmcnt(0)
	s_delay_alu instid0(VALU_DEP_2) | instskip(NEXT) | instid1(VALU_DEP_2)
	v_fma_mix_f32 v6, v5, v2, v6 op_sel_hi:[0,1,0]
	v_fma_mix_f32 v5, v5, v2, v1 op_sel:[0,1,0] op_sel_hi:[0,1,0]
	s_delay_alu instid0(VALU_DEP_2) | instskip(NEXT) | instid1(VALU_DEP_2)
	v_div_scale_f32 v7, null, v4, v4, v6
	v_div_scale_f32 v8, null, v4, v4, v5
	v_div_scale_f32 v11, vcc_lo, v6, v4, v6
	s_delay_alu instid0(VALU_DEP_3) | instskip(NEXT) | instid1(VALU_DEP_2)
	v_rcp_f32_e32 v9, v7
	v_rcp_f32_e32 v10, v8
	v_div_scale_f32 v12, s4, v5, v4, v5
	s_waitcnt_depctr 0xfff
	v_fma_f32 v1, -v7, v9, 1.0
	v_fma_f32 v2, -v8, v10, 1.0
	s_delay_alu instid0(VALU_DEP_1) | instskip(SKIP_1) | instid1(VALU_DEP_2)
	v_dual_fmac_f32 v9, v1, v9 :: v_dual_fmac_f32 v10, v2, v10
	v_mad_u64_u32 v[1:2], null, v0, s9, v[218:219]
	v_dual_mul_f32 v0, v11, v9 :: v_dual_mul_f32 v13, v12, v10
	s_delay_alu instid0(VALU_DEP_2) | instskip(NEXT) | instid1(VALU_DEP_2)
	v_mad_u64_u32 v[2:3], null, v1, 48, v[209:210]
	v_fma_f32 v14, -v7, v0, v11
	s_delay_alu instid0(VALU_DEP_3) | instskip(NEXT) | instid1(VALU_DEP_1)
	v_fma_f32 v15, -v8, v13, v12
	v_dual_fmac_f32 v0, v14, v9 :: v_dual_fmac_f32 v13, v15, v10
	s_delay_alu instid0(VALU_DEP_4) | instskip(NEXT) | instid1(VALU_DEP_2)
	v_ashrrev_i32_e32 v3, 31, v2
	v_fma_f32 v1, -v7, v0, v11
	s_delay_alu instid0(VALU_DEP_3) | instskip(NEXT) | instid1(VALU_DEP_2)
	v_fma_f32 v7, -v8, v13, v12
	v_div_fmas_f32 v8, v1, v9, v0
	s_mov_b32 vcc_lo, s4
	v_lshlrev_b64 v[0:1], 3, v[2:3]
	s_delay_alu instid0(VALU_DEP_3) | instskip(NEXT) | instid1(VALU_DEP_3)
	v_div_fmas_f32 v7, v7, v10, v13
	v_div_fixup_f32 v2, v8, v4, v6
	s_delay_alu instid0(VALU_DEP_2) | instskip(NEXT) | instid1(VALU_DEP_4)
	v_div_fixup_f32 v3, v7, v4, v5
	v_add_co_u32 v4, vcc_lo, s62, v0
	v_add_co_ci_u32_e32 v5, vcc_lo, s49, v1, vcc_lo
	v_mov_b32_e32 v1, 0
	global_store_b64 v[4:5], v[2:3], off
.LBB14_292:                             ;   in Loop: Header=BB14_12 Depth=1
	s_or_b32 exec_lo, exec_lo, s7
	s_mov_b32 s4, -1
	s_mov_b32 s7, exec_lo
	v_cmpx_gt_i32_e32 0x47, v1
; %bb.293:                              ;   in Loop: Header=BB14_12 Depth=1
	v_cmp_eq_u32_e32 vcc_lo, 0, v1
	s_or_not1_b32 s4, vcc_lo, exec_lo
; %bb.294:                              ;   in Loop: Header=BB14_12 Depth=1
	s_or_b32 exec_lo, exec_lo, s7
	s_delay_alu instid0(SALU_CYCLE_1)
	s_and_b32 exec_lo, exec_lo, s4
	s_cbranch_execz .LBB14_337
; %bb.295:                              ;   in Loop: Header=BB14_12 Depth=1
	s_clause 0x1
	scratch_load_b32 v0, off, off offset:316
	scratch_load_b64 v[1:2], off, off offset:288
	s_waitcnt vmcnt(1)
	v_add_nc_u32_e32 v0, s74, v0
	s_waitcnt vmcnt(0)
	v_or_b32_e32 v1, s94, v1
	s_delay_alu instid0(VALU_DEP_1) | instskip(SKIP_2) | instid1(VALU_DEP_3)
	v_cmp_gt_i32_e64 s4, s33, v1
	v_mov_b32_e32 v1, 0x47
	v_cmp_gt_i32_e32 vcc_lo, s8, v0
	s_and_b32 s4, vcc_lo, s4
	s_delay_alu instid0(SALU_CYCLE_1)
	s_and_saveexec_b32 s7, s4
	s_cbranch_execz .LBB14_297
; %bb.296:                              ;   in Loop: Header=BB14_12 Depth=1
	scratch_load_b32 v1, off, off offset:320 ; 4-byte Folded Reload
	s_waitcnt vmcnt(0)
	v_add_nc_u32_e32 v5, 0, v1
	scratch_load_b32 v1, off, off offset:324 ; 4-byte Folded Reload
	s_waitcnt vmcnt(0)
	ds_load_2addr_stride64_b32 v[1:2], v1 offset1:13
	ds_load_2addr_b32 v[3:4], v5 offset0:48 offset1:49
	ds_load_b32 v5, v5 offset:3520
	scratch_load_b64 v[13:14], off, off offset:288 ; 8-byte Folded Reload
	s_waitcnt lgkmcnt(1)
	v_fma_mix_f32 v6, v3, v1, 0 op_sel_hi:[0,1,0]
	v_fma_mix_f32 v1, v3, v1, 0 op_sel:[0,1,0] op_sel_hi:[0,1,0]
	s_waitcnt lgkmcnt(0)
	s_delay_alu instid0(VALU_DEP_2) | instskip(NEXT) | instid1(VALU_DEP_2)
	v_fma_mix_f32 v6, v5, v2, v6 op_sel_hi:[0,1,0]
	v_fma_mix_f32 v5, v5, v2, v1 op_sel:[0,1,0] op_sel_hi:[0,1,0]
	s_delay_alu instid0(VALU_DEP_2) | instskip(NEXT) | instid1(VALU_DEP_2)
	v_div_scale_f32 v7, null, v4, v4, v6
	v_div_scale_f32 v8, null, v4, v4, v5
	v_div_scale_f32 v11, vcc_lo, v6, v4, v6
	s_delay_alu instid0(VALU_DEP_3) | instskip(NEXT) | instid1(VALU_DEP_2)
	v_rcp_f32_e32 v9, v7
	v_rcp_f32_e32 v10, v8
	v_div_scale_f32 v12, s4, v5, v4, v5
	s_waitcnt_depctr 0xfff
	v_fma_f32 v1, -v7, v9, 1.0
	v_fma_f32 v2, -v8, v10, 1.0
	s_delay_alu instid0(VALU_DEP_1) | instskip(SKIP_2) | instid1(VALU_DEP_2)
	v_dual_fmac_f32 v9, v1, v9 :: v_dual_fmac_f32 v10, v2, v10
	s_waitcnt vmcnt(0)
	v_mad_u64_u32 v[1:2], null, v0, s9, v[13:14]
	v_dual_mul_f32 v0, v11, v9 :: v_dual_mul_f32 v13, v12, v10
	s_delay_alu instid0(VALU_DEP_1) | instskip(NEXT) | instid1(VALU_DEP_2)
	v_fma_f32 v14, -v7, v0, v11
	v_fma_f32 v15, -v8, v13, v12
	s_delay_alu instid0(VALU_DEP_4) | instskip(NEXT) | instid1(VALU_DEP_2)
	v_mad_u64_u32 v[2:3], null, v1, 48, v[209:210]
	v_dual_fmac_f32 v0, v14, v9 :: v_dual_fmac_f32 v13, v15, v10
	s_delay_alu instid0(VALU_DEP_1) | instskip(NEXT) | instid1(VALU_DEP_3)
	v_fma_f32 v1, -v7, v0, v11
	v_ashrrev_i32_e32 v3, 31, v2
	s_delay_alu instid0(VALU_DEP_3) | instskip(NEXT) | instid1(VALU_DEP_3)
	v_fma_f32 v7, -v8, v13, v12
	v_div_fmas_f32 v8, v1, v9, v0
	s_mov_b32 vcc_lo, s4
	s_delay_alu instid0(VALU_DEP_3) | instskip(NEXT) | instid1(VALU_DEP_3)
	v_lshlrev_b64 v[0:1], 3, v[2:3]
	v_div_fmas_f32 v7, v7, v10, v13
	s_delay_alu instid0(VALU_DEP_3) | instskip(NEXT) | instid1(VALU_DEP_2)
	v_div_fixup_f32 v2, v8, v4, v6
	v_div_fixup_f32 v3, v7, v4, v5
	s_delay_alu instid0(VALU_DEP_4)
	v_add_co_u32 v4, vcc_lo, s62, v0
	v_add_co_ci_u32_e32 v5, vcc_lo, s49, v1, vcc_lo
	v_mov_b32_e32 v1, 0
	global_store_b64 v[4:5], v[2:3], off
.LBB14_297:                             ;   in Loop: Header=BB14_12 Depth=1
	s_or_b32 exec_lo, exec_lo, s7
	s_mov_b32 s4, -1
	s_mov_b32 s7, exec_lo
	v_cmpx_gt_i32_e32 0x47, v1
; %bb.298:                              ;   in Loop: Header=BB14_12 Depth=1
	v_cmp_eq_u32_e32 vcc_lo, 0, v1
	s_or_not1_b32 s4, vcc_lo, exec_lo
; %bb.299:                              ;   in Loop: Header=BB14_12 Depth=1
	s_or_b32 exec_lo, exec_lo, s7
	s_delay_alu instid0(SALU_CYCLE_1)
	s_and_b32 exec_lo, exec_lo, s4
	s_cbranch_execz .LBB14_337
; %bb.300:                              ;   in Loop: Header=BB14_12 Depth=1
	scratch_load_b32 v0, off, off offset:328 ; 4-byte Folded Reload
	s_waitcnt vmcnt(0)
	v_dual_mov_b32 v1, 0x47 :: v_dual_add_nc_u32 v0, s74, v0
	s_delay_alu instid0(VALU_DEP_1) | instskip(SKIP_1) | instid1(SALU_CYCLE_1)
	v_cmp_gt_i32_e32 vcc_lo, s8, v0
	s_and_b32 s4, vcc_lo, s3
	s_and_saveexec_b32 s7, s4
	s_cbranch_execz .LBB14_302
; %bb.301:                              ;   in Loop: Header=BB14_12 Depth=1
	scratch_load_b32 v1, off, off offset:348 ; 4-byte Folded Reload
	s_waitcnt vmcnt(0)
	v_add_nc_u32_e32 v5, 0, v1
	scratch_load_b32 v1, off, off offset:352 ; 4-byte Folded Reload
	s_waitcnt vmcnt(0)
	ds_load_2addr_stride64_b32 v[1:2], v1 offset1:13
	ds_load_2addr_b32 v[3:4], v5 offset0:48 offset1:49
	ds_load_b32 v5, v5 offset:3520
	s_waitcnt lgkmcnt(1)
	v_fma_mix_f32 v6, v3, v1, 0 op_sel_hi:[0,1,0]
	v_fma_mix_f32 v1, v3, v1, 0 op_sel:[0,1,0] op_sel_hi:[0,1,0]
	s_waitcnt lgkmcnt(0)
	s_delay_alu instid0(VALU_DEP_2) | instskip(NEXT) | instid1(VALU_DEP_2)
	v_fma_mix_f32 v6, v5, v2, v6 op_sel_hi:[0,1,0]
	v_fma_mix_f32 v5, v5, v2, v1 op_sel:[0,1,0] op_sel_hi:[0,1,0]
	s_delay_alu instid0(VALU_DEP_2) | instskip(NEXT) | instid1(VALU_DEP_2)
	v_div_scale_f32 v7, null, v4, v4, v6
	v_div_scale_f32 v8, null, v4, v4, v5
	v_div_scale_f32 v11, vcc_lo, v6, v4, v6
	s_delay_alu instid0(VALU_DEP_3) | instskip(NEXT) | instid1(VALU_DEP_2)
	v_rcp_f32_e32 v9, v7
	v_rcp_f32_e32 v10, v8
	v_div_scale_f32 v12, s4, v5, v4, v5
	s_waitcnt_depctr 0xfff
	v_fma_f32 v1, -v7, v9, 1.0
	v_fma_f32 v2, -v8, v10, 1.0
	s_delay_alu instid0(VALU_DEP_1) | instskip(SKIP_1) | instid1(VALU_DEP_2)
	v_dual_fmac_f32 v9, v1, v9 :: v_dual_fmac_f32 v10, v2, v10
	v_mad_u64_u32 v[1:2], null, v0, s9, v[218:219]
	v_dual_mul_f32 v0, v11, v9 :: v_dual_mul_f32 v13, v12, v10
	s_delay_alu instid0(VALU_DEP_2) | instskip(NEXT) | instid1(VALU_DEP_2)
	v_mad_u64_u32 v[2:3], null, v1, 48, v[209:210]
	v_fma_f32 v14, -v7, v0, v11
	s_delay_alu instid0(VALU_DEP_3) | instskip(NEXT) | instid1(VALU_DEP_1)
	v_fma_f32 v15, -v8, v13, v12
	v_dual_fmac_f32 v0, v14, v9 :: v_dual_fmac_f32 v13, v15, v10
	s_delay_alu instid0(VALU_DEP_4) | instskip(NEXT) | instid1(VALU_DEP_2)
	v_ashrrev_i32_e32 v3, 31, v2
	v_fma_f32 v1, -v7, v0, v11
	s_delay_alu instid0(VALU_DEP_3) | instskip(NEXT) | instid1(VALU_DEP_2)
	v_fma_f32 v7, -v8, v13, v12
	v_div_fmas_f32 v8, v1, v9, v0
	s_mov_b32 vcc_lo, s4
	v_lshlrev_b64 v[0:1], 3, v[2:3]
	s_delay_alu instid0(VALU_DEP_3) | instskip(NEXT) | instid1(VALU_DEP_3)
	v_div_fmas_f32 v7, v7, v10, v13
	v_div_fixup_f32 v2, v8, v4, v6
	s_delay_alu instid0(VALU_DEP_2) | instskip(NEXT) | instid1(VALU_DEP_4)
	v_div_fixup_f32 v3, v7, v4, v5
	v_add_co_u32 v4, vcc_lo, s62, v0
	v_add_co_ci_u32_e32 v5, vcc_lo, s49, v1, vcc_lo
	v_mov_b32_e32 v1, 0
	global_store_b64 v[4:5], v[2:3], off
.LBB14_302:                             ;   in Loop: Header=BB14_12 Depth=1
	s_or_b32 exec_lo, exec_lo, s7
	s_mov_b32 s4, -1
	s_mov_b32 s7, exec_lo
	v_cmpx_gt_i32_e32 0x47, v1
; %bb.303:                              ;   in Loop: Header=BB14_12 Depth=1
	v_cmp_eq_u32_e32 vcc_lo, 0, v1
	s_or_not1_b32 s4, vcc_lo, exec_lo
; %bb.304:                              ;   in Loop: Header=BB14_12 Depth=1
	s_or_b32 exec_lo, exec_lo, s7
	s_delay_alu instid0(SALU_CYCLE_1)
	s_and_b32 exec_lo, exec_lo, s4
	s_cbranch_execz .LBB14_337
; %bb.305:                              ;   in Loop: Header=BB14_12 Depth=1
	s_clause 0x1
	scratch_load_b32 v0, off, off offset:356
	scratch_load_b64 v[1:2], off, off offset:340
	s_waitcnt vmcnt(1)
	v_add_nc_u32_e32 v0, s74, v0
	s_waitcnt vmcnt(0)
	v_or_b32_e32 v1, s94, v1
	s_delay_alu instid0(VALU_DEP_1) | instskip(SKIP_2) | instid1(VALU_DEP_3)
	v_cmp_gt_i32_e64 s4, s33, v1
	v_mov_b32_e32 v1, 0x47
	v_cmp_gt_i32_e32 vcc_lo, s8, v0
	s_and_b32 s4, vcc_lo, s4
	s_delay_alu instid0(SALU_CYCLE_1)
	s_and_saveexec_b32 s7, s4
	s_cbranch_execz .LBB14_307
; %bb.306:                              ;   in Loop: Header=BB14_12 Depth=1
	scratch_load_b32 v1, off, off offset:360 ; 4-byte Folded Reload
	s_waitcnt vmcnt(0)
	v_add_nc_u32_e32 v5, 0, v1
	scratch_load_b32 v1, off, off offset:364 ; 4-byte Folded Reload
	s_waitcnt vmcnt(0)
	ds_load_2addr_stride64_b32 v[1:2], v1 offset1:13
	ds_load_2addr_b32 v[3:4], v5 offset0:48 offset1:49
	ds_load_b32 v5, v5 offset:3520
	scratch_load_b64 v[13:14], off, off offset:340 ; 8-byte Folded Reload
	s_waitcnt lgkmcnt(1)
	v_fma_mix_f32 v6, v3, v1, 0 op_sel_hi:[0,1,0]
	v_fma_mix_f32 v1, v3, v1, 0 op_sel:[0,1,0] op_sel_hi:[0,1,0]
	s_waitcnt lgkmcnt(0)
	s_delay_alu instid0(VALU_DEP_2) | instskip(NEXT) | instid1(VALU_DEP_2)
	v_fma_mix_f32 v6, v5, v2, v6 op_sel_hi:[0,1,0]
	v_fma_mix_f32 v5, v5, v2, v1 op_sel:[0,1,0] op_sel_hi:[0,1,0]
	s_delay_alu instid0(VALU_DEP_2) | instskip(NEXT) | instid1(VALU_DEP_2)
	v_div_scale_f32 v7, null, v4, v4, v6
	v_div_scale_f32 v8, null, v4, v4, v5
	v_div_scale_f32 v11, vcc_lo, v6, v4, v6
	s_delay_alu instid0(VALU_DEP_3) | instskip(NEXT) | instid1(VALU_DEP_2)
	v_rcp_f32_e32 v9, v7
	v_rcp_f32_e32 v10, v8
	v_div_scale_f32 v12, s4, v5, v4, v5
	s_waitcnt_depctr 0xfff
	v_fma_f32 v1, -v7, v9, 1.0
	v_fma_f32 v2, -v8, v10, 1.0
	s_delay_alu instid0(VALU_DEP_1) | instskip(SKIP_2) | instid1(VALU_DEP_2)
	v_dual_fmac_f32 v9, v1, v9 :: v_dual_fmac_f32 v10, v2, v10
	s_waitcnt vmcnt(0)
	v_mad_u64_u32 v[1:2], null, v0, s9, v[13:14]
	v_dual_mul_f32 v0, v11, v9 :: v_dual_mul_f32 v13, v12, v10
	s_delay_alu instid0(VALU_DEP_1) | instskip(NEXT) | instid1(VALU_DEP_2)
	v_fma_f32 v14, -v7, v0, v11
	v_fma_f32 v15, -v8, v13, v12
	s_delay_alu instid0(VALU_DEP_4) | instskip(NEXT) | instid1(VALU_DEP_2)
	v_mad_u64_u32 v[2:3], null, v1, 48, v[209:210]
	v_dual_fmac_f32 v0, v14, v9 :: v_dual_fmac_f32 v13, v15, v10
	s_delay_alu instid0(VALU_DEP_1) | instskip(NEXT) | instid1(VALU_DEP_3)
	v_fma_f32 v1, -v7, v0, v11
	v_ashrrev_i32_e32 v3, 31, v2
	s_delay_alu instid0(VALU_DEP_3) | instskip(NEXT) | instid1(VALU_DEP_3)
	v_fma_f32 v7, -v8, v13, v12
	v_div_fmas_f32 v8, v1, v9, v0
	s_mov_b32 vcc_lo, s4
	s_delay_alu instid0(VALU_DEP_3) | instskip(NEXT) | instid1(VALU_DEP_3)
	v_lshlrev_b64 v[0:1], 3, v[2:3]
	v_div_fmas_f32 v7, v7, v10, v13
	s_delay_alu instid0(VALU_DEP_3) | instskip(NEXT) | instid1(VALU_DEP_2)
	v_div_fixup_f32 v2, v8, v4, v6
	v_div_fixup_f32 v3, v7, v4, v5
	s_delay_alu instid0(VALU_DEP_4)
	v_add_co_u32 v4, vcc_lo, s62, v0
	v_add_co_ci_u32_e32 v5, vcc_lo, s49, v1, vcc_lo
	v_mov_b32_e32 v1, 0
	global_store_b64 v[4:5], v[2:3], off
.LBB14_307:                             ;   in Loop: Header=BB14_12 Depth=1
	s_or_b32 exec_lo, exec_lo, s7
	s_mov_b32 s4, -1
	s_mov_b32 s7, exec_lo
	v_cmpx_gt_i32_e32 0x47, v1
; %bb.308:                              ;   in Loop: Header=BB14_12 Depth=1
	v_cmp_eq_u32_e32 vcc_lo, 0, v1
	s_or_not1_b32 s4, vcc_lo, exec_lo
; %bb.309:                              ;   in Loop: Header=BB14_12 Depth=1
	s_or_b32 exec_lo, exec_lo, s7
	s_delay_alu instid0(SALU_CYCLE_1)
	s_and_b32 exec_lo, exec_lo, s4
	s_cbranch_execz .LBB14_337
; %bb.310:                              ;   in Loop: Header=BB14_12 Depth=1
	scratch_load_b32 v0, off, off offset:368 ; 4-byte Folded Reload
	s_waitcnt vmcnt(0)
	v_dual_mov_b32 v1, 0x47 :: v_dual_add_nc_u32 v0, s74, v0
	s_delay_alu instid0(VALU_DEP_1) | instskip(SKIP_1) | instid1(SALU_CYCLE_1)
	v_cmp_gt_i32_e32 vcc_lo, s8, v0
	s_and_b32 s4, vcc_lo, s3
	s_and_saveexec_b32 s7, s4
	s_cbranch_execz .LBB14_312
; %bb.311:                              ;   in Loop: Header=BB14_12 Depth=1
	scratch_load_b32 v1, off, off offset:380 ; 4-byte Folded Reload
	s_waitcnt vmcnt(0)
	v_add_nc_u32_e32 v5, 0, v1
	scratch_load_b32 v1, off, off offset:384 ; 4-byte Folded Reload
	s_waitcnt vmcnt(0)
	ds_load_2addr_stride64_b32 v[1:2], v1 offset1:13
	ds_load_2addr_b32 v[3:4], v5 offset0:48 offset1:49
	ds_load_b32 v5, v5 offset:3520
	s_waitcnt lgkmcnt(1)
	v_fma_mix_f32 v6, v3, v1, 0 op_sel_hi:[0,1,0]
	v_fma_mix_f32 v1, v3, v1, 0 op_sel:[0,1,0] op_sel_hi:[0,1,0]
	s_waitcnt lgkmcnt(0)
	s_delay_alu instid0(VALU_DEP_2) | instskip(NEXT) | instid1(VALU_DEP_2)
	v_fma_mix_f32 v6, v5, v2, v6 op_sel_hi:[0,1,0]
	v_fma_mix_f32 v5, v5, v2, v1 op_sel:[0,1,0] op_sel_hi:[0,1,0]
	s_delay_alu instid0(VALU_DEP_2) | instskip(NEXT) | instid1(VALU_DEP_2)
	v_div_scale_f32 v7, null, v4, v4, v6
	v_div_scale_f32 v8, null, v4, v4, v5
	v_div_scale_f32 v11, vcc_lo, v6, v4, v6
	s_delay_alu instid0(VALU_DEP_3) | instskip(NEXT) | instid1(VALU_DEP_2)
	v_rcp_f32_e32 v9, v7
	v_rcp_f32_e32 v10, v8
	v_div_scale_f32 v12, s4, v5, v4, v5
	s_waitcnt_depctr 0xfff
	v_fma_f32 v1, -v7, v9, 1.0
	v_fma_f32 v2, -v8, v10, 1.0
	s_delay_alu instid0(VALU_DEP_1) | instskip(SKIP_1) | instid1(VALU_DEP_2)
	v_dual_fmac_f32 v9, v1, v9 :: v_dual_fmac_f32 v10, v2, v10
	v_mad_u64_u32 v[1:2], null, v0, s9, v[218:219]
	v_dual_mul_f32 v0, v11, v9 :: v_dual_mul_f32 v13, v12, v10
	s_delay_alu instid0(VALU_DEP_2) | instskip(NEXT) | instid1(VALU_DEP_2)
	v_mad_u64_u32 v[2:3], null, v1, 48, v[209:210]
	v_fma_f32 v14, -v7, v0, v11
	s_delay_alu instid0(VALU_DEP_3) | instskip(NEXT) | instid1(VALU_DEP_1)
	v_fma_f32 v15, -v8, v13, v12
	v_dual_fmac_f32 v0, v14, v9 :: v_dual_fmac_f32 v13, v15, v10
	s_delay_alu instid0(VALU_DEP_4) | instskip(NEXT) | instid1(VALU_DEP_2)
	v_ashrrev_i32_e32 v3, 31, v2
	v_fma_f32 v1, -v7, v0, v11
	s_delay_alu instid0(VALU_DEP_3) | instskip(NEXT) | instid1(VALU_DEP_2)
	v_fma_f32 v7, -v8, v13, v12
	v_div_fmas_f32 v8, v1, v9, v0
	s_mov_b32 vcc_lo, s4
	v_lshlrev_b64 v[0:1], 3, v[2:3]
	s_delay_alu instid0(VALU_DEP_3) | instskip(NEXT) | instid1(VALU_DEP_3)
	v_div_fmas_f32 v7, v7, v10, v13
	v_div_fixup_f32 v2, v8, v4, v6
	s_delay_alu instid0(VALU_DEP_2) | instskip(NEXT) | instid1(VALU_DEP_4)
	v_div_fixup_f32 v3, v7, v4, v5
	v_add_co_u32 v4, vcc_lo, s62, v0
	v_add_co_ci_u32_e32 v5, vcc_lo, s49, v1, vcc_lo
	v_mov_b32_e32 v1, 0
	global_store_b64 v[4:5], v[2:3], off
.LBB14_312:                             ;   in Loop: Header=BB14_12 Depth=1
	s_or_b32 exec_lo, exec_lo, s7
	s_mov_b32 s4, -1
	s_mov_b32 s7, exec_lo
	v_cmpx_gt_i32_e32 0x47, v1
; %bb.313:                              ;   in Loop: Header=BB14_12 Depth=1
	v_cmp_eq_u32_e32 vcc_lo, 0, v1
	s_or_not1_b32 s4, vcc_lo, exec_lo
; %bb.314:                              ;   in Loop: Header=BB14_12 Depth=1
	s_or_b32 exec_lo, exec_lo, s7
	s_delay_alu instid0(SALU_CYCLE_1)
	s_and_b32 exec_lo, exec_lo, s4
	s_cbranch_execz .LBB14_337
; %bb.315:                              ;   in Loop: Header=BB14_12 Depth=1
	s_clause 0x1
	scratch_load_b32 v0, off, off offset:388
	scratch_load_b64 v[1:2], off, off offset:372
	s_waitcnt vmcnt(1)
	v_add_nc_u32_e32 v0, s74, v0
	s_waitcnt vmcnt(0)
	v_or_b32_e32 v1, s94, v1
	s_delay_alu instid0(VALU_DEP_1) | instskip(SKIP_2) | instid1(VALU_DEP_3)
	v_cmp_gt_i32_e64 s4, s33, v1
	v_mov_b32_e32 v1, 0x47
	v_cmp_gt_i32_e32 vcc_lo, s8, v0
	s_and_b32 s4, vcc_lo, s4
	s_delay_alu instid0(SALU_CYCLE_1)
	s_and_saveexec_b32 s7, s4
	s_cbranch_execz .LBB14_317
; %bb.316:                              ;   in Loop: Header=BB14_12 Depth=1
	scratch_load_b32 v1, off, off offset:392 ; 4-byte Folded Reload
	s_waitcnt vmcnt(0)
	v_add_nc_u32_e32 v5, 0, v1
	scratch_load_b32 v1, off, off offset:396 ; 4-byte Folded Reload
	s_waitcnt vmcnt(0)
	ds_load_2addr_stride64_b32 v[1:2], v1 offset1:13
	ds_load_2addr_b32 v[3:4], v5 offset0:48 offset1:49
	ds_load_b32 v5, v5 offset:3520
	scratch_load_b64 v[13:14], off, off offset:372 ; 8-byte Folded Reload
	s_waitcnt lgkmcnt(1)
	v_fma_mix_f32 v6, v3, v1, 0 op_sel_hi:[0,1,0]
	v_fma_mix_f32 v1, v3, v1, 0 op_sel:[0,1,0] op_sel_hi:[0,1,0]
	s_waitcnt lgkmcnt(0)
	s_delay_alu instid0(VALU_DEP_2) | instskip(NEXT) | instid1(VALU_DEP_2)
	v_fma_mix_f32 v6, v5, v2, v6 op_sel_hi:[0,1,0]
	v_fma_mix_f32 v5, v5, v2, v1 op_sel:[0,1,0] op_sel_hi:[0,1,0]
	s_delay_alu instid0(VALU_DEP_2) | instskip(NEXT) | instid1(VALU_DEP_2)
	v_div_scale_f32 v7, null, v4, v4, v6
	v_div_scale_f32 v8, null, v4, v4, v5
	v_div_scale_f32 v11, vcc_lo, v6, v4, v6
	s_delay_alu instid0(VALU_DEP_3) | instskip(NEXT) | instid1(VALU_DEP_2)
	v_rcp_f32_e32 v9, v7
	v_rcp_f32_e32 v10, v8
	v_div_scale_f32 v12, s4, v5, v4, v5
	s_waitcnt_depctr 0xfff
	v_fma_f32 v1, -v7, v9, 1.0
	v_fma_f32 v2, -v8, v10, 1.0
	s_delay_alu instid0(VALU_DEP_1) | instskip(SKIP_2) | instid1(VALU_DEP_2)
	v_dual_fmac_f32 v9, v1, v9 :: v_dual_fmac_f32 v10, v2, v10
	s_waitcnt vmcnt(0)
	v_mad_u64_u32 v[1:2], null, v0, s9, v[13:14]
	v_dual_mul_f32 v0, v11, v9 :: v_dual_mul_f32 v13, v12, v10
	s_delay_alu instid0(VALU_DEP_1) | instskip(NEXT) | instid1(VALU_DEP_2)
	v_fma_f32 v14, -v7, v0, v11
	v_fma_f32 v15, -v8, v13, v12
	s_delay_alu instid0(VALU_DEP_4) | instskip(NEXT) | instid1(VALU_DEP_2)
	v_mad_u64_u32 v[2:3], null, v1, 48, v[209:210]
	v_dual_fmac_f32 v0, v14, v9 :: v_dual_fmac_f32 v13, v15, v10
	s_delay_alu instid0(VALU_DEP_1) | instskip(NEXT) | instid1(VALU_DEP_3)
	v_fma_f32 v1, -v7, v0, v11
	v_ashrrev_i32_e32 v3, 31, v2
	s_delay_alu instid0(VALU_DEP_3) | instskip(NEXT) | instid1(VALU_DEP_3)
	v_fma_f32 v7, -v8, v13, v12
	v_div_fmas_f32 v8, v1, v9, v0
	s_mov_b32 vcc_lo, s4
	s_delay_alu instid0(VALU_DEP_3) | instskip(NEXT) | instid1(VALU_DEP_3)
	v_lshlrev_b64 v[0:1], 3, v[2:3]
	v_div_fmas_f32 v7, v7, v10, v13
	s_delay_alu instid0(VALU_DEP_3) | instskip(NEXT) | instid1(VALU_DEP_2)
	v_div_fixup_f32 v2, v8, v4, v6
	v_div_fixup_f32 v3, v7, v4, v5
	s_delay_alu instid0(VALU_DEP_4)
	v_add_co_u32 v4, vcc_lo, s62, v0
	v_add_co_ci_u32_e32 v5, vcc_lo, s49, v1, vcc_lo
	v_mov_b32_e32 v1, 0
	global_store_b64 v[4:5], v[2:3], off
.LBB14_317:                             ;   in Loop: Header=BB14_12 Depth=1
	s_or_b32 exec_lo, exec_lo, s7
	s_mov_b32 s4, -1
	s_mov_b32 s7, exec_lo
	v_cmpx_gt_i32_e32 0x47, v1
; %bb.318:                              ;   in Loop: Header=BB14_12 Depth=1
	v_cmp_eq_u32_e32 vcc_lo, 0, v1
	s_or_not1_b32 s4, vcc_lo, exec_lo
; %bb.319:                              ;   in Loop: Header=BB14_12 Depth=1
	s_or_b32 exec_lo, exec_lo, s7
	s_delay_alu instid0(SALU_CYCLE_1)
	s_and_b32 exec_lo, exec_lo, s4
	s_cbranch_execz .LBB14_337
; %bb.320:                              ;   in Loop: Header=BB14_12 Depth=1
	scratch_load_b32 v0, off, off offset:400 ; 4-byte Folded Reload
	s_waitcnt vmcnt(0)
	v_dual_mov_b32 v1, 0x47 :: v_dual_add_nc_u32 v0, s74, v0
	s_delay_alu instid0(VALU_DEP_1) | instskip(SKIP_1) | instid1(SALU_CYCLE_1)
	v_cmp_gt_i32_e32 vcc_lo, s8, v0
	s_and_b32 s4, vcc_lo, s3
	s_and_saveexec_b32 s7, s4
	s_cbranch_execz .LBB14_322
; %bb.321:                              ;   in Loop: Header=BB14_12 Depth=1
	scratch_load_b32 v1, off, off offset:412 ; 4-byte Folded Reload
	s_waitcnt vmcnt(0)
	v_add_nc_u32_e32 v5, 0, v1
	scratch_load_b32 v1, off, off offset:416 ; 4-byte Folded Reload
	s_waitcnt vmcnt(0)
	ds_load_2addr_stride64_b32 v[1:2], v1 offset1:13
	ds_load_2addr_b32 v[3:4], v5 offset0:48 offset1:49
	ds_load_b32 v5, v5 offset:3520
	s_waitcnt lgkmcnt(1)
	v_fma_mix_f32 v6, v3, v1, 0 op_sel_hi:[0,1,0]
	v_fma_mix_f32 v1, v3, v1, 0 op_sel:[0,1,0] op_sel_hi:[0,1,0]
	s_waitcnt lgkmcnt(0)
	s_delay_alu instid0(VALU_DEP_2) | instskip(NEXT) | instid1(VALU_DEP_2)
	v_fma_mix_f32 v6, v5, v2, v6 op_sel_hi:[0,1,0]
	v_fma_mix_f32 v5, v5, v2, v1 op_sel:[0,1,0] op_sel_hi:[0,1,0]
	s_delay_alu instid0(VALU_DEP_2) | instskip(NEXT) | instid1(VALU_DEP_2)
	v_div_scale_f32 v7, null, v4, v4, v6
	v_div_scale_f32 v8, null, v4, v4, v5
	v_div_scale_f32 v11, vcc_lo, v6, v4, v6
	s_delay_alu instid0(VALU_DEP_3) | instskip(NEXT) | instid1(VALU_DEP_2)
	v_rcp_f32_e32 v9, v7
	v_rcp_f32_e32 v10, v8
	v_div_scale_f32 v12, s4, v5, v4, v5
	s_waitcnt_depctr 0xfff
	v_fma_f32 v1, -v7, v9, 1.0
	v_fma_f32 v2, -v8, v10, 1.0
	s_delay_alu instid0(VALU_DEP_1) | instskip(SKIP_1) | instid1(VALU_DEP_2)
	v_dual_fmac_f32 v9, v1, v9 :: v_dual_fmac_f32 v10, v2, v10
	v_mad_u64_u32 v[1:2], null, v0, s9, v[218:219]
	v_dual_mul_f32 v0, v11, v9 :: v_dual_mul_f32 v13, v12, v10
	s_delay_alu instid0(VALU_DEP_2) | instskip(NEXT) | instid1(VALU_DEP_2)
	v_mad_u64_u32 v[2:3], null, v1, 48, v[209:210]
	v_fma_f32 v14, -v7, v0, v11
	s_delay_alu instid0(VALU_DEP_3) | instskip(NEXT) | instid1(VALU_DEP_1)
	v_fma_f32 v15, -v8, v13, v12
	v_dual_fmac_f32 v0, v14, v9 :: v_dual_fmac_f32 v13, v15, v10
	s_delay_alu instid0(VALU_DEP_4) | instskip(NEXT) | instid1(VALU_DEP_2)
	v_ashrrev_i32_e32 v3, 31, v2
	v_fma_f32 v1, -v7, v0, v11
	s_delay_alu instid0(VALU_DEP_3) | instskip(NEXT) | instid1(VALU_DEP_2)
	v_fma_f32 v7, -v8, v13, v12
	v_div_fmas_f32 v8, v1, v9, v0
	s_mov_b32 vcc_lo, s4
	v_lshlrev_b64 v[0:1], 3, v[2:3]
	s_delay_alu instid0(VALU_DEP_3) | instskip(NEXT) | instid1(VALU_DEP_3)
	v_div_fmas_f32 v7, v7, v10, v13
	v_div_fixup_f32 v2, v8, v4, v6
	s_delay_alu instid0(VALU_DEP_2) | instskip(NEXT) | instid1(VALU_DEP_4)
	v_div_fixup_f32 v3, v7, v4, v5
	v_add_co_u32 v4, vcc_lo, s62, v0
	v_add_co_ci_u32_e32 v5, vcc_lo, s49, v1, vcc_lo
	v_mov_b32_e32 v1, 0
	global_store_b64 v[4:5], v[2:3], off
.LBB14_322:                             ;   in Loop: Header=BB14_12 Depth=1
	s_or_b32 exec_lo, exec_lo, s7
	s_mov_b32 s4, -1
	s_mov_b32 s7, exec_lo
	v_cmpx_gt_i32_e32 0x47, v1
; %bb.323:                              ;   in Loop: Header=BB14_12 Depth=1
	v_cmp_eq_u32_e32 vcc_lo, 0, v1
	s_or_not1_b32 s4, vcc_lo, exec_lo
; %bb.324:                              ;   in Loop: Header=BB14_12 Depth=1
	s_or_b32 exec_lo, exec_lo, s7
	s_delay_alu instid0(SALU_CYCLE_1)
	s_and_b32 exec_lo, exec_lo, s4
	s_cbranch_execz .LBB14_337
; %bb.325:                              ;   in Loop: Header=BB14_12 Depth=1
	s_clause 0x1
	scratch_load_b32 v0, off, off offset:420
	scratch_load_b64 v[1:2], off, off offset:404
	s_waitcnt vmcnt(1)
	v_add_nc_u32_e32 v0, s74, v0
	s_waitcnt vmcnt(0)
	v_or_b32_e32 v1, s94, v1
	s_delay_alu instid0(VALU_DEP_1) | instskip(SKIP_2) | instid1(VALU_DEP_3)
	v_cmp_gt_i32_e64 s4, s33, v1
	v_mov_b32_e32 v1, 0x47
	v_cmp_gt_i32_e32 vcc_lo, s8, v0
	s_and_b32 s4, vcc_lo, s4
	s_delay_alu instid0(SALU_CYCLE_1)
	s_and_saveexec_b32 s7, s4
	s_cbranch_execz .LBB14_327
; %bb.326:                              ;   in Loop: Header=BB14_12 Depth=1
	scratch_load_b32 v1, off, off offset:424 ; 4-byte Folded Reload
	s_waitcnt vmcnt(0)
	v_add_nc_u32_e32 v5, 0, v1
	scratch_load_b32 v1, off, off offset:428 ; 4-byte Folded Reload
	s_waitcnt vmcnt(0)
	ds_load_2addr_stride64_b32 v[1:2], v1 offset1:13
	ds_load_2addr_b32 v[3:4], v5 offset0:48 offset1:49
	ds_load_b32 v5, v5 offset:3520
	scratch_load_b64 v[13:14], off, off offset:404 ; 8-byte Folded Reload
	s_waitcnt lgkmcnt(1)
	v_fma_mix_f32 v6, v3, v1, 0 op_sel_hi:[0,1,0]
	v_fma_mix_f32 v1, v3, v1, 0 op_sel:[0,1,0] op_sel_hi:[0,1,0]
	s_waitcnt lgkmcnt(0)
	s_delay_alu instid0(VALU_DEP_2) | instskip(NEXT) | instid1(VALU_DEP_2)
	v_fma_mix_f32 v6, v5, v2, v6 op_sel_hi:[0,1,0]
	v_fma_mix_f32 v5, v5, v2, v1 op_sel:[0,1,0] op_sel_hi:[0,1,0]
	s_delay_alu instid0(VALU_DEP_2) | instskip(NEXT) | instid1(VALU_DEP_2)
	v_div_scale_f32 v7, null, v4, v4, v6
	v_div_scale_f32 v8, null, v4, v4, v5
	v_div_scale_f32 v11, vcc_lo, v6, v4, v6
	s_delay_alu instid0(VALU_DEP_3) | instskip(NEXT) | instid1(VALU_DEP_2)
	v_rcp_f32_e32 v9, v7
	v_rcp_f32_e32 v10, v8
	v_div_scale_f32 v12, s4, v5, v4, v5
	s_waitcnt_depctr 0xfff
	v_fma_f32 v1, -v7, v9, 1.0
	v_fma_f32 v2, -v8, v10, 1.0
	s_delay_alu instid0(VALU_DEP_1) | instskip(SKIP_2) | instid1(VALU_DEP_2)
	v_dual_fmac_f32 v9, v1, v9 :: v_dual_fmac_f32 v10, v2, v10
	s_waitcnt vmcnt(0)
	v_mad_u64_u32 v[1:2], null, v0, s9, v[13:14]
	v_dual_mul_f32 v0, v11, v9 :: v_dual_mul_f32 v13, v12, v10
	s_delay_alu instid0(VALU_DEP_1) | instskip(NEXT) | instid1(VALU_DEP_2)
	v_fma_f32 v14, -v7, v0, v11
	v_fma_f32 v15, -v8, v13, v12
	s_delay_alu instid0(VALU_DEP_4) | instskip(NEXT) | instid1(VALU_DEP_2)
	v_mad_u64_u32 v[2:3], null, v1, 48, v[209:210]
	v_dual_fmac_f32 v0, v14, v9 :: v_dual_fmac_f32 v13, v15, v10
	s_delay_alu instid0(VALU_DEP_1) | instskip(NEXT) | instid1(VALU_DEP_3)
	v_fma_f32 v1, -v7, v0, v11
	v_ashrrev_i32_e32 v3, 31, v2
	s_delay_alu instid0(VALU_DEP_3) | instskip(NEXT) | instid1(VALU_DEP_3)
	v_fma_f32 v7, -v8, v13, v12
	v_div_fmas_f32 v8, v1, v9, v0
	s_mov_b32 vcc_lo, s4
	s_delay_alu instid0(VALU_DEP_3) | instskip(NEXT) | instid1(VALU_DEP_3)
	v_lshlrev_b64 v[0:1], 3, v[2:3]
	v_div_fmas_f32 v7, v7, v10, v13
	s_delay_alu instid0(VALU_DEP_3) | instskip(NEXT) | instid1(VALU_DEP_2)
	v_div_fixup_f32 v2, v8, v4, v6
	v_div_fixup_f32 v3, v7, v4, v5
	s_delay_alu instid0(VALU_DEP_4)
	v_add_co_u32 v4, vcc_lo, s62, v0
	v_add_co_ci_u32_e32 v5, vcc_lo, s49, v1, vcc_lo
	v_mov_b32_e32 v1, 0
	global_store_b64 v[4:5], v[2:3], off
.LBB14_327:                             ;   in Loop: Header=BB14_12 Depth=1
	s_or_b32 exec_lo, exec_lo, s7
	s_mov_b32 s4, -1
	s_mov_b32 s7, exec_lo
	v_cmpx_gt_i32_e32 0x47, v1
; %bb.328:                              ;   in Loop: Header=BB14_12 Depth=1
	v_cmp_eq_u32_e32 vcc_lo, 0, v1
	s_or_not1_b32 s4, vcc_lo, exec_lo
; %bb.329:                              ;   in Loop: Header=BB14_12 Depth=1
	s_or_b32 exec_lo, exec_lo, s7
	s_delay_alu instid0(SALU_CYCLE_1)
	s_and_b32 exec_lo, exec_lo, s4
	s_cbranch_execz .LBB14_337
; %bb.330:                              ;   in Loop: Header=BB14_12 Depth=1
	scratch_load_b32 v0, off, off offset:432 ; 4-byte Folded Reload
	s_waitcnt vmcnt(0)
	v_dual_mov_b32 v1, 0x47 :: v_dual_add_nc_u32 v0, s74, v0
	s_delay_alu instid0(VALU_DEP_1) | instskip(SKIP_1) | instid1(SALU_CYCLE_1)
	v_cmp_gt_i32_e32 vcc_lo, s8, v0
	s_and_b32 s3, vcc_lo, s3
	s_and_saveexec_b32 s4, s3
	s_cbranch_execz .LBB14_332
; %bb.331:                              ;   in Loop: Header=BB14_12 Depth=1
	scratch_load_b32 v1, off, off offset:444 ; 4-byte Folded Reload
	s_waitcnt vmcnt(0)
	v_add_nc_u32_e32 v5, 0, v1
	scratch_load_b32 v1, off, off offset:448 ; 4-byte Folded Reload
	s_waitcnt vmcnt(0)
	ds_load_2addr_stride64_b32 v[1:2], v1 offset1:13
	ds_load_2addr_b32 v[3:4], v5 offset0:48 offset1:49
	ds_load_b32 v5, v5 offset:3520
	s_waitcnt lgkmcnt(1)
	v_fma_mix_f32 v6, v3, v1, 0 op_sel_hi:[0,1,0]
	v_fma_mix_f32 v1, v3, v1, 0 op_sel:[0,1,0] op_sel_hi:[0,1,0]
	s_waitcnt lgkmcnt(0)
	s_delay_alu instid0(VALU_DEP_2) | instskip(NEXT) | instid1(VALU_DEP_2)
	v_fma_mix_f32 v6, v5, v2, v6 op_sel_hi:[0,1,0]
	v_fma_mix_f32 v5, v5, v2, v1 op_sel:[0,1,0] op_sel_hi:[0,1,0]
	s_delay_alu instid0(VALU_DEP_2) | instskip(NEXT) | instid1(VALU_DEP_2)
	v_div_scale_f32 v7, null, v4, v4, v6
	v_div_scale_f32 v8, null, v4, v4, v5
	v_div_scale_f32 v11, vcc_lo, v6, v4, v6
	s_delay_alu instid0(VALU_DEP_3) | instskip(NEXT) | instid1(VALU_DEP_2)
	v_rcp_f32_e32 v9, v7
	v_rcp_f32_e32 v10, v8
	v_div_scale_f32 v12, s3, v5, v4, v5
	s_waitcnt_depctr 0xfff
	v_fma_f32 v1, -v7, v9, 1.0
	v_fma_f32 v2, -v8, v10, 1.0
	s_delay_alu instid0(VALU_DEP_1) | instskip(SKIP_1) | instid1(VALU_DEP_2)
	v_dual_fmac_f32 v9, v1, v9 :: v_dual_fmac_f32 v10, v2, v10
	v_mad_u64_u32 v[1:2], null, v0, s9, v[218:219]
	v_dual_mul_f32 v0, v11, v9 :: v_dual_mul_f32 v13, v12, v10
	s_delay_alu instid0(VALU_DEP_2) | instskip(NEXT) | instid1(VALU_DEP_2)
	v_mad_u64_u32 v[2:3], null, v1, 48, v[209:210]
	v_fma_f32 v14, -v7, v0, v11
	s_delay_alu instid0(VALU_DEP_3) | instskip(NEXT) | instid1(VALU_DEP_1)
	v_fma_f32 v15, -v8, v13, v12
	v_dual_fmac_f32 v0, v14, v9 :: v_dual_fmac_f32 v13, v15, v10
	s_delay_alu instid0(VALU_DEP_4) | instskip(NEXT) | instid1(VALU_DEP_2)
	v_ashrrev_i32_e32 v3, 31, v2
	v_fma_f32 v1, -v7, v0, v11
	s_delay_alu instid0(VALU_DEP_3) | instskip(NEXT) | instid1(VALU_DEP_2)
	v_fma_f32 v7, -v8, v13, v12
	v_div_fmas_f32 v8, v1, v9, v0
	s_mov_b32 vcc_lo, s3
	v_lshlrev_b64 v[0:1], 3, v[2:3]
	s_delay_alu instid0(VALU_DEP_3) | instskip(NEXT) | instid1(VALU_DEP_3)
	v_div_fmas_f32 v7, v7, v10, v13
	v_div_fixup_f32 v2, v8, v4, v6
	s_delay_alu instid0(VALU_DEP_2) | instskip(NEXT) | instid1(VALU_DEP_4)
	v_div_fixup_f32 v3, v7, v4, v5
	v_add_co_u32 v4, vcc_lo, s62, v0
	v_add_co_ci_u32_e32 v5, vcc_lo, s49, v1, vcc_lo
	v_mov_b32_e32 v1, 0
	global_store_b64 v[4:5], v[2:3], off
.LBB14_332:                             ;   in Loop: Header=BB14_12 Depth=1
	s_or_b32 exec_lo, exec_lo, s4
	s_mov_b32 s3, -1
	s_mov_b32 s4, exec_lo
	v_cmpx_gt_i32_e32 0x47, v1
; %bb.333:                              ;   in Loop: Header=BB14_12 Depth=1
	v_cmp_eq_u32_e32 vcc_lo, 0, v1
	s_or_not1_b32 s3, vcc_lo, exec_lo
; %bb.334:                              ;   in Loop: Header=BB14_12 Depth=1
	s_or_b32 exec_lo, exec_lo, s4
	s_delay_alu instid0(SALU_CYCLE_1)
	s_and_b32 exec_lo, exec_lo, s3
	s_cbranch_execz .LBB14_337
; %bb.335:                              ;   in Loop: Header=BB14_12 Depth=1
	s_clause 0x1
	scratch_load_b32 v0, off, off offset:452
	scratch_load_b64 v[1:2], off, off offset:436
	s_waitcnt vmcnt(1)
	v_add_nc_u32_e32 v0, s74, v0
	s_waitcnt vmcnt(0)
	v_or_b32_e32 v1, s94, v1
	s_delay_alu instid0(VALU_DEP_2) | instskip(NEXT) | instid1(VALU_DEP_2)
	v_cmp_gt_i32_e32 vcc_lo, s8, v0
	v_cmp_gt_i32_e64 s3, s33, v1
	s_delay_alu instid0(VALU_DEP_1) | instskip(NEXT) | instid1(SALU_CYCLE_1)
	s_and_b32 s3, vcc_lo, s3
	s_and_b32 exec_lo, exec_lo, s3
	s_cbranch_execz .LBB14_337
; %bb.336:                              ;   in Loop: Header=BB14_12 Depth=1
	scratch_load_b32 v1, off, off offset:456 ; 4-byte Folded Reload
	s_waitcnt vmcnt(0)
	v_add_nc_u32_e32 v5, 0, v1
	scratch_load_b32 v1, off, off offset:460 ; 4-byte Folded Reload
	s_waitcnt vmcnt(0)
	ds_load_2addr_stride64_b32 v[1:2], v1 offset1:13
	ds_load_2addr_b32 v[3:4], v5 offset0:48 offset1:49
	ds_load_b32 v5, v5 offset:3520
	scratch_load_b64 v[13:14], off, off offset:436 ; 8-byte Folded Reload
	s_waitcnt lgkmcnt(1)
	v_fma_mix_f32 v6, v3, v1, 0 op_sel_hi:[0,1,0]
	v_fma_mix_f32 v1, v3, v1, 0 op_sel:[0,1,0] op_sel_hi:[0,1,0]
	s_waitcnt lgkmcnt(0)
	s_delay_alu instid0(VALU_DEP_2) | instskip(NEXT) | instid1(VALU_DEP_2)
	v_fma_mix_f32 v6, v5, v2, v6 op_sel_hi:[0,1,0]
	v_fma_mix_f32 v5, v5, v2, v1 op_sel:[0,1,0] op_sel_hi:[0,1,0]
	s_delay_alu instid0(VALU_DEP_2) | instskip(NEXT) | instid1(VALU_DEP_2)
	v_div_scale_f32 v7, null, v4, v4, v6
	v_div_scale_f32 v8, null, v4, v4, v5
	v_div_scale_f32 v11, vcc_lo, v6, v4, v6
	s_delay_alu instid0(VALU_DEP_3) | instskip(NEXT) | instid1(VALU_DEP_2)
	v_rcp_f32_e32 v9, v7
	v_rcp_f32_e32 v10, v8
	v_div_scale_f32 v12, s3, v5, v4, v5
	s_waitcnt_depctr 0xfff
	v_fma_f32 v1, -v7, v9, 1.0
	v_fma_f32 v2, -v8, v10, 1.0
	s_delay_alu instid0(VALU_DEP_1) | instskip(SKIP_2) | instid1(VALU_DEP_2)
	v_dual_fmac_f32 v9, v1, v9 :: v_dual_fmac_f32 v10, v2, v10
	s_waitcnt vmcnt(0)
	v_mad_u64_u32 v[1:2], null, v0, s9, v[13:14]
	v_dual_mul_f32 v0, v11, v9 :: v_dual_mul_f32 v13, v12, v10
	s_delay_alu instid0(VALU_DEP_1) | instskip(NEXT) | instid1(VALU_DEP_3)
	v_fma_f32 v14, -v7, v0, v11
	v_mad_u64_u32 v[2:3], null, v1, 48, v[209:210]
	s_delay_alu instid0(VALU_DEP_3) | instskip(NEXT) | instid1(VALU_DEP_1)
	v_fma_f32 v15, -v8, v13, v12
	v_dual_fmac_f32 v0, v14, v9 :: v_dual_fmac_f32 v13, v15, v10
	s_delay_alu instid0(VALU_DEP_3) | instskip(NEXT) | instid1(VALU_DEP_2)
	v_ashrrev_i32_e32 v3, 31, v2
	v_fma_f32 v1, -v7, v0, v11
	s_delay_alu instid0(VALU_DEP_3) | instskip(NEXT) | instid1(VALU_DEP_2)
	v_fma_f32 v7, -v8, v13, v12
	v_div_fmas_f32 v8, v1, v9, v0
	s_delay_alu instid0(VALU_DEP_4) | instskip(SKIP_1) | instid1(VALU_DEP_3)
	v_lshlrev_b64 v[0:1], 3, v[2:3]
	s_mov_b32 vcc_lo, s3
	v_div_fmas_f32 v7, v7, v10, v13
	s_delay_alu instid0(VALU_DEP_3) | instskip(NEXT) | instid1(VALU_DEP_3)
	v_div_fixup_f32 v2, v8, v4, v6
	v_add_co_u32 v0, vcc_lo, s62, v0
	s_delay_alu instid0(VALU_DEP_3)
	v_div_fixup_f32 v3, v7, v4, v5
	v_add_co_ci_u32_e32 v1, vcc_lo, s49, v1, vcc_lo
	global_store_b64 v[0:1], v[2:3], off
.LBB14_337:                             ;   in Loop: Header=BB14_12 Depth=1
	s_or_b32 exec_lo, exec_lo, s6
	scratch_load_b32 v0, off, off offset:8  ; 4-byte Folded Reload
	v_or_b32_e32 v1, s94, v123
	s_delay_alu instid0(VALU_DEP_1) | instskip(SKIP_2) | instid1(VALU_DEP_1)
	v_cmp_gt_i32_e64 s3, s33, v1
	s_waitcnt vmcnt(0)
	v_dual_mov_b32 v1, 0x47 :: v_dual_add_nc_u32 v0, s74, v0
	v_cmp_gt_i32_e32 vcc_lo, s8, v0
	s_delay_alu instid0(VALU_DEP_3) | instskip(NEXT) | instid1(SALU_CYCLE_1)
	s_and_b32 s4, vcc_lo, s3
	s_and_saveexec_b32 s6, s4
	s_cbranch_execz .LBB14_339
; %bb.338:                              ;   in Loop: Header=BB14_12 Depth=1
	s_clause 0x1
	scratch_load_b32 v1, off, off offset:32
	scratch_load_b32 v2, off, off offset:28
	s_waitcnt vmcnt(1)
	v_add_nc_u32_e32 v1, 0x80, v1
	s_waitcnt vmcnt(0)
	v_add_nc_u32_e32 v5, 0, v2
	ds_load_2addr_stride64_b32 v[1:2], v1 offset1:13
	ds_load_2addr_b32 v[3:4], v5 offset0:48 offset1:49
	ds_load_b32 v5, v5 offset:3520
	s_waitcnt lgkmcnt(1)
	v_fma_mix_f32 v6, v3, v1, 0 op_sel_hi:[0,1,0]
	v_fma_mix_f32 v1, v3, v1, 0 op_sel:[0,1,0] op_sel_hi:[0,1,0]
	s_waitcnt lgkmcnt(0)
	s_delay_alu instid0(VALU_DEP_2) | instskip(NEXT) | instid1(VALU_DEP_2)
	v_fma_mix_f32 v3, v5, v2, v6 op_sel_hi:[0,1,0]
	v_fma_mix_f32 v5, v5, v2, v1 op_sel:[0,1,0] op_sel_hi:[0,1,0]
	v_mad_u64_u32 v[1:2], null, v0, s9, v[123:124]
	s_delay_alu instid0(VALU_DEP_3) | instskip(NEXT) | instid1(VALU_DEP_3)
	v_div_scale_f32 v6, null, v4, v4, v3
	v_div_scale_f32 v7, null, v4, v4, v5
	v_div_scale_f32 v2, vcc_lo, v3, v4, v3
	s_delay_alu instid0(VALU_DEP_3) | instskip(NEXT) | instid1(VALU_DEP_2)
	v_rcp_f32_e32 v8, v6
	v_rcp_f32_e32 v9, v7
	s_waitcnt_depctr 0xfff
	v_fma_f32 v10, -v6, v8, 1.0
	v_fma_f32 v0, -v7, v9, 1.0
	s_delay_alu instid0(VALU_DEP_2) | instskip(SKIP_1) | instid1(VALU_DEP_3)
	v_fmac_f32_e32 v8, v10, v8
	v_div_scale_f32 v10, s4, v5, v4, v5
	v_fmac_f32_e32 v9, v0, v9
	v_mul_lo_u32 v0, v1, 48
	s_delay_alu instid0(VALU_DEP_2) | instskip(NEXT) | instid1(VALU_DEP_1)
	v_mul_f32_e32 v12, v10, v9
	v_fma_f32 v13, -v7, v12, v10
	s_delay_alu instid0(VALU_DEP_1) | instskip(NEXT) | instid1(VALU_DEP_1)
	v_dual_mul_f32 v11, v2, v8 :: v_dual_fmac_f32 v12, v13, v9
	v_fma_f32 v1, -v6, v11, v2
	v_and_b32_e32 v13, 15, v209
	s_delay_alu instid0(VALU_DEP_2) | instskip(SKIP_1) | instid1(VALU_DEP_3)
	v_fmac_f32_e32 v11, v1, v8
	v_ashrrev_i32_e32 v1, 31, v0
	v_or_b32_e32 v0, v0, v13
	s_delay_alu instid0(VALU_DEP_3) | instskip(NEXT) | instid1(VALU_DEP_3)
	v_fma_f32 v2, -v6, v11, v2
	v_or_b32_e32 v1, 0, v1
	v_fma_f32 v6, -v7, v12, v10
	s_delay_alu instid0(VALU_DEP_3) | instskip(SKIP_1) | instid1(VALU_DEP_3)
	v_div_fmas_f32 v2, v2, v8, v11
	s_mov_b32 vcc_lo, s4
	v_lshlrev_b64 v[0:1], 3, v[0:1]
	s_delay_alu instid0(VALU_DEP_3) | instskip(NEXT) | instid1(VALU_DEP_3)
	v_div_fmas_f32 v6, v6, v9, v12
	v_div_fixup_f32 v2, v2, v4, v3
	s_delay_alu instid0(VALU_DEP_2) | instskip(NEXT) | instid1(VALU_DEP_4)
	v_div_fixup_f32 v3, v6, v4, v5
	v_add_co_u32 v4, vcc_lo, s62, v0
	v_add_co_ci_u32_e32 v5, vcc_lo, s49, v1, vcc_lo
	v_mov_b32_e32 v1, 0
	global_store_b64 v[4:5], v[2:3], off offset:256
.LBB14_339:                             ;   in Loop: Header=BB14_12 Depth=1
	s_or_b32 exec_lo, exec_lo, s6
	s_mov_b32 s4, -1
	s_mov_b32 s6, exec_lo
	v_cmpx_gt_i32_e32 0x47, v1
; %bb.340:                              ;   in Loop: Header=BB14_12 Depth=1
	v_cmp_eq_u32_e32 vcc_lo, 0, v1
	s_or_not1_b32 s4, vcc_lo, exec_lo
; %bb.341:                              ;   in Loop: Header=BB14_12 Depth=1
	s_or_b32 exec_lo, exec_lo, s6
	s_delay_alu instid0(SALU_CYCLE_1)
	s_and_b32 exec_lo, exec_lo, s4
	s_cbranch_execz .LBB14_10
; %bb.342:                              ;   in Loop: Header=BB14_12 Depth=1
	scratch_load_b32 v0, off, off offset:36 ; 4-byte Folded Reload
	s_waitcnt vmcnt(0)
	v_dual_mov_b32 v1, 0x47 :: v_dual_add_nc_u32 v0, s74, v0
	s_delay_alu instid0(VALU_DEP_1) | instskip(SKIP_1) | instid1(SALU_CYCLE_1)
	v_cmp_gt_i32_e32 vcc_lo, s8, v0
	s_and_b32 s4, vcc_lo, s3
	s_and_saveexec_b32 s6, s4
	s_cbranch_execz .LBB14_344
; %bb.343:                              ;   in Loop: Header=BB14_12 Depth=1
	s_clause 0x1
	scratch_load_b32 v1, off, off offset:168
	scratch_load_b32 v2, off, off offset:164
	s_waitcnt vmcnt(1)
	v_add_nc_u32_e32 v1, 0x80, v1
	s_waitcnt vmcnt(0)
	v_add_nc_u32_e32 v5, 0, v2
	ds_load_2addr_stride64_b32 v[1:2], v1 offset1:13
	ds_load_2addr_b32 v[3:4], v5 offset0:48 offset1:49
	ds_load_b32 v5, v5 offset:3520
	s_waitcnt lgkmcnt(1)
	v_fma_mix_f32 v6, v3, v1, 0 op_sel_hi:[0,1,0]
	v_fma_mix_f32 v1, v3, v1, 0 op_sel:[0,1,0] op_sel_hi:[0,1,0]
	s_waitcnt lgkmcnt(0)
	s_delay_alu instid0(VALU_DEP_2) | instskip(NEXT) | instid1(VALU_DEP_2)
	v_fma_mix_f32 v3, v5, v2, v6 op_sel_hi:[0,1,0]
	v_fma_mix_f32 v5, v5, v2, v1 op_sel:[0,1,0] op_sel_hi:[0,1,0]
	v_mad_u64_u32 v[1:2], null, v0, s9, v[123:124]
	s_delay_alu instid0(VALU_DEP_3) | instskip(NEXT) | instid1(VALU_DEP_3)
	v_div_scale_f32 v6, null, v4, v4, v3
	v_div_scale_f32 v7, null, v4, v4, v5
	v_div_scale_f32 v2, vcc_lo, v3, v4, v3
	s_delay_alu instid0(VALU_DEP_3) | instskip(NEXT) | instid1(VALU_DEP_2)
	v_rcp_f32_e32 v8, v6
	v_rcp_f32_e32 v9, v7
	s_waitcnt_depctr 0xfff
	v_fma_f32 v10, -v6, v8, 1.0
	v_fma_f32 v0, -v7, v9, 1.0
	s_delay_alu instid0(VALU_DEP_2) | instskip(SKIP_1) | instid1(VALU_DEP_3)
	v_fmac_f32_e32 v8, v10, v8
	v_div_scale_f32 v10, s4, v5, v4, v5
	v_fmac_f32_e32 v9, v0, v9
	v_mul_lo_u32 v0, v1, 48
	s_delay_alu instid0(VALU_DEP_2) | instskip(NEXT) | instid1(VALU_DEP_1)
	v_mul_f32_e32 v12, v10, v9
	v_fma_f32 v13, -v7, v12, v10
	s_delay_alu instid0(VALU_DEP_1) | instskip(NEXT) | instid1(VALU_DEP_1)
	v_dual_mul_f32 v11, v2, v8 :: v_dual_fmac_f32 v12, v13, v9
	v_fma_f32 v1, -v6, v11, v2
	v_and_b32_e32 v13, 15, v209
	s_delay_alu instid0(VALU_DEP_2) | instskip(SKIP_1) | instid1(VALU_DEP_3)
	v_fmac_f32_e32 v11, v1, v8
	v_ashrrev_i32_e32 v1, 31, v0
	v_or_b32_e32 v0, v0, v13
	s_delay_alu instid0(VALU_DEP_3) | instskip(NEXT) | instid1(VALU_DEP_3)
	v_fma_f32 v2, -v6, v11, v2
	v_or_b32_e32 v1, 0, v1
	v_fma_f32 v6, -v7, v12, v10
	s_delay_alu instid0(VALU_DEP_3) | instskip(SKIP_1) | instid1(VALU_DEP_3)
	v_div_fmas_f32 v2, v2, v8, v11
	s_mov_b32 vcc_lo, s4
	v_lshlrev_b64 v[0:1], 3, v[0:1]
	s_delay_alu instid0(VALU_DEP_3) | instskip(NEXT) | instid1(VALU_DEP_3)
	v_div_fmas_f32 v6, v6, v9, v12
	v_div_fixup_f32 v2, v2, v4, v3
	s_delay_alu instid0(VALU_DEP_2) | instskip(NEXT) | instid1(VALU_DEP_4)
	v_div_fixup_f32 v3, v6, v4, v5
	v_add_co_u32 v4, vcc_lo, s62, v0
	v_add_co_ci_u32_e32 v5, vcc_lo, s49, v1, vcc_lo
	v_mov_b32_e32 v1, 0
	global_store_b64 v[4:5], v[2:3], off offset:256
.LBB14_344:                             ;   in Loop: Header=BB14_12 Depth=1
	s_or_b32 exec_lo, exec_lo, s6
	s_mov_b32 s4, -1
	s_mov_b32 s6, exec_lo
	v_cmpx_gt_i32_e32 0x47, v1
; %bb.345:                              ;   in Loop: Header=BB14_12 Depth=1
	v_cmp_eq_u32_e32 vcc_lo, 0, v1
	s_or_not1_b32 s4, vcc_lo, exec_lo
; %bb.346:                              ;   in Loop: Header=BB14_12 Depth=1
	s_or_b32 exec_lo, exec_lo, s6
	s_delay_alu instid0(SALU_CYCLE_1)
	s_and_b32 exec_lo, exec_lo, s4
	s_cbranch_execz .LBB14_10
; %bb.347:                              ;   in Loop: Header=BB14_12 Depth=1
	scratch_load_b32 v0, off, off offset:172 ; 4-byte Folded Reload
	s_waitcnt vmcnt(0)
	v_dual_mov_b32 v1, 0x47 :: v_dual_add_nc_u32 v0, s74, v0
	s_delay_alu instid0(VALU_DEP_1) | instskip(SKIP_1) | instid1(SALU_CYCLE_1)
	v_cmp_gt_i32_e32 vcc_lo, s8, v0
	s_and_b32 s4, vcc_lo, s3
	s_and_saveexec_b32 s6, s4
	s_cbranch_execz .LBB14_349
; %bb.348:                              ;   in Loop: Header=BB14_12 Depth=1
	s_clause 0x1
	scratch_load_b32 v1, off, off offset:196
	scratch_load_b32 v2, off, off offset:192
	s_waitcnt vmcnt(1)
	v_add_nc_u32_e32 v1, 0x80, v1
	s_waitcnt vmcnt(0)
	v_add_nc_u32_e32 v5, 0, v2
	ds_load_2addr_stride64_b32 v[1:2], v1 offset1:13
	ds_load_2addr_b32 v[3:4], v5 offset0:48 offset1:49
	ds_load_b32 v5, v5 offset:3520
	s_waitcnt lgkmcnt(1)
	v_fma_mix_f32 v6, v3, v1, 0 op_sel_hi:[0,1,0]
	v_fma_mix_f32 v1, v3, v1, 0 op_sel:[0,1,0] op_sel_hi:[0,1,0]
	s_waitcnt lgkmcnt(0)
	s_delay_alu instid0(VALU_DEP_2) | instskip(NEXT) | instid1(VALU_DEP_2)
	v_fma_mix_f32 v3, v5, v2, v6 op_sel_hi:[0,1,0]
	v_fma_mix_f32 v5, v5, v2, v1 op_sel:[0,1,0] op_sel_hi:[0,1,0]
	v_mad_u64_u32 v[1:2], null, v0, s9, v[123:124]
	s_delay_alu instid0(VALU_DEP_3) | instskip(NEXT) | instid1(VALU_DEP_3)
	v_div_scale_f32 v6, null, v4, v4, v3
	v_div_scale_f32 v7, null, v4, v4, v5
	v_div_scale_f32 v2, vcc_lo, v3, v4, v3
	s_delay_alu instid0(VALU_DEP_3) | instskip(NEXT) | instid1(VALU_DEP_2)
	v_rcp_f32_e32 v8, v6
	v_rcp_f32_e32 v9, v7
	s_waitcnt_depctr 0xfff
	v_fma_f32 v10, -v6, v8, 1.0
	v_fma_f32 v0, -v7, v9, 1.0
	s_delay_alu instid0(VALU_DEP_2) | instskip(SKIP_1) | instid1(VALU_DEP_3)
	v_fmac_f32_e32 v8, v10, v8
	v_div_scale_f32 v10, s4, v5, v4, v5
	v_fmac_f32_e32 v9, v0, v9
	v_mul_lo_u32 v0, v1, 48
	s_delay_alu instid0(VALU_DEP_2) | instskip(NEXT) | instid1(VALU_DEP_1)
	v_mul_f32_e32 v12, v10, v9
	v_fma_f32 v13, -v7, v12, v10
	s_delay_alu instid0(VALU_DEP_1) | instskip(NEXT) | instid1(VALU_DEP_1)
	v_dual_mul_f32 v11, v2, v8 :: v_dual_fmac_f32 v12, v13, v9
	v_fma_f32 v1, -v6, v11, v2
	v_and_b32_e32 v13, 15, v209
	s_delay_alu instid0(VALU_DEP_2) | instskip(SKIP_1) | instid1(VALU_DEP_3)
	v_fmac_f32_e32 v11, v1, v8
	v_ashrrev_i32_e32 v1, 31, v0
	v_or_b32_e32 v0, v0, v13
	s_delay_alu instid0(VALU_DEP_3) | instskip(NEXT) | instid1(VALU_DEP_3)
	v_fma_f32 v2, -v6, v11, v2
	v_or_b32_e32 v1, 0, v1
	v_fma_f32 v6, -v7, v12, v10
	s_delay_alu instid0(VALU_DEP_3) | instskip(SKIP_1) | instid1(VALU_DEP_3)
	v_div_fmas_f32 v2, v2, v8, v11
	s_mov_b32 vcc_lo, s4
	v_lshlrev_b64 v[0:1], 3, v[0:1]
	s_delay_alu instid0(VALU_DEP_3) | instskip(NEXT) | instid1(VALU_DEP_3)
	v_div_fmas_f32 v6, v6, v9, v12
	v_div_fixup_f32 v2, v2, v4, v3
	s_delay_alu instid0(VALU_DEP_2) | instskip(NEXT) | instid1(VALU_DEP_4)
	v_div_fixup_f32 v3, v6, v4, v5
	v_add_co_u32 v4, vcc_lo, s62, v0
	v_add_co_ci_u32_e32 v5, vcc_lo, s49, v1, vcc_lo
	v_mov_b32_e32 v1, 0
	global_store_b64 v[4:5], v[2:3], off offset:256
.LBB14_349:                             ;   in Loop: Header=BB14_12 Depth=1
	s_or_b32 exec_lo, exec_lo, s6
	s_mov_b32 s4, -1
	s_mov_b32 s6, exec_lo
	v_cmpx_gt_i32_e32 0x47, v1
; %bb.350:                              ;   in Loop: Header=BB14_12 Depth=1
	v_cmp_eq_u32_e32 vcc_lo, 0, v1
	s_or_not1_b32 s4, vcc_lo, exec_lo
; %bb.351:                              ;   in Loop: Header=BB14_12 Depth=1
	s_or_b32 exec_lo, exec_lo, s6
	s_delay_alu instid0(SALU_CYCLE_1)
	s_and_b32 exec_lo, exec_lo, s4
	s_cbranch_execz .LBB14_10
; %bb.352:                              ;   in Loop: Header=BB14_12 Depth=1
	scratch_load_b32 v0, off, off offset:200 ; 4-byte Folded Reload
	s_waitcnt vmcnt(0)
	v_dual_mov_b32 v1, 0x47 :: v_dual_add_nc_u32 v0, s74, v0
	s_delay_alu instid0(VALU_DEP_1) | instskip(SKIP_1) | instid1(SALU_CYCLE_1)
	v_cmp_gt_i32_e32 vcc_lo, s8, v0
	s_and_b32 s4, vcc_lo, s3
	s_and_saveexec_b32 s6, s4
	s_cbranch_execz .LBB14_354
; %bb.353:                              ;   in Loop: Header=BB14_12 Depth=1
	s_clause 0x1
	scratch_load_b32 v1, off, off offset:224
	scratch_load_b32 v2, off, off offset:220
	s_waitcnt vmcnt(1)
	v_add_nc_u32_e32 v1, 0x80, v1
	s_waitcnt vmcnt(0)
	v_add_nc_u32_e32 v5, 0, v2
	ds_load_2addr_stride64_b32 v[1:2], v1 offset1:13
	ds_load_2addr_b32 v[3:4], v5 offset0:48 offset1:49
	ds_load_b32 v5, v5 offset:3520
	s_waitcnt lgkmcnt(1)
	v_fma_mix_f32 v6, v3, v1, 0 op_sel_hi:[0,1,0]
	v_fma_mix_f32 v1, v3, v1, 0 op_sel:[0,1,0] op_sel_hi:[0,1,0]
	s_waitcnt lgkmcnt(0)
	s_delay_alu instid0(VALU_DEP_2) | instskip(NEXT) | instid1(VALU_DEP_2)
	v_fma_mix_f32 v3, v5, v2, v6 op_sel_hi:[0,1,0]
	v_fma_mix_f32 v5, v5, v2, v1 op_sel:[0,1,0] op_sel_hi:[0,1,0]
	v_mad_u64_u32 v[1:2], null, v0, s9, v[123:124]
	s_delay_alu instid0(VALU_DEP_3) | instskip(NEXT) | instid1(VALU_DEP_3)
	v_div_scale_f32 v6, null, v4, v4, v3
	v_div_scale_f32 v7, null, v4, v4, v5
	v_div_scale_f32 v2, vcc_lo, v3, v4, v3
	s_delay_alu instid0(VALU_DEP_3) | instskip(NEXT) | instid1(VALU_DEP_2)
	v_rcp_f32_e32 v8, v6
	v_rcp_f32_e32 v9, v7
	s_waitcnt_depctr 0xfff
	v_fma_f32 v10, -v6, v8, 1.0
	v_fma_f32 v0, -v7, v9, 1.0
	s_delay_alu instid0(VALU_DEP_2) | instskip(SKIP_1) | instid1(VALU_DEP_3)
	v_fmac_f32_e32 v8, v10, v8
	v_div_scale_f32 v10, s4, v5, v4, v5
	v_fmac_f32_e32 v9, v0, v9
	v_mul_lo_u32 v0, v1, 48
	s_delay_alu instid0(VALU_DEP_2) | instskip(NEXT) | instid1(VALU_DEP_1)
	v_mul_f32_e32 v12, v10, v9
	v_fma_f32 v13, -v7, v12, v10
	s_delay_alu instid0(VALU_DEP_1) | instskip(NEXT) | instid1(VALU_DEP_1)
	v_dual_mul_f32 v11, v2, v8 :: v_dual_fmac_f32 v12, v13, v9
	v_fma_f32 v1, -v6, v11, v2
	v_and_b32_e32 v13, 15, v209
	s_delay_alu instid0(VALU_DEP_2) | instskip(SKIP_1) | instid1(VALU_DEP_3)
	v_fmac_f32_e32 v11, v1, v8
	v_ashrrev_i32_e32 v1, 31, v0
	v_or_b32_e32 v0, v0, v13
	s_delay_alu instid0(VALU_DEP_3) | instskip(NEXT) | instid1(VALU_DEP_3)
	v_fma_f32 v2, -v6, v11, v2
	v_or_b32_e32 v1, 0, v1
	v_fma_f32 v6, -v7, v12, v10
	s_delay_alu instid0(VALU_DEP_3) | instskip(SKIP_1) | instid1(VALU_DEP_3)
	v_div_fmas_f32 v2, v2, v8, v11
	s_mov_b32 vcc_lo, s4
	v_lshlrev_b64 v[0:1], 3, v[0:1]
	s_delay_alu instid0(VALU_DEP_3) | instskip(NEXT) | instid1(VALU_DEP_3)
	v_div_fmas_f32 v6, v6, v9, v12
	v_div_fixup_f32 v2, v2, v4, v3
	s_delay_alu instid0(VALU_DEP_2) | instskip(NEXT) | instid1(VALU_DEP_4)
	v_div_fixup_f32 v3, v6, v4, v5
	v_add_co_u32 v4, vcc_lo, s62, v0
	v_add_co_ci_u32_e32 v5, vcc_lo, s49, v1, vcc_lo
	v_mov_b32_e32 v1, 0
	global_store_b64 v[4:5], v[2:3], off offset:256
.LBB14_354:                             ;   in Loop: Header=BB14_12 Depth=1
	s_or_b32 exec_lo, exec_lo, s6
	s_mov_b32 s4, -1
	s_mov_b32 s6, exec_lo
	v_cmpx_gt_i32_e32 0x47, v1
; %bb.355:                              ;   in Loop: Header=BB14_12 Depth=1
	v_cmp_eq_u32_e32 vcc_lo, 0, v1
	s_or_not1_b32 s4, vcc_lo, exec_lo
; %bb.356:                              ;   in Loop: Header=BB14_12 Depth=1
	s_or_b32 exec_lo, exec_lo, s6
	s_delay_alu instid0(SALU_CYCLE_1)
	s_and_b32 exec_lo, exec_lo, s4
	s_cbranch_execz .LBB14_10
; %bb.357:                              ;   in Loop: Header=BB14_12 Depth=1
	scratch_load_b32 v0, off, off offset:228 ; 4-byte Folded Reload
	s_waitcnt vmcnt(0)
	v_dual_mov_b32 v1, 0x47 :: v_dual_add_nc_u32 v0, s74, v0
	s_delay_alu instid0(VALU_DEP_1) | instskip(SKIP_1) | instid1(SALU_CYCLE_1)
	v_cmp_gt_i32_e32 vcc_lo, s8, v0
	s_and_b32 s4, vcc_lo, s3
	s_and_saveexec_b32 s6, s4
	s_cbranch_execz .LBB14_359
; %bb.358:                              ;   in Loop: Header=BB14_12 Depth=1
	s_clause 0x1
	scratch_load_b32 v1, off, off offset:252
	scratch_load_b32 v2, off, off offset:248
	s_waitcnt vmcnt(1)
	v_add_nc_u32_e32 v1, 0x80, v1
	s_waitcnt vmcnt(0)
	v_add_nc_u32_e32 v5, 0, v2
	ds_load_2addr_stride64_b32 v[1:2], v1 offset1:13
	ds_load_2addr_b32 v[3:4], v5 offset0:48 offset1:49
	ds_load_b32 v5, v5 offset:3520
	s_waitcnt lgkmcnt(1)
	v_fma_mix_f32 v6, v3, v1, 0 op_sel_hi:[0,1,0]
	v_fma_mix_f32 v1, v3, v1, 0 op_sel:[0,1,0] op_sel_hi:[0,1,0]
	s_waitcnt lgkmcnt(0)
	s_delay_alu instid0(VALU_DEP_2) | instskip(NEXT) | instid1(VALU_DEP_2)
	v_fma_mix_f32 v3, v5, v2, v6 op_sel_hi:[0,1,0]
	v_fma_mix_f32 v5, v5, v2, v1 op_sel:[0,1,0] op_sel_hi:[0,1,0]
	v_mad_u64_u32 v[1:2], null, v0, s9, v[123:124]
	s_delay_alu instid0(VALU_DEP_3) | instskip(NEXT) | instid1(VALU_DEP_3)
	v_div_scale_f32 v6, null, v4, v4, v3
	v_div_scale_f32 v7, null, v4, v4, v5
	v_div_scale_f32 v2, vcc_lo, v3, v4, v3
	s_delay_alu instid0(VALU_DEP_3) | instskip(NEXT) | instid1(VALU_DEP_2)
	v_rcp_f32_e32 v8, v6
	v_rcp_f32_e32 v9, v7
	s_waitcnt_depctr 0xfff
	v_fma_f32 v10, -v6, v8, 1.0
	v_fma_f32 v0, -v7, v9, 1.0
	s_delay_alu instid0(VALU_DEP_2) | instskip(SKIP_1) | instid1(VALU_DEP_3)
	v_fmac_f32_e32 v8, v10, v8
	v_div_scale_f32 v10, s4, v5, v4, v5
	v_fmac_f32_e32 v9, v0, v9
	v_mul_lo_u32 v0, v1, 48
	s_delay_alu instid0(VALU_DEP_2) | instskip(NEXT) | instid1(VALU_DEP_1)
	v_mul_f32_e32 v12, v10, v9
	v_fma_f32 v13, -v7, v12, v10
	s_delay_alu instid0(VALU_DEP_1) | instskip(NEXT) | instid1(VALU_DEP_1)
	v_dual_mul_f32 v11, v2, v8 :: v_dual_fmac_f32 v12, v13, v9
	v_fma_f32 v1, -v6, v11, v2
	v_and_b32_e32 v13, 15, v209
	s_delay_alu instid0(VALU_DEP_2) | instskip(SKIP_1) | instid1(VALU_DEP_3)
	v_fmac_f32_e32 v11, v1, v8
	v_ashrrev_i32_e32 v1, 31, v0
	v_or_b32_e32 v0, v0, v13
	s_delay_alu instid0(VALU_DEP_3) | instskip(NEXT) | instid1(VALU_DEP_3)
	v_fma_f32 v2, -v6, v11, v2
	v_or_b32_e32 v1, 0, v1
	v_fma_f32 v6, -v7, v12, v10
	s_delay_alu instid0(VALU_DEP_3) | instskip(SKIP_1) | instid1(VALU_DEP_3)
	v_div_fmas_f32 v2, v2, v8, v11
	s_mov_b32 vcc_lo, s4
	v_lshlrev_b64 v[0:1], 3, v[0:1]
	s_delay_alu instid0(VALU_DEP_3) | instskip(NEXT) | instid1(VALU_DEP_3)
	v_div_fmas_f32 v6, v6, v9, v12
	v_div_fixup_f32 v2, v2, v4, v3
	s_delay_alu instid0(VALU_DEP_2) | instskip(NEXT) | instid1(VALU_DEP_4)
	v_div_fixup_f32 v3, v6, v4, v5
	v_add_co_u32 v4, vcc_lo, s62, v0
	v_add_co_ci_u32_e32 v5, vcc_lo, s49, v1, vcc_lo
	v_mov_b32_e32 v1, 0
	global_store_b64 v[4:5], v[2:3], off offset:256
.LBB14_359:                             ;   in Loop: Header=BB14_12 Depth=1
	s_or_b32 exec_lo, exec_lo, s6
	s_mov_b32 s4, -1
	s_mov_b32 s6, exec_lo
	v_cmpx_gt_i32_e32 0x47, v1
; %bb.360:                              ;   in Loop: Header=BB14_12 Depth=1
	v_cmp_eq_u32_e32 vcc_lo, 0, v1
	s_or_not1_b32 s4, vcc_lo, exec_lo
; %bb.361:                              ;   in Loop: Header=BB14_12 Depth=1
	s_or_b32 exec_lo, exec_lo, s6
	s_delay_alu instid0(SALU_CYCLE_1)
	s_and_b32 exec_lo, exec_lo, s4
	s_cbranch_execz .LBB14_10
; %bb.362:                              ;   in Loop: Header=BB14_12 Depth=1
	scratch_load_b32 v0, off, off offset:256 ; 4-byte Folded Reload
	s_waitcnt vmcnt(0)
	v_dual_mov_b32 v1, 0x47 :: v_dual_add_nc_u32 v0, s74, v0
	s_delay_alu instid0(VALU_DEP_1) | instskip(SKIP_1) | instid1(SALU_CYCLE_1)
	v_cmp_gt_i32_e32 vcc_lo, s8, v0
	s_and_b32 s4, vcc_lo, s3
	s_and_saveexec_b32 s6, s4
	s_cbranch_execz .LBB14_364
; %bb.363:                              ;   in Loop: Header=BB14_12 Depth=1
	s_clause 0x1
	scratch_load_b32 v1, off, off offset:280
	scratch_load_b32 v2, off, off offset:276
	s_waitcnt vmcnt(1)
	v_add_nc_u32_e32 v1, 0x80, v1
	s_waitcnt vmcnt(0)
	v_add_nc_u32_e32 v5, 0, v2
	ds_load_2addr_stride64_b32 v[1:2], v1 offset1:13
	ds_load_2addr_b32 v[3:4], v5 offset0:48 offset1:49
	ds_load_b32 v5, v5 offset:3520
	s_waitcnt lgkmcnt(1)
	v_fma_mix_f32 v6, v3, v1, 0 op_sel_hi:[0,1,0]
	v_fma_mix_f32 v1, v3, v1, 0 op_sel:[0,1,0] op_sel_hi:[0,1,0]
	s_waitcnt lgkmcnt(0)
	s_delay_alu instid0(VALU_DEP_2) | instskip(NEXT) | instid1(VALU_DEP_2)
	v_fma_mix_f32 v3, v5, v2, v6 op_sel_hi:[0,1,0]
	v_fma_mix_f32 v5, v5, v2, v1 op_sel:[0,1,0] op_sel_hi:[0,1,0]
	v_mad_u64_u32 v[1:2], null, v0, s9, v[123:124]
	s_delay_alu instid0(VALU_DEP_3) | instskip(NEXT) | instid1(VALU_DEP_3)
	v_div_scale_f32 v6, null, v4, v4, v3
	v_div_scale_f32 v7, null, v4, v4, v5
	v_div_scale_f32 v2, vcc_lo, v3, v4, v3
	s_delay_alu instid0(VALU_DEP_3) | instskip(NEXT) | instid1(VALU_DEP_2)
	v_rcp_f32_e32 v8, v6
	v_rcp_f32_e32 v9, v7
	s_waitcnt_depctr 0xfff
	v_fma_f32 v10, -v6, v8, 1.0
	v_fma_f32 v0, -v7, v9, 1.0
	s_delay_alu instid0(VALU_DEP_2) | instskip(SKIP_1) | instid1(VALU_DEP_3)
	v_fmac_f32_e32 v8, v10, v8
	v_div_scale_f32 v10, s4, v5, v4, v5
	v_fmac_f32_e32 v9, v0, v9
	v_mul_lo_u32 v0, v1, 48
	s_delay_alu instid0(VALU_DEP_2) | instskip(NEXT) | instid1(VALU_DEP_1)
	v_mul_f32_e32 v12, v10, v9
	v_fma_f32 v13, -v7, v12, v10
	s_delay_alu instid0(VALU_DEP_1) | instskip(NEXT) | instid1(VALU_DEP_1)
	v_dual_mul_f32 v11, v2, v8 :: v_dual_fmac_f32 v12, v13, v9
	v_fma_f32 v1, -v6, v11, v2
	v_and_b32_e32 v13, 15, v209
	s_delay_alu instid0(VALU_DEP_2) | instskip(SKIP_1) | instid1(VALU_DEP_3)
	v_fmac_f32_e32 v11, v1, v8
	v_ashrrev_i32_e32 v1, 31, v0
	v_or_b32_e32 v0, v0, v13
	s_delay_alu instid0(VALU_DEP_3) | instskip(NEXT) | instid1(VALU_DEP_3)
	v_fma_f32 v2, -v6, v11, v2
	v_or_b32_e32 v1, 0, v1
	v_fma_f32 v6, -v7, v12, v10
	s_delay_alu instid0(VALU_DEP_3) | instskip(SKIP_1) | instid1(VALU_DEP_3)
	v_div_fmas_f32 v2, v2, v8, v11
	s_mov_b32 vcc_lo, s4
	v_lshlrev_b64 v[0:1], 3, v[0:1]
	s_delay_alu instid0(VALU_DEP_3) | instskip(NEXT) | instid1(VALU_DEP_3)
	v_div_fmas_f32 v6, v6, v9, v12
	v_div_fixup_f32 v2, v2, v4, v3
	s_delay_alu instid0(VALU_DEP_2) | instskip(NEXT) | instid1(VALU_DEP_4)
	v_div_fixup_f32 v3, v6, v4, v5
	v_add_co_u32 v4, vcc_lo, s62, v0
	v_add_co_ci_u32_e32 v5, vcc_lo, s49, v1, vcc_lo
	v_mov_b32_e32 v1, 0
	global_store_b64 v[4:5], v[2:3], off offset:256
.LBB14_364:                             ;   in Loop: Header=BB14_12 Depth=1
	s_or_b32 exec_lo, exec_lo, s6
	s_mov_b32 s4, -1
	s_mov_b32 s6, exec_lo
	v_cmpx_gt_i32_e32 0x47, v1
; %bb.365:                              ;   in Loop: Header=BB14_12 Depth=1
	v_cmp_eq_u32_e32 vcc_lo, 0, v1
	s_or_not1_b32 s4, vcc_lo, exec_lo
; %bb.366:                              ;   in Loop: Header=BB14_12 Depth=1
	s_or_b32 exec_lo, exec_lo, s6
	s_delay_alu instid0(SALU_CYCLE_1)
	s_and_b32 exec_lo, exec_lo, s4
	s_cbranch_execz .LBB14_10
; %bb.367:                              ;   in Loop: Header=BB14_12 Depth=1
	scratch_load_b32 v0, off, off offset:284 ; 4-byte Folded Reload
	s_waitcnt vmcnt(0)
	v_dual_mov_b32 v1, 0x47 :: v_dual_add_nc_u32 v0, s74, v0
	s_delay_alu instid0(VALU_DEP_1) | instskip(SKIP_1) | instid1(SALU_CYCLE_1)
	v_cmp_gt_i32_e32 vcc_lo, s8, v0
	s_and_b32 s4, vcc_lo, s3
	s_and_saveexec_b32 s6, s4
	s_cbranch_execz .LBB14_369
; %bb.368:                              ;   in Loop: Header=BB14_12 Depth=1
	s_clause 0x1
	scratch_load_b32 v1, off, off offset:308
	scratch_load_b32 v2, off, off offset:304
	s_waitcnt vmcnt(1)
	v_add_nc_u32_e32 v1, 0x80, v1
	s_waitcnt vmcnt(0)
	v_add_nc_u32_e32 v5, 0, v2
	ds_load_2addr_stride64_b32 v[1:2], v1 offset1:13
	ds_load_2addr_b32 v[3:4], v5 offset0:48 offset1:49
	ds_load_b32 v5, v5 offset:3520
	s_waitcnt lgkmcnt(1)
	v_fma_mix_f32 v6, v3, v1, 0 op_sel_hi:[0,1,0]
	v_fma_mix_f32 v1, v3, v1, 0 op_sel:[0,1,0] op_sel_hi:[0,1,0]
	s_waitcnt lgkmcnt(0)
	s_delay_alu instid0(VALU_DEP_2) | instskip(NEXT) | instid1(VALU_DEP_2)
	v_fma_mix_f32 v3, v5, v2, v6 op_sel_hi:[0,1,0]
	v_fma_mix_f32 v5, v5, v2, v1 op_sel:[0,1,0] op_sel_hi:[0,1,0]
	v_mad_u64_u32 v[1:2], null, v0, s9, v[123:124]
	s_delay_alu instid0(VALU_DEP_3) | instskip(NEXT) | instid1(VALU_DEP_3)
	v_div_scale_f32 v6, null, v4, v4, v3
	v_div_scale_f32 v7, null, v4, v4, v5
	v_div_scale_f32 v2, vcc_lo, v3, v4, v3
	s_delay_alu instid0(VALU_DEP_3) | instskip(NEXT) | instid1(VALU_DEP_2)
	v_rcp_f32_e32 v8, v6
	v_rcp_f32_e32 v9, v7
	s_waitcnt_depctr 0xfff
	v_fma_f32 v10, -v6, v8, 1.0
	v_fma_f32 v0, -v7, v9, 1.0
	s_delay_alu instid0(VALU_DEP_2) | instskip(SKIP_1) | instid1(VALU_DEP_3)
	v_fmac_f32_e32 v8, v10, v8
	v_div_scale_f32 v10, s4, v5, v4, v5
	v_fmac_f32_e32 v9, v0, v9
	v_mul_lo_u32 v0, v1, 48
	s_delay_alu instid0(VALU_DEP_2) | instskip(NEXT) | instid1(VALU_DEP_1)
	v_mul_f32_e32 v12, v10, v9
	v_fma_f32 v13, -v7, v12, v10
	s_delay_alu instid0(VALU_DEP_1) | instskip(NEXT) | instid1(VALU_DEP_1)
	v_dual_mul_f32 v11, v2, v8 :: v_dual_fmac_f32 v12, v13, v9
	v_fma_f32 v1, -v6, v11, v2
	v_and_b32_e32 v13, 15, v209
	s_delay_alu instid0(VALU_DEP_2) | instskip(SKIP_1) | instid1(VALU_DEP_3)
	v_fmac_f32_e32 v11, v1, v8
	v_ashrrev_i32_e32 v1, 31, v0
	v_or_b32_e32 v0, v0, v13
	s_delay_alu instid0(VALU_DEP_3) | instskip(NEXT) | instid1(VALU_DEP_3)
	v_fma_f32 v2, -v6, v11, v2
	v_or_b32_e32 v1, 0, v1
	v_fma_f32 v6, -v7, v12, v10
	s_delay_alu instid0(VALU_DEP_3) | instskip(SKIP_1) | instid1(VALU_DEP_3)
	v_div_fmas_f32 v2, v2, v8, v11
	s_mov_b32 vcc_lo, s4
	v_lshlrev_b64 v[0:1], 3, v[0:1]
	s_delay_alu instid0(VALU_DEP_3) | instskip(NEXT) | instid1(VALU_DEP_3)
	v_div_fmas_f32 v6, v6, v9, v12
	v_div_fixup_f32 v2, v2, v4, v3
	s_delay_alu instid0(VALU_DEP_2) | instskip(NEXT) | instid1(VALU_DEP_4)
	v_div_fixup_f32 v3, v6, v4, v5
	v_add_co_u32 v4, vcc_lo, s62, v0
	v_add_co_ci_u32_e32 v5, vcc_lo, s49, v1, vcc_lo
	v_mov_b32_e32 v1, 0
	global_store_b64 v[4:5], v[2:3], off offset:256
.LBB14_369:                             ;   in Loop: Header=BB14_12 Depth=1
	s_or_b32 exec_lo, exec_lo, s6
	s_mov_b32 s4, -1
	s_mov_b32 s6, exec_lo
	v_cmpx_gt_i32_e32 0x47, v1
; %bb.370:                              ;   in Loop: Header=BB14_12 Depth=1
	v_cmp_eq_u32_e32 vcc_lo, 0, v1
	s_or_not1_b32 s4, vcc_lo, exec_lo
; %bb.371:                              ;   in Loop: Header=BB14_12 Depth=1
	s_or_b32 exec_lo, exec_lo, s6
	s_delay_alu instid0(SALU_CYCLE_1)
	s_and_b32 exec_lo, exec_lo, s4
	s_cbranch_execz .LBB14_10
; %bb.372:                              ;   in Loop: Header=BB14_12 Depth=1
	scratch_load_b32 v0, off, off offset:312 ; 4-byte Folded Reload
	s_waitcnt vmcnt(0)
	v_add_nc_u32_e32 v0, s74, v0
	s_delay_alu instid0(VALU_DEP_1) | instskip(SKIP_1) | instid1(SALU_CYCLE_1)
	v_cmp_gt_i32_e32 vcc_lo, s8, v0
	s_and_b32 s3, vcc_lo, s3
	s_and_b32 exec_lo, exec_lo, s3
	s_cbranch_execz .LBB14_10
; %bb.373:                              ;   in Loop: Header=BB14_12 Depth=1
	s_clause 0x1
	scratch_load_b32 v1, off, off offset:336
	scratch_load_b32 v2, off, off offset:332
	s_waitcnt vmcnt(1)
	v_add_nc_u32_e32 v1, 0x80, v1
	s_waitcnt vmcnt(0)
	v_add_nc_u32_e32 v5, 0, v2
	ds_load_2addr_stride64_b32 v[1:2], v1 offset1:13
	ds_load_2addr_b32 v[3:4], v5 offset0:48 offset1:49
	ds_load_b32 v5, v5 offset:3520
	s_waitcnt lgkmcnt(1)
	v_fma_mix_f32 v6, v3, v1, 0 op_sel_hi:[0,1,0]
	v_fma_mix_f32 v1, v3, v1, 0 op_sel:[0,1,0] op_sel_hi:[0,1,0]
	s_waitcnt lgkmcnt(0)
	s_delay_alu instid0(VALU_DEP_2) | instskip(NEXT) | instid1(VALU_DEP_2)
	v_fma_mix_f32 v3, v5, v2, v6 op_sel_hi:[0,1,0]
	v_fma_mix_f32 v5, v5, v2, v1 op_sel:[0,1,0] op_sel_hi:[0,1,0]
	v_mad_u64_u32 v[1:2], null, v0, s9, v[123:124]
	s_delay_alu instid0(VALU_DEP_3) | instskip(NEXT) | instid1(VALU_DEP_3)
	v_div_scale_f32 v6, null, v4, v4, v3
	v_div_scale_f32 v7, null, v4, v4, v5
	v_div_scale_f32 v2, vcc_lo, v3, v4, v3
	s_delay_alu instid0(VALU_DEP_3) | instskip(NEXT) | instid1(VALU_DEP_2)
	v_rcp_f32_e32 v8, v6
	v_rcp_f32_e32 v9, v7
	s_waitcnt_depctr 0xfff
	v_fma_f32 v10, -v6, v8, 1.0
	v_fma_f32 v0, -v7, v9, 1.0
	s_delay_alu instid0(VALU_DEP_2) | instskip(SKIP_1) | instid1(VALU_DEP_3)
	v_fmac_f32_e32 v8, v10, v8
	v_div_scale_f32 v10, s3, v5, v4, v5
	v_fmac_f32_e32 v9, v0, v9
	v_mul_lo_u32 v0, v1, 48
	s_delay_alu instid0(VALU_DEP_2) | instskip(NEXT) | instid1(VALU_DEP_1)
	v_mul_f32_e32 v12, v10, v9
	v_fma_f32 v13, -v7, v12, v10
	s_delay_alu instid0(VALU_DEP_1) | instskip(NEXT) | instid1(VALU_DEP_1)
	v_dual_mul_f32 v11, v2, v8 :: v_dual_fmac_f32 v12, v13, v9
	v_fma_f32 v1, -v6, v11, v2
	v_and_b32_e32 v13, 15, v209
	s_delay_alu instid0(VALU_DEP_2) | instskip(SKIP_1) | instid1(VALU_DEP_3)
	v_fmac_f32_e32 v11, v1, v8
	v_ashrrev_i32_e32 v1, 31, v0
	v_or_b32_e32 v0, v0, v13
	s_delay_alu instid0(VALU_DEP_3) | instskip(NEXT) | instid1(VALU_DEP_3)
	v_fma_f32 v2, -v6, v11, v2
	v_or_b32_e32 v1, 0, v1
	v_fma_f32 v6, -v7, v12, v10
	s_delay_alu instid0(VALU_DEP_3) | instskip(NEXT) | instid1(VALU_DEP_3)
	v_div_fmas_f32 v2, v2, v8, v11
	v_lshlrev_b64 v[0:1], 3, v[0:1]
	s_mov_b32 vcc_lo, s3
	s_delay_alu instid0(VALU_DEP_3) | instskip(NEXT) | instid1(VALU_DEP_3)
	v_div_fmas_f32 v6, v6, v9, v12
	v_div_fixup_f32 v2, v2, v4, v3
	s_delay_alu instid0(VALU_DEP_3) | instskip(NEXT) | instid1(VALU_DEP_3)
	v_add_co_u32 v0, vcc_lo, s62, v0
	v_div_fixup_f32 v3, v6, v4, v5
	v_add_co_ci_u32_e32 v1, vcc_lo, s49, v1, vcc_lo
	global_store_b64 v[0:1], v[2:3], off offset:256
	s_branch .LBB14_10
.LBB14_374:
	v_readlane_b32 s36, v255, 5
	v_readlane_b32 s37, v255, 4
	;; [unrolled: 1-line block ×4, first 2 shown]
	v_lshlrev_b32_e32 v244, 3, v210
	v_and_b32_e32 v245, 1, v210
	v_add_nc_u32_e32 v79, 28, v210
	v_add_nc_u32_e32 v80, 24, v210
	;; [unrolled: 1-line block ×6, first 2 shown]
	v_readlane_b32 s39, v255, 7
	s_and_not1_b32 vcc_lo, exec_lo, s3
	s_cbranch_vccnz .LBB14_8
.LBB14_375:
	s_abs_i32 s0, s77
	s_abs_i32 s3, s58
	v_cvt_f32_u32_e32 v0, s0
	s_sub_i32 s2, 0, s0
	v_mov_b32_e32 v48, s99
	s_delay_alu instid0(VALU_DEP_2) | instskip(SKIP_2) | instid1(VALU_DEP_1)
	v_rcp_iflag_f32_e32 v0, v0
	s_waitcnt_depctr 0xfff
	v_mul_f32_e32 v0, 0x4f7ffffe, v0
	v_cvt_u32_f32_e32 v0, v0
	s_delay_alu instid0(VALU_DEP_1) | instskip(NEXT) | instid1(VALU_DEP_1)
	v_readfirstlane_b32 s1, v0
	s_mul_i32 s2, s2, s1
	s_delay_alu instid0(SALU_CYCLE_1) | instskip(NEXT) | instid1(SALU_CYCLE_1)
	s_mul_hi_u32 s2, s1, s2
	s_add_i32 s1, s1, s2
	s_xor_b32 s2, s58, s77
	s_mul_hi_u32 s1, s3, s1
	s_ashr_i32 s2, s2, 31
	s_mul_i32 s4, s1, s0
	s_delay_alu instid0(SALU_CYCLE_1)
	s_sub_i32 s3, s3, s4
	s_add_i32 s4, s1, 1
	s_sub_i32 s5, s3, s0
	s_cmp_ge_u32 s3, s0
	s_cselect_b32 s1, s4, s1
	s_cselect_b32 s3, s5, s3
	s_add_i32 s4, s1, 1
	s_cmp_ge_u32 s3, s0
	s_cselect_b32 s0, s4, s1
	s_abs_i32 s1, s78
	s_xor_b32 s0, s0, s2
	v_cvt_f32_u32_e32 v0, s1
	s_sub_i32 s2, s0, s2
	s_sub_i32 s0, 0, s1
	s_mul_i32 s4, s2, s77
	s_delay_alu instid0(VALU_DEP_1) | instskip(SKIP_1) | instid1(SALU_CYCLE_1)
	v_rcp_iflag_f32_e32 v0, v0
	s_sub_i32 s4, s58, s4
	s_abs_i32 s5, s4
	s_waitcnt_depctr 0xfff
	v_mul_f32_e32 v0, 0x4f7ffffe, v0
	s_delay_alu instid0(VALU_DEP_1) | instskip(NEXT) | instid1(VALU_DEP_1)
	v_cvt_u32_f32_e32 v0, v0
	v_readfirstlane_b32 s3, v0
	s_delay_alu instid0(VALU_DEP_1) | instskip(NEXT) | instid1(SALU_CYCLE_1)
	s_mul_i32 s0, s0, s3
	s_mul_hi_u32 s0, s3, s0
	s_delay_alu instid0(SALU_CYCLE_1) | instskip(NEXT) | instid1(SALU_CYCLE_1)
	s_add_i32 s3, s3, s0
	s_mul_hi_u32 s0, s5, s3
	s_xor_b32 s3, s4, s78
	s_mul_i32 s6, s0, s1
	s_ashr_i32 s3, s3, 31
	s_sub_i32 s5, s5, s6
	s_add_i32 s6, s0, 1
	s_sub_i32 s7, s5, s1
	s_cmp_ge_u32 s5, s1
	s_cselect_b32 s0, s6, s0
	s_cselect_b32 s5, s7, s5
	s_add_i32 s6, s0, 1
	s_cmp_ge_u32 s5, s1
	s_cselect_b32 s0, s6, s0
	s_abs_i32 s1, s75
	s_xor_b32 s0, s0, s3
	v_cvt_f32_u32_e32 v0, s1
	s_sub_i32 s3, s0, s3
	s_sub_i32 s0, 0, s1
	s_mul_i32 s6, s3, s78
	s_delay_alu instid0(VALU_DEP_1) | instskip(SKIP_1) | instid1(SALU_CYCLE_1)
	v_rcp_iflag_f32_e32 v0, v0
	s_sub_i32 s4, s4, s6
	s_abs_i32 s6, s4
	s_waitcnt_depctr 0xfff
	v_mul_f32_e32 v0, 0x4f7ffffe, v0
	s_delay_alu instid0(VALU_DEP_1) | instskip(NEXT) | instid1(VALU_DEP_1)
	v_cvt_u32_f32_e32 v0, v0
	v_readfirstlane_b32 s5, v0
	s_delay_alu instid0(VALU_DEP_1) | instskip(NEXT) | instid1(SALU_CYCLE_1)
	s_mul_i32 s0, s0, s5
	s_mul_hi_u32 s0, s5, s0
	s_delay_alu instid0(SALU_CYCLE_1) | instskip(NEXT) | instid1(SALU_CYCLE_1)
	s_add_i32 s5, s5, s0
	s_mul_hi_u32 s0, s6, s5
	s_xor_b32 s5, s4, s75
	s_mul_i32 s7, s0, s1
	s_ashr_i32 s5, s5, 31
	s_sub_i32 s6, s6, s7
	s_add_i32 s7, s0, 1
	s_sub_i32 s9, s6, s1
	s_cmp_ge_u32 s6, s1
	s_cselect_b32 s0, s7, s0
	s_cselect_b32 s6, s9, s6
	s_add_i32 s7, s0, 1
	s_cmp_ge_u32 s6, s1
	s_cselect_b32 s0, s7, s0
	s_delay_alu instid0(SALU_CYCLE_1) | instskip(NEXT) | instid1(SALU_CYCLE_1)
	s_xor_b32 s0, s0, s5
	s_sub_i32 s0, s0, s5
	s_delay_alu instid0(SALU_CYCLE_1) | instskip(NEXT) | instid1(SALU_CYCLE_1)
	s_mul_i32 s1, s0, s75
	s_sub_i32 s1, s4, s1
	s_delay_alu instid0(SALU_CYCLE_1) | instskip(SKIP_4) | instid1(SALU_CYCLE_1)
	s_abs_i32 s4, s1
	s_ashr_i32 s1, s1, 31
	s_mul_hi_u32 s5, s4, s55
	s_xor_b32 s1, s1, s48
	s_mul_i32 s6, s5, s81
	s_sub_i32 s4, s4, s6
	s_add_i32 s6, s5, 1
	s_sub_i32 s7, s4, s81
	s_cmp_ge_u32 s4, s81
	s_cselect_b32 s5, s6, s5
	s_cselect_b32 s4, s7, s4
	s_add_i32 s6, s5, 1
	s_cmp_ge_u32 s4, s81
	s_cselect_b32 s5, s6, s5
	s_abs_i32 s4, s38
	s_xor_b32 s5, s5, s1
	v_cvt_f32_u32_e32 v0, s4
	s_sub_i32 s1, s5, s1
	s_cmp_eq_u64 s[26:27], 0
	s_delay_alu instid0(VALU_DEP_1) | instskip(SKIP_2) | instid1(VALU_DEP_1)
	v_rcp_iflag_f32_e32 v0, v0
	s_waitcnt_depctr 0xfff
	v_mul_f32_e32 v0, 0x4f7ffffe, v0
	v_cvt_u32_f32_e32 v0, v0
	s_delay_alu instid0(VALU_DEP_1)
	v_readfirstlane_b32 s7, v0
	s_cbranch_scc1 .LBB14_377
; %bb.376:
	s_mul_i32 s5, s2, s76
	v_mov_b32_e32 v0, 0
	s_add_i32 s24, s1, s5
	s_delay_alu instid0(SALU_CYCLE_1) | instskip(NEXT) | instid1(SALU_CYCLE_1)
	s_ashr_i32 s25, s24, 31
	s_lshl_b64 s[24:25], s[24:25], 2
	s_delay_alu instid0(SALU_CYCLE_1) | instskip(SKIP_4) | instid1(VALU_DEP_1)
	s_add_u32 s24, s26, s24
	s_addc_u32 s25, s27, s25
	global_load_b32 v0, v0, s[24:25]
	s_waitcnt vmcnt(0)
	v_ashrrev_i32_e32 v1, 31, v0
	v_lshrrev_b32_e32 v1, 26, v1
	s_delay_alu instid0(VALU_DEP_1) | instskip(NEXT) | instid1(VALU_DEP_1)
	v_add_nc_u32_e32 v0, v0, v1
	v_ashrrev_i32_e32 v0, 6, v0
	s_delay_alu instid0(VALU_DEP_1)
	v_min_i32_e32 v48, s99, v0
.LBB14_377:
	s_mul_i32 s5, s3, s33
	s_lshl_b32 s9, s0, 2
	s_mul_i32 s0, s2, s57
	s_add_i32 s5, s9, s5
	s_ashr_i32 s6, s0, 31
	s_mul_i32 s5, s5, s56
	s_add_u32 s0, s16, s0
	s_addc_u32 s6, s17, s6
	s_ashr_i32 s11, s5, 31
	s_add_u32 s5, s0, s5
	s_addc_u32 s6, s6, s11
	s_lshl_b32 s1, s1, 3
	v_or_b32_e32 v1, s9, v180
	v_add_nc_u32_e32 v0, s1, v187
	s_delay_alu instid0(VALU_DEP_2) | instskip(NEXT) | instid1(VALU_DEP_2)
	v_cmp_gt_i32_e32 vcc_lo, s33, v1
	v_cmp_le_i32_e64 s0, s8, v0
	s_xor_b32 s11, vcc_lo, -1
	s_delay_alu instid0(VALU_DEP_1) | instid1(SALU_CYCLE_1)
	s_or_b32 s0, s0, s11
	s_delay_alu instid0(SALU_CYCLE_1) | instskip(NEXT) | instid1(SALU_CYCLE_1)
	s_and_saveexec_b32 s13, s0
	s_xor_b32 s0, exec_lo, s13
	s_cbranch_execz .LBB14_379
; %bb.378:
	v_mad_u32_u24 v0, v210, 52, v209
	v_mov_b32_e32 v1, 0
	s_delay_alu instid0(VALU_DEP_2)
	v_lshl_add_u32 v0, v0, 2, 0
	ds_store_b32 v0, v1
                                        ; implicit-def: $vgpr0
.LBB14_379:
	s_and_not1_saveexec_b32 s0, s0
	s_cbranch_execz .LBB14_381
; %bb.380:
	v_mul_lo_u32 v0, v0, s59
	v_mul_lo_u32 v1, v180, s41
	s_delay_alu instid0(VALU_DEP_1) | instskip(NEXT) | instid1(VALU_DEP_1)
	v_add3_u32 v0, v1, v209, v0
	v_ashrrev_i32_e32 v1, 31, v0
	s_delay_alu instid0(VALU_DEP_1) | instskip(NEXT) | instid1(VALU_DEP_1)
	v_lshlrev_b64 v[0:1], 3, v[0:1]
	v_add_co_u32 v0, vcc_lo, s5, v0
	s_delay_alu instid0(VALU_DEP_2) | instskip(SKIP_4) | instid1(VALU_DEP_1)
	v_add_co_ci_u32_e32 v1, vcc_lo, s6, v1, vcc_lo
	global_load_b64 v[0:1], v[0:1], off
	s_waitcnt vmcnt(0)
	v_cvt_f16_f32_e32 v0, v0
	v_cvt_f16_f32_e32 v1, v1
	v_pack_b32_f16 v0, v0, v1
	v_mad_u32_u24 v1, v210, 52, v209
	s_delay_alu instid0(VALU_DEP_2) | instskip(NEXT) | instid1(VALU_DEP_2)
	v_pk_mul_f16 v0, v179, v0
	v_lshl_add_u32 v1, v1, 2, 0
	ds_store_b32 v1, v0
.LBB14_381:
	s_or_b32 exec_lo, exec_lo, s0
	v_lshrrev_b32_e32 v0, 2, v251
	s_delay_alu instid0(VALU_DEP_1) | instskip(NEXT) | instid1(VALU_DEP_1)
	v_add_nc_u32_e32 v0, s1, v0
	v_cmp_le_i32_e32 vcc_lo, s8, v0
	s_or_b32 s0, vcc_lo, s11
	s_delay_alu instid0(SALU_CYCLE_1) | instskip(NEXT) | instid1(SALU_CYCLE_1)
	s_and_saveexec_b32 s13, s0
	s_xor_b32 s0, exec_lo, s13
	s_cbranch_execz .LBB14_383
; %bb.382:
	v_mad_u32_u24 v0, v251, 52, v209
	v_mov_b32_e32 v1, 0
	s_delay_alu instid0(VALU_DEP_2)
	v_lshl_add_u32 v0, v0, 2, 0
	ds_store_b32 v0, v1
                                        ; implicit-def: $vgpr0
.LBB14_383:
	s_and_not1_saveexec_b32 s0, s0
	s_cbranch_execz .LBB14_385
; %bb.384:
	v_mul_lo_u32 v0, v0, s59
	v_mul_lo_u32 v1, v180, s41
	s_delay_alu instid0(VALU_DEP_1) | instskip(NEXT) | instid1(VALU_DEP_1)
	v_add3_u32 v0, v1, v209, v0
	v_ashrrev_i32_e32 v1, 31, v0
	s_delay_alu instid0(VALU_DEP_1) | instskip(NEXT) | instid1(VALU_DEP_1)
	v_lshlrev_b64 v[0:1], 3, v[0:1]
	v_add_co_u32 v0, vcc_lo, s5, v0
	s_delay_alu instid0(VALU_DEP_2) | instskip(SKIP_4) | instid1(VALU_DEP_1)
	v_add_co_ci_u32_e32 v1, vcc_lo, s6, v1, vcc_lo
	global_load_b64 v[0:1], v[0:1], off
	s_waitcnt vmcnt(0)
	v_cvt_f16_f32_e32 v0, v0
	v_cvt_f16_f32_e32 v1, v1
	v_pack_b32_f16 v0, v0, v1
	v_mad_u32_u24 v1, v251, 52, v209
	s_delay_alu instid0(VALU_DEP_2) | instskip(NEXT) | instid1(VALU_DEP_2)
	v_pk_mul_f16 v0, v179, v0
	v_lshl_add_u32 v1, v1, 2, 0
	ds_store_b32 v1, v0
.LBB14_385:
	s_or_b32 exec_lo, exec_lo, s0
	v_lshrrev_b32_e32 v0, 2, v84
	s_delay_alu instid0(VALU_DEP_1) | instskip(NEXT) | instid1(VALU_DEP_1)
	v_add_nc_u32_e32 v0, s1, v0
	v_cmp_le_i32_e32 vcc_lo, s8, v0
	s_or_b32 s0, vcc_lo, s11
	s_delay_alu instid0(SALU_CYCLE_1) | instskip(NEXT) | instid1(SALU_CYCLE_1)
	s_and_saveexec_b32 s13, s0
	s_xor_b32 s0, exec_lo, s13
	s_cbranch_execz .LBB14_387
; %bb.386:
	v_mad_u32_u24 v0, v84, 52, v209
	v_mov_b32_e32 v1, 0
                                        ; implicit-def: $vgpr84
	s_delay_alu instid0(VALU_DEP_2)
	v_lshl_add_u32 v0, v0, 2, 0
	ds_store_b32 v0, v1
                                        ; implicit-def: $vgpr0
.LBB14_387:
	s_and_not1_saveexec_b32 s0, s0
	s_cbranch_execz .LBB14_389
; %bb.388:
	v_mul_lo_u32 v0, v0, s59
	v_mul_lo_u32 v1, v180, s41
	s_delay_alu instid0(VALU_DEP_1) | instskip(NEXT) | instid1(VALU_DEP_1)
	v_add3_u32 v0, v1, v209, v0
	v_ashrrev_i32_e32 v1, 31, v0
	s_delay_alu instid0(VALU_DEP_1) | instskip(NEXT) | instid1(VALU_DEP_1)
	v_lshlrev_b64 v[0:1], 3, v[0:1]
	v_add_co_u32 v0, vcc_lo, s5, v0
	s_delay_alu instid0(VALU_DEP_2) | instskip(SKIP_4) | instid1(VALU_DEP_1)
	v_add_co_ci_u32_e32 v1, vcc_lo, s6, v1, vcc_lo
	global_load_b64 v[0:1], v[0:1], off
	s_waitcnt vmcnt(0)
	v_cvt_f16_f32_e32 v0, v0
	v_cvt_f16_f32_e32 v1, v1
	v_pack_b32_f16 v0, v0, v1
	v_mad_u32_u24 v1, v84, 52, v209
	s_delay_alu instid0(VALU_DEP_2) | instskip(NEXT) | instid1(VALU_DEP_2)
	v_pk_mul_f16 v0, v179, v0
	v_lshl_add_u32 v1, v1, 2, 0
	ds_store_b32 v1, v0
.LBB14_389:
	s_or_b32 exec_lo, exec_lo, s0
	v_lshrrev_b32_e32 v0, 2, v83
	s_delay_alu instid0(VALU_DEP_1) | instskip(NEXT) | instid1(VALU_DEP_1)
	v_add_nc_u32_e32 v0, s1, v0
	v_cmp_le_i32_e32 vcc_lo, s8, v0
	s_or_b32 s0, vcc_lo, s11
	s_delay_alu instid0(SALU_CYCLE_1) | instskip(NEXT) | instid1(SALU_CYCLE_1)
	s_and_saveexec_b32 s13, s0
	s_xor_b32 s0, exec_lo, s13
	s_cbranch_execz .LBB14_391
; %bb.390:
	v_mad_u32_u24 v0, v83, 52, v209
	v_mov_b32_e32 v1, 0
                                        ; implicit-def: $vgpr83
	s_delay_alu instid0(VALU_DEP_2)
	v_lshl_add_u32 v0, v0, 2, 0
	ds_store_b32 v0, v1
                                        ; implicit-def: $vgpr0
.LBB14_391:
	s_and_not1_saveexec_b32 s0, s0
	s_cbranch_execz .LBB14_393
; %bb.392:
	v_mul_lo_u32 v0, v0, s59
	v_mul_lo_u32 v1, v180, s41
	s_delay_alu instid0(VALU_DEP_1) | instskip(NEXT) | instid1(VALU_DEP_1)
	v_add3_u32 v0, v1, v209, v0
	v_ashrrev_i32_e32 v1, 31, v0
	s_delay_alu instid0(VALU_DEP_1) | instskip(NEXT) | instid1(VALU_DEP_1)
	v_lshlrev_b64 v[0:1], 3, v[0:1]
	v_add_co_u32 v0, vcc_lo, s5, v0
	s_delay_alu instid0(VALU_DEP_2) | instskip(SKIP_4) | instid1(VALU_DEP_1)
	v_add_co_ci_u32_e32 v1, vcc_lo, s6, v1, vcc_lo
	global_load_b64 v[0:1], v[0:1], off
	s_waitcnt vmcnt(0)
	v_cvt_f16_f32_e32 v0, v0
	v_cvt_f16_f32_e32 v1, v1
	v_pack_b32_f16 v0, v0, v1
	v_mad_u32_u24 v1, v83, 52, v209
	s_delay_alu instid0(VALU_DEP_2) | instskip(NEXT) | instid1(VALU_DEP_2)
	v_pk_mul_f16 v0, v179, v0
	v_lshl_add_u32 v1, v1, 2, 0
	ds_store_b32 v1, v0
.LBB14_393:
	s_or_b32 exec_lo, exec_lo, s0
	v_lshrrev_b32_e32 v0, 2, v82
	s_delay_alu instid0(VALU_DEP_1) | instskip(NEXT) | instid1(VALU_DEP_1)
	v_add_nc_u32_e32 v0, s1, v0
	v_cmp_le_i32_e32 vcc_lo, s8, v0
	s_or_b32 s0, vcc_lo, s11
	s_delay_alu instid0(SALU_CYCLE_1) | instskip(NEXT) | instid1(SALU_CYCLE_1)
	s_and_saveexec_b32 s13, s0
	s_xor_b32 s0, exec_lo, s13
	s_cbranch_execz .LBB14_395
; %bb.394:
	v_mad_u32_u24 v0, v82, 52, v209
	v_mov_b32_e32 v1, 0
                                        ; implicit-def: $vgpr82
	s_delay_alu instid0(VALU_DEP_2)
	v_lshl_add_u32 v0, v0, 2, 0
	ds_store_b32 v0, v1
                                        ; implicit-def: $vgpr0
.LBB14_395:
	s_and_not1_saveexec_b32 s0, s0
	s_cbranch_execz .LBB14_397
; %bb.396:
	v_mul_lo_u32 v0, v0, s59
	v_mul_lo_u32 v1, v180, s41
	s_delay_alu instid0(VALU_DEP_1) | instskip(NEXT) | instid1(VALU_DEP_1)
	v_add3_u32 v0, v1, v209, v0
	v_ashrrev_i32_e32 v1, 31, v0
	s_delay_alu instid0(VALU_DEP_1) | instskip(NEXT) | instid1(VALU_DEP_1)
	v_lshlrev_b64 v[0:1], 3, v[0:1]
	v_add_co_u32 v0, vcc_lo, s5, v0
	s_delay_alu instid0(VALU_DEP_2) | instskip(SKIP_4) | instid1(VALU_DEP_1)
	v_add_co_ci_u32_e32 v1, vcc_lo, s6, v1, vcc_lo
	global_load_b64 v[0:1], v[0:1], off
	s_waitcnt vmcnt(0)
	v_cvt_f16_f32_e32 v0, v0
	v_cvt_f16_f32_e32 v1, v1
	v_pack_b32_f16 v0, v0, v1
	v_mad_u32_u24 v1, v82, 52, v209
	s_delay_alu instid0(VALU_DEP_2) | instskip(NEXT) | instid1(VALU_DEP_2)
	v_pk_mul_f16 v0, v179, v0
	v_lshl_add_u32 v1, v1, 2, 0
	ds_store_b32 v1, v0
.LBB14_397:
	s_or_b32 exec_lo, exec_lo, s0
	v_lshrrev_b32_e32 v0, 2, v81
	s_delay_alu instid0(VALU_DEP_1) | instskip(NEXT) | instid1(VALU_DEP_1)
	v_add_nc_u32_e32 v0, s1, v0
	v_cmp_le_i32_e32 vcc_lo, s8, v0
	s_or_b32 s0, vcc_lo, s11
	s_delay_alu instid0(SALU_CYCLE_1) | instskip(NEXT) | instid1(SALU_CYCLE_1)
	s_and_saveexec_b32 s13, s0
	s_xor_b32 s0, exec_lo, s13
	s_cbranch_execz .LBB14_399
; %bb.398:
	v_mad_u32_u24 v0, v81, 52, v209
	v_mov_b32_e32 v1, 0
                                        ; implicit-def: $vgpr81
	s_delay_alu instid0(VALU_DEP_2)
	v_lshl_add_u32 v0, v0, 2, 0
	ds_store_b32 v0, v1
                                        ; implicit-def: $vgpr0
.LBB14_399:
	s_and_not1_saveexec_b32 s0, s0
	s_cbranch_execz .LBB14_401
; %bb.400:
	v_mul_lo_u32 v0, v0, s59
	v_mul_lo_u32 v1, v180, s41
	s_delay_alu instid0(VALU_DEP_1) | instskip(NEXT) | instid1(VALU_DEP_1)
	v_add3_u32 v0, v1, v209, v0
	v_ashrrev_i32_e32 v1, 31, v0
	s_delay_alu instid0(VALU_DEP_1) | instskip(NEXT) | instid1(VALU_DEP_1)
	v_lshlrev_b64 v[0:1], 3, v[0:1]
	v_add_co_u32 v0, vcc_lo, s5, v0
	s_delay_alu instid0(VALU_DEP_2) | instskip(SKIP_4) | instid1(VALU_DEP_1)
	v_add_co_ci_u32_e32 v1, vcc_lo, s6, v1, vcc_lo
	global_load_b64 v[0:1], v[0:1], off
	s_waitcnt vmcnt(0)
	v_cvt_f16_f32_e32 v0, v0
	v_cvt_f16_f32_e32 v1, v1
	v_pack_b32_f16 v0, v0, v1
	v_mad_u32_u24 v1, v81, 52, v209
	s_delay_alu instid0(VALU_DEP_2) | instskip(NEXT) | instid1(VALU_DEP_2)
	v_pk_mul_f16 v0, v179, v0
	v_lshl_add_u32 v1, v1, 2, 0
	ds_store_b32 v1, v0
.LBB14_401:
	s_or_b32 exec_lo, exec_lo, s0
	v_lshrrev_b32_e32 v0, 2, v80
	s_delay_alu instid0(VALU_DEP_1) | instskip(NEXT) | instid1(VALU_DEP_1)
	v_add_nc_u32_e32 v0, s1, v0
	v_cmp_le_i32_e32 vcc_lo, s8, v0
	s_or_b32 s0, vcc_lo, s11
	s_delay_alu instid0(SALU_CYCLE_1) | instskip(NEXT) | instid1(SALU_CYCLE_1)
	s_and_saveexec_b32 s13, s0
	s_xor_b32 s0, exec_lo, s13
	s_cbranch_execz .LBB14_403
; %bb.402:
	v_mad_u32_u24 v0, v80, 52, v209
	v_mov_b32_e32 v1, 0
                                        ; implicit-def: $vgpr80
	s_delay_alu instid0(VALU_DEP_2)
	v_lshl_add_u32 v0, v0, 2, 0
	ds_store_b32 v0, v1
                                        ; implicit-def: $vgpr0
.LBB14_403:
	s_and_not1_saveexec_b32 s0, s0
	s_cbranch_execz .LBB14_405
; %bb.404:
	v_mul_lo_u32 v0, v0, s59
	v_mul_lo_u32 v1, v180, s41
	s_delay_alu instid0(VALU_DEP_1) | instskip(NEXT) | instid1(VALU_DEP_1)
	v_add3_u32 v0, v1, v209, v0
	v_ashrrev_i32_e32 v1, 31, v0
	s_delay_alu instid0(VALU_DEP_1) | instskip(NEXT) | instid1(VALU_DEP_1)
	v_lshlrev_b64 v[0:1], 3, v[0:1]
	v_add_co_u32 v0, vcc_lo, s5, v0
	s_delay_alu instid0(VALU_DEP_2) | instskip(SKIP_4) | instid1(VALU_DEP_1)
	v_add_co_ci_u32_e32 v1, vcc_lo, s6, v1, vcc_lo
	global_load_b64 v[0:1], v[0:1], off
	s_waitcnt vmcnt(0)
	v_cvt_f16_f32_e32 v0, v0
	v_cvt_f16_f32_e32 v1, v1
	v_pack_b32_f16 v0, v0, v1
	v_mad_u32_u24 v1, v80, 52, v209
	s_delay_alu instid0(VALU_DEP_2) | instskip(NEXT) | instid1(VALU_DEP_2)
	v_pk_mul_f16 v0, v179, v0
	v_lshl_add_u32 v1, v1, 2, 0
	ds_store_b32 v1, v0
.LBB14_405:
	s_or_b32 exec_lo, exec_lo, s0
	v_lshrrev_b32_e32 v0, 2, v79
	s_delay_alu instid0(VALU_DEP_1) | instskip(NEXT) | instid1(VALU_DEP_1)
	v_add_nc_u32_e32 v0, s1, v0
	v_cmp_le_i32_e32 vcc_lo, s8, v0
	s_or_b32 s0, vcc_lo, s11
	s_delay_alu instid0(SALU_CYCLE_1) | instskip(NEXT) | instid1(SALU_CYCLE_1)
	s_and_saveexec_b32 s11, s0
	s_xor_b32 s0, exec_lo, s11
	s_cbranch_execz .LBB14_407
; %bb.406:
	v_mad_u32_u24 v0, v79, 52, v209
	v_mov_b32_e32 v1, 0
                                        ; implicit-def: $vgpr180
                                        ; implicit-def: $vgpr79
	s_delay_alu instid0(VALU_DEP_2)
	v_lshl_add_u32 v0, v0, 2, 0
	ds_store_b32 v0, v1
                                        ; implicit-def: $vgpr0
.LBB14_407:
	s_and_not1_saveexec_b32 s0, s0
	s_cbranch_execz .LBB14_409
; %bb.408:
	v_mul_lo_u32 v0, v0, s59
	v_mul_lo_u32 v1, v180, s41
	s_delay_alu instid0(VALU_DEP_1) | instskip(NEXT) | instid1(VALU_DEP_1)
	v_add3_u32 v0, v1, v209, v0
	v_ashrrev_i32_e32 v1, 31, v0
	s_delay_alu instid0(VALU_DEP_1) | instskip(NEXT) | instid1(VALU_DEP_1)
	v_lshlrev_b64 v[0:1], 3, v[0:1]
	v_add_co_u32 v0, vcc_lo, s5, v0
	s_delay_alu instid0(VALU_DEP_2) | instskip(SKIP_4) | instid1(VALU_DEP_1)
	v_add_co_ci_u32_e32 v1, vcc_lo, s6, v1, vcc_lo
	global_load_b64 v[0:1], v[0:1], off
	s_waitcnt vmcnt(0)
	v_cvt_f16_f32_e32 v0, v0
	v_cvt_f16_f32_e32 v1, v1
	v_pack_b32_f16 v0, v0, v1
	v_mad_u32_u24 v1, v79, 52, v209
	s_delay_alu instid0(VALU_DEP_2) | instskip(NEXT) | instid1(VALU_DEP_2)
	v_pk_mul_f16 v0, v179, v0
	v_lshl_add_u32 v1, v1, 2, 0
	ds_store_b32 v1, v0
.LBB14_409:
	s_or_b32 exec_lo, exec_lo, s0
	v_lshrrev_b32_e32 v127, 4, v209
	v_and_b32_e32 v126, 15, v209
	s_delay_alu instid0(VALU_DEP_2) | instskip(NEXT) | instid1(VALU_DEP_1)
	v_lshl_add_u32 v2, v210, 1, v127
	v_and_b32_e32 v0, 3, v2
	v_lshrrev_b32_e32 v1, 2, v2
	s_delay_alu instid0(VALU_DEP_2) | instskip(NEXT) | instid1(VALU_DEP_2)
	v_or_b32_e32 v4, s9, v0
	v_add_nc_u32_e32 v3, s1, v1
	s_delay_alu instid0(VALU_DEP_2) | instskip(NEXT) | instid1(VALU_DEP_2)
	v_cmp_gt_i32_e32 vcc_lo, s33, v4
	v_cmp_le_i32_e64 s0, s8, v3
	s_xor_b32 s9, vcc_lo, -1
	s_delay_alu instid0(VALU_DEP_1) | instid1(SALU_CYCLE_1)
	s_or_b32 s0, s0, s9
	s_delay_alu instid0(SALU_CYCLE_1) | instskip(NEXT) | instid1(SALU_CYCLE_1)
	s_and_saveexec_b32 s11, s0
	s_xor_b32 s0, exec_lo, s11
	s_cbranch_execz .LBB14_411
; %bb.410:
	v_mad_u32_u24 v1, v2, 52, v126
	v_mov_b32_e32 v3, 0
	s_delay_alu instid0(VALU_DEP_2)
	v_lshl_add_u32 v1, v1, 2, 0
	ds_store_b32 v1, v3 offset:128
                                        ; implicit-def: $vgpr3
.LBB14_411:
	s_or_saveexec_b32 s0, s0
	v_or_b32_e32 v1, 32, v126
	s_xor_b32 exec_lo, exec_lo, s0
	s_cbranch_execz .LBB14_413
; %bb.412:
	v_mul_lo_u32 v3, v3, s59
	v_mul_lo_u32 v4, v0, s41
	s_delay_alu instid0(VALU_DEP_1) | instskip(NEXT) | instid1(VALU_DEP_1)
	v_add3_u32 v3, v4, v1, v3
	v_ashrrev_i32_e32 v4, 31, v3
	s_delay_alu instid0(VALU_DEP_1) | instskip(NEXT) | instid1(VALU_DEP_1)
	v_lshlrev_b64 v[3:4], 3, v[3:4]
	v_add_co_u32 v3, vcc_lo, s5, v3
	s_delay_alu instid0(VALU_DEP_2) | instskip(SKIP_4) | instid1(VALU_DEP_1)
	v_add_co_ci_u32_e32 v4, vcc_lo, s6, v4, vcc_lo
	global_load_b64 v[3:4], v[3:4], off
	s_waitcnt vmcnt(0)
	v_cvt_f16_f32_e32 v3, v3
	v_cvt_f16_f32_e32 v4, v4
	v_pack_b32_f16 v3, v3, v4
	v_mad_u32_u24 v4, v2, 52, v126
	s_delay_alu instid0(VALU_DEP_2) | instskip(NEXT) | instid1(VALU_DEP_2)
	v_pk_mul_f16 v3, v179, v3
	v_lshl_add_u32 v4, v4, 2, 0
	ds_store_b32 v4, v3 offset:128
.LBB14_413:
	s_or_b32 exec_lo, exec_lo, s0
	v_add_nc_u32_e32 v3, 8, v2
	s_sub_i32 s0, 0, s4
	s_delay_alu instid0(VALU_DEP_1) | instskip(NEXT) | instid1(VALU_DEP_1)
	v_lshrrev_b32_e32 v4, 2, v3
	v_add_nc_u32_e32 v4, s1, v4
	s_delay_alu instid0(VALU_DEP_1) | instskip(SKIP_1) | instid1(SALU_CYCLE_1)
	v_cmp_le_i32_e32 vcc_lo, s8, v4
	s_or_b32 s11, vcc_lo, s9
	s_and_saveexec_b32 s13, s11
	s_delay_alu instid0(SALU_CYCLE_1)
	s_xor_b32 s11, exec_lo, s13
	s_cbranch_execz .LBB14_415
; %bb.414:
	v_mad_u32_u24 v3, v3, 52, v126
	v_mov_b32_e32 v4, 0
	s_delay_alu instid0(VALU_DEP_2)
	v_lshl_add_u32 v3, v3, 2, 0
	ds_store_b32 v3, v4 offset:128
                                        ; implicit-def: $vgpr4
                                        ; implicit-def: $vgpr3
.LBB14_415:
	s_or_saveexec_b32 s11, s11
	s_mul_i32 s0, s0, s7
	s_xor_b32 exec_lo, exec_lo, s11
	s_cbranch_execz .LBB14_417
; %bb.416:
	v_mul_lo_u32 v4, v4, s59
	v_mul_lo_u32 v5, v0, s41
	v_mad_u32_u24 v3, v3, 52, v126
	s_delay_alu instid0(VALU_DEP_1) | instskip(NEXT) | instid1(VALU_DEP_3)
	v_lshl_add_u32 v3, v3, 2, 0
	v_add3_u32 v4, v5, v1, v4
	s_delay_alu instid0(VALU_DEP_1) | instskip(NEXT) | instid1(VALU_DEP_1)
	v_ashrrev_i32_e32 v5, 31, v4
	v_lshlrev_b64 v[4:5], 3, v[4:5]
	s_delay_alu instid0(VALU_DEP_1) | instskip(NEXT) | instid1(VALU_DEP_2)
	v_add_co_u32 v4, vcc_lo, s5, v4
	v_add_co_ci_u32_e32 v5, vcc_lo, s6, v5, vcc_lo
	global_load_b64 v[4:5], v[4:5], off
	s_waitcnt vmcnt(0)
	v_cvt_f16_f32_e32 v4, v4
	v_cvt_f16_f32_e32 v5, v5
	s_delay_alu instid0(VALU_DEP_1) | instskip(NEXT) | instid1(VALU_DEP_1)
	v_pack_b32_f16 v4, v4, v5
	v_pk_mul_f16 v4, v179, v4
	ds_store_b32 v3, v4 offset:128
.LBB14_417:
	s_or_b32 exec_lo, exec_lo, s11
	v_add_nc_u32_e32 v3, 16, v2
	s_mul_hi_u32 s13, s7, s0
	s_delay_alu instid0(VALU_DEP_1) | instskip(NEXT) | instid1(VALU_DEP_1)
	v_lshrrev_b32_e32 v4, 2, v3
	v_add_nc_u32_e32 v4, s1, v4
	s_delay_alu instid0(VALU_DEP_1) | instskip(SKIP_1) | instid1(SALU_CYCLE_1)
	v_cmp_le_i32_e32 vcc_lo, s8, v4
	s_or_b32 s0, vcc_lo, s9
	s_and_saveexec_b32 s11, s0
	s_delay_alu instid0(SALU_CYCLE_1)
	s_xor_b32 s0, exec_lo, s11
	s_cbranch_execz .LBB14_419
; %bb.418:
	v_mad_u32_u24 v3, v3, 52, v126
	v_mov_b32_e32 v4, 0
	s_delay_alu instid0(VALU_DEP_2)
	v_lshl_add_u32 v3, v3, 2, 0
	ds_store_b32 v3, v4 offset:128
                                        ; implicit-def: $vgpr4
                                        ; implicit-def: $vgpr3
.LBB14_419:
	s_or_saveexec_b32 s0, s0
	s_abs_i32 s11, s2
	s_add_i32 s7, s7, s13
	s_xor_b32 exec_lo, exec_lo, s0
	s_cbranch_execz .LBB14_421
; %bb.420:
	v_mul_lo_u32 v4, v4, s59
	v_mul_lo_u32 v5, v0, s41
	v_mad_u32_u24 v3, v3, 52, v126
	s_delay_alu instid0(VALU_DEP_1) | instskip(NEXT) | instid1(VALU_DEP_3)
	v_lshl_add_u32 v3, v3, 2, 0
	v_add3_u32 v4, v5, v1, v4
	s_delay_alu instid0(VALU_DEP_1) | instskip(NEXT) | instid1(VALU_DEP_1)
	v_ashrrev_i32_e32 v5, 31, v4
	v_lshlrev_b64 v[4:5], 3, v[4:5]
	s_delay_alu instid0(VALU_DEP_1) | instskip(NEXT) | instid1(VALU_DEP_2)
	v_add_co_u32 v4, vcc_lo, s5, v4
	v_add_co_ci_u32_e32 v5, vcc_lo, s6, v5, vcc_lo
	global_load_b64 v[4:5], v[4:5], off
	s_waitcnt vmcnt(0)
	v_cvt_f16_f32_e32 v4, v4
	v_cvt_f16_f32_e32 v5, v5
	s_delay_alu instid0(VALU_DEP_1) | instskip(NEXT) | instid1(VALU_DEP_1)
	v_pack_b32_f16 v4, v4, v5
	v_pk_mul_f16 v4, v179, v4
	ds_store_b32 v3, v4 offset:128
.LBB14_421:
	s_or_b32 exec_lo, exec_lo, s0
	v_add_nc_u32_e32 v2, 24, v2
	s_mul_hi_u32 s7, s11, s7
	s_delay_alu instid0(VALU_DEP_1) | instskip(NEXT) | instid1(VALU_DEP_1)
	v_lshrrev_b32_e32 v3, 2, v2
	v_add_nc_u32_e32 v3, s1, v3
	s_delay_alu instid0(VALU_DEP_1) | instskip(SKIP_1) | instid1(SALU_CYCLE_1)
	v_cmp_le_i32_e32 vcc_lo, s8, v3
	s_or_b32 s0, vcc_lo, s9
	s_and_saveexec_b32 s9, s0
	s_delay_alu instid0(SALU_CYCLE_1)
	s_xor_b32 s0, exec_lo, s9
	s_cbranch_execz .LBB14_423
; %bb.422:
	v_mad_u32_u24 v0, v2, 52, v126
	v_mov_b32_e32 v1, 0
                                        ; implicit-def: $vgpr3
                                        ; implicit-def: $vgpr179
                                        ; implicit-def: $vgpr2
	s_delay_alu instid0(VALU_DEP_2)
	v_lshl_add_u32 v0, v0, 2, 0
	ds_store_b32 v0, v1 offset:128
                                        ; implicit-def: $vgpr0
                                        ; implicit-def: $vgpr1
.LBB14_423:
	s_or_saveexec_b32 s9, s0
	s_ashr_i32 s0, s2, 31
	s_xor_b32 exec_lo, exec_lo, s9
	s_cbranch_execz .LBB14_425
; %bb.424:
	v_mul_lo_u32 v3, v3, s59
	v_mul_lo_u32 v0, v0, s41
	s_delay_alu instid0(VALU_DEP_1) | instskip(NEXT) | instid1(VALU_DEP_1)
	v_add3_u32 v0, v0, v1, v3
	v_ashrrev_i32_e32 v1, 31, v0
	s_delay_alu instid0(VALU_DEP_1) | instskip(NEXT) | instid1(VALU_DEP_1)
	v_lshlrev_b64 v[0:1], 3, v[0:1]
	v_add_co_u32 v0, vcc_lo, s5, v0
	s_delay_alu instid0(VALU_DEP_2) | instskip(SKIP_4) | instid1(VALU_DEP_1)
	v_add_co_ci_u32_e32 v1, vcc_lo, s6, v1, vcc_lo
	global_load_b64 v[0:1], v[0:1], off
	s_waitcnt vmcnt(0)
	v_cvt_f16_f32_e32 v0, v0
	v_cvt_f16_f32_e32 v1, v1
	v_pack_b32_f16 v0, v0, v1
	v_mad_u32_u24 v1, v2, 52, v126
	s_delay_alu instid0(VALU_DEP_2) | instskip(NEXT) | instid1(VALU_DEP_2)
	v_pk_mul_f16 v0, v179, v0
	v_lshl_add_u32 v1, v1, 2, 0
	ds_store_b32 v1, v0 offset:128
.LBB14_425:
	s_or_b32 exec_lo, exec_lo, s9
	v_and_b32_e32 v72, 0x1ff0, v244
	v_readlane_b32 s16, v255, 2
	s_mul_i32 s5, s2, s45
	s_mul_hi_u32 s6, s2, s44
	v_readlane_b32 s17, v255, 3
	v_mul_u32_u24_e32 v0, 0xd0, v72
	v_mul_u32_u24_e32 v49, 0xd0, v126
	s_add_i32 s5, s6, s5
	s_mul_i32 s6, s0, s44
	s_mul_i32 s9, s2, s44
	s_add_i32 s5, s5, s6
	s_add_u32 s6, s18, s9
	s_mul_i32 s9, s3, s17
	v_add3_u32 v44, 0, v0, v49
	s_addc_u32 s5, s19, s5
	s_ashr_i32 s13, s9, 31
	s_mul_i32 s7, s7, s4
	s_add_u32 s15, s6, s9
	s_addc_u32 s26, s5, s13
	s_sub_i32 s5, s11, s7
	s_waitcnt lgkmcnt(0)
	s_sub_i32 s6, s5, s4
	s_barrier
	buffer_gl0_inv
	ds_load_b128 v[8:11], v44
	ds_load_b128 v[12:15], v44 offset:16
	ds_load_b128 v[0:3], v44 offset:32
	;; [unrolled: 1-line block ×11, first 2 shown]
	s_cmp_ge_u32 s5, s4
	v_add_nc_u32_e32 v154, -1, v48
	s_cselect_b32 s5, s6, s5
	s_mul_i32 s3, s3, s47
	s_sub_i32 s6, s5, s4
	s_cmp_ge_u32 s5, s4
	v_cmp_lt_i32_e32 vcc_lo, s14, v154
	s_cselect_b32 s4, s6, s5
	v_lshlrev_b32_e32 v48, 1, v209
	s_xor_b32 s4, s4, s0
	s_waitcnt lgkmcnt(0)
	s_sub_i32 s4, s4, s0
	s_mul_i32 s0, s0, s50
	s_mul_i32 s5, s4, s53
	s_mul_hi_u32 s6, s4, s52
	s_ashr_i32 s7, s4, 31
	s_add_i32 s5, s6, s5
	s_mul_i32 s7, s7, s52
	s_mul_i32 s4, s4, s52
	s_add_i32 s5, s5, s7
	s_add_u32 s27, s22, s4
	s_addc_u32 s28, s23, s5
	s_mul_i32 s4, s2, s51
	s_mul_hi_u32 s5, s2, s50
	s_mul_i32 s2, s2, s50
	s_add_i32 s4, s5, s4
	s_barrier
	s_add_i32 s4, s4, s0
	s_add_u32 s0, s20, s2
	s_addc_u32 s2, s21, s4
	s_ashr_i32 s4, s3, 31
	s_add_u32 s11, s0, s3
	s_addc_u32 s13, s2, s4
	s_mov_b32 s0, 0
	s_mov_b32 s3, -1
	buffer_gl0_inv
	s_cbranch_vccnz .LBB14_429
; %bb.426:
	v_dual_mov_b32 v147, 32 :: v_dual_add_nc_u32 v50, s1, v210
	v_add_nc_u32_e32 v51, s1, v251
	v_lshrrev_b32_e32 v56, 3, v209
	s_movk_i32 s2, 0x240
	s_delay_alu instid0(VALU_DEP_3)
	v_mul_hi_u32 v52, s34, v50
	v_mov_b32_e32 v111, 0
	v_mul_hi_u32 v53, s34, v51
	v_lshl_add_u32 v56, v210, 2, v56
	v_lshrrev_b32_e32 v54, 2, v209
	v_mad_u32_u24 v137, 0x90, v210, s2
	s_movk_i32 s2, 0xd00
	s_lshl_b32 s4, s12, 4
	v_add_nc_u32_e32 v52, v50, v52
	v_mul_lo_u32 v84, s12, v56
	v_add_nc_u32_e32 v53, v51, v53
	v_mul_lo_u32 v98, s10, v56
	v_mad_u32_u24 v141, 0xd0, v56, s2
	v_lshrrev_b32_e32 v52, s35, v52
	s_movk_i32 s2, 0x2700
	v_lshrrev_b32_e32 v53, s35, v53
	v_dual_mov_b32 v113, v111 :: v_dual_add_nc_u32 v54, v54, v244
	s_delay_alu instid0(VALU_DEP_3)
	v_mul_lo_u32 v52, v52, s8
	v_mad_u32_u24 v144, 0xd0, v56, s2
	s_lshl_b32 s2, s10, 4
	v_mul_lo_u32 v53, v53, s8
	v_add_nc_u32_e32 v86, s4, v84
	v_add_nc_u32_e32 v100, s2, v98
	v_mul_lo_u32 v80, s12, v54
	v_mul_lo_u32 v102, s10, v54
	v_sub_nc_u32_e32 v50, v50, v52
	v_add_nc_u32_e32 v88, s4, v86
	v_lshlrev_b32_e32 v129, 4, v210
	v_add_nc_u32_e32 v104, s2, v100
	v_sub_nc_u32_e32 v51, v51, v53
	v_mad_i64_i32 v[92:93], null, v50, s82, 0
	v_and_or_b32 v50, v209, 12, v72
	v_lshlrev_b32_e32 v55, 2, v209
	v_lshl_add_u32 v82, s12, 5, v80
	v_add_nc_u32_e32 v94, s4, v88
	v_and_b32_e32 v143, 16, v129
	v_lshrrev_b32_e32 v50, 2, v50
	v_mbcnt_lo_u32_b32 v148, -1, 0
	v_lshl_add_u32 v108, s10, 5, v102
	v_add_nc_u32_e32 v106, s2, v104
	v_mad_i64_i32 v[90:91], null, v51, s82, 0
	v_mul_u32_u24_e32 v151, 0x90, v50
	v_and_b32_e32 v50, 8, v244
	s_movk_i32 s3, 0x1a00
	s_movk_i32 s2, 0x1a0
	v_mul_u32_u24_e32 v135, 0x90, v210
	v_and_or_b32 v110, v55, 12, 32
	v_mul_u32_u24_e32 v136, 0xd0, v54
	v_mad_u32_u24 v138, 0xd0, v54, s3
	v_ashrrev_i32_e32 v81, 31, v80
	v_ashrrev_i32_e32 v83, 31, v82
	v_mul_u32_u24_e32 v140, 0xd0, v56
	v_and_b32_e32 v112, 28, v55
	v_ashrrev_i32_e32 v85, 31, v84
	v_ashrrev_i32_e32 v87, 31, v86
	v_mad_u32_u24 v142, 0xd0, v56, s3
	v_ashrrev_i32_e32 v89, 31, v88
	v_ashrrev_i32_e32 v95, 31, v94
	v_mul_u32_u24_e32 v155, 0xd0, v143
	v_or_b32_e32 v145, 32, v143
	v_mad_u32_u24 v153, 0xd0, v143, s3
	v_xor_b32_e32 v149, 16, v148
	v_xor_b32_e32 v97, 1, v127
	v_ashrrev_i32_e32 v103, 31, v102
	v_ashrrev_i32_e32 v109, 31, v108
	;; [unrolled: 1-line block ×6, first 2 shown]
	v_or_b32_e32 v133, 0xd0, v126
	v_or_b32_e32 v132, 0x1a0, v126
	;; [unrolled: 1-line block ×3, first 2 shown]
	v_mul_u32_u24_e32 v134, 0x1a0, v50
	v_mad_u32_u24 v130, v50, s2, 0x1a00
	s_ashr_i32 s5, s12, 31
	s_ashr_i32 s25, s10, 31
	s_mov_b32 s2, 0xfeffffff
	s_mov_b32 s3, 0
	s_branch .LBB14_430
.LBB14_427:
                                        ; implicit-def: $sgpr58_sgpr59
	s_load_b64 s[56:57], s[0:1], 0x74
	v_cvt_f32_u32_e32 v1, s37
	s_branch .LBB14_2
.LBB14_428:
                                        ; implicit-def: $sgpr6_sgpr7
                                        ; kill: killed $sgpr6_sgpr7
	s_load_b64 s[34:35], s[0:1], 0x5c
	s_branch .LBB14_5
.LBB14_429:
                                        ; implicit-def: $vgpr97_vgpr98
                                        ; implicit-def: $sgpr0
                                        ; implicit-def: $sgpr2
                                        ; implicit-def: $vgpr135
                                        ; implicit-def: $vgpr92_vgpr93
                                        ; implicit-def: $vgpr137
                                        ; implicit-def: $vgpr90_vgpr91
                                        ; implicit-def: $vgpr136
                                        ; implicit-def: $vgpr80_vgpr81
                                        ; implicit-def: $vgpr110
                                        ; implicit-def: $vgpr138
                                        ; implicit-def: $vgpr82_vgpr83
                                        ; implicit-def: $vgpr140
                                        ; implicit-def: $vgpr112
                                        ; implicit-def: $vgpr84_vgpr85
                                        ; implicit-def: $vgpr141
                                        ; implicit-def: $vgpr86_vgpr87
                                        ; implicit-def: $vgpr142
                                        ; implicit-def: $vgpr88_vgpr89
                                        ; implicit-def: $vgpr144
                                        ; implicit-def: $vgpr94_vgpr95
                                        ; implicit-def: $vgpr129
                                        ; implicit-def: $vgpr143
                                        ; implicit-def: $vgpr155
                                        ; implicit-def: $vgpr145
                                        ; implicit-def: $vgpr153
                                        ; implicit-def: $vgpr151
                                        ; implicit-def: $vgpr148
                                        ; implicit-def: $vgpr149
                                        ; implicit-def: $vgpr147
                                        ; implicit-def: $vgpr102_vgpr103
                                        ; implicit-def: $vgpr108_vgpr109
                                        ; implicit-def: $vgpr100_vgpr101
                                        ; implicit-def: $vgpr104_vgpr105
                                        ; implicit-def: $vgpr106_vgpr107
                                        ; implicit-def: $vgpr133
                                        ; implicit-def: $vgpr132
                                        ; implicit-def: $vgpr131
                                        ; implicit-def: $vgpr134
                                        ; implicit-def: $vgpr130
                                        ; implicit-def: $sgpr4_sgpr5
                                        ; implicit-def: $sgpr24_sgpr25
                                        ; implicit-def: $vgpr98_vgpr99
.LBB14_430:
	v_dual_mov_b32 v55, s0 :: v_dual_mov_b32 v146, s2
	v_dual_mov_b32 v139, s0 :: v_dual_lshlrev_b32 v156, 1, v48
	v_dual_mov_b32 v53, s0 :: v_dual_add_nc_u32 v152, 0, v49
	v_dual_mov_b32 v51, s0 :: v_dual_lshlrev_b32 v150, 1, v127
	v_dual_mov_b32 v49, s0 :: v_dual_lshlrev_b32 v128, 2, v126
	v_dual_mov_b32 v54, s0 :: v_dual_mov_b32 v63, s0
	v_dual_mov_b32 v52, s0 :: v_dual_mov_b32 v61, s0
	;; [unrolled: 1-line block ×8, first 2 shown]
	v_mov_b32_e32 v70, s0
	v_mov_b32_e32 v68, s0
	;; [unrolled: 1-line block ×4, first 2 shown]
	s_and_not1_b32 vcc_lo, exec_lo, s3
	s_cbranch_vccnz .LBB14_433
; %bb.431:
	v_dual_mov_b32 v111, 0 :: v_dual_add_nc_u32 v48, s1, v210
	v_mbcnt_lo_u32_b32 v148, -1, 0
	v_lshrrev_b32_e32 v57, 3, v209
	v_add_co_u32 v157, s0, s27, v156
	s_delay_alu instid0(VALU_DEP_4) | instskip(NEXT) | instid1(VALU_DEP_4)
	v_mul_hi_u32 v50, s34, v48
	v_xor_b32_e32 v149, 16, v148
	v_add_co_ci_u32_e64 v158, null, s28, 0, s0
	s_movk_i32 s0, 0x240
	s_movk_i32 s2, 0xd00
	s_delay_alu instid0(VALU_DEP_2) | instskip(NEXT) | instid1(VALU_DEP_4)
	v_cmp_gt_i32_e32 vcc_lo, 32, v149
	v_dual_mov_b32 v147, 32 :: v_dual_add_nc_u32 v50, v48, v50
	v_add_nc_u32_e32 v49, s1, v251
	v_mad_u32_u24 v137, 0x90, v210, s0
	s_movk_i32 s0, 0x1a00
	v_dual_mov_b32 v139, v111 :: v_dual_lshlrev_b32 v54, 2, v209
	v_lshrrev_b32_e32 v50, s35, v50
	v_lshrrev_b32_e32 v53, 2, v209
	v_dual_mov_b32 v58, v111 :: v_dual_lshlrev_b32 v129, 4, v210
	s_delay_alu instid0(VALU_DEP_4) | instskip(NEXT) | instid1(VALU_DEP_4)
	v_dual_mov_b32 v67, v111 :: v_dual_and_b32 v112, 28, v54
	v_mul_lo_u32 v50, v50, s8
	s_delay_alu instid0(VALU_DEP_4) | instskip(NEXT) | instid1(VALU_DEP_4)
	v_dual_mov_b32 v64, v111 :: v_dual_add_nc_u32 v53, v53, v244
	v_dual_mov_b32 v60, v111 :: v_dual_and_b32 v143, 16, v129
	v_dual_mov_b32 v66, v111 :: v_dual_and_b32 v55, 12, v54
	s_delay_alu instid0(VALU_DEP_3) | instskip(SKIP_1) | instid1(VALU_DEP_4)
	v_mad_u32_u24 v138, 0xd0, v53, s0
	v_sub_nc_u32_e32 v48, v48, v50
	v_mad_u32_u24 v153, 0xd0, v143, s0
	v_mul_u32_u24_e32 v136, 0xd0, v53
	v_dual_mov_b32 v65, v111 :: v_dual_lshlrev_b32 v56, 2, v55
	s_delay_alu instid0(VALU_DEP_4) | instskip(SKIP_2) | instid1(VALU_DEP_3)
	v_mad_i64_i32 v[92:93], null, v48, s82, 0
	v_lshl_add_u32 v48, v210, 2, v57
	s_lshl_b32 s1, s12, 4
	v_add3_u32 v50, 0, v136, v56
	v_mul_lo_u32 v80, s12, v53
	v_mul_lo_u32 v102, s10, v53
	v_mad_u32_u24 v141, 0xd0, v48, s2
	s_movk_i32 s2, 0x2700
	v_mul_lo_u32 v84, s12, v48
	v_mul_u32_u24_e32 v140, 0xd0, v48
	v_mad_u32_u24 v142, 0xd0, v48, s0
	v_mad_u32_u24 v144, 0xd0, v48, s2
	v_mul_lo_u32 v98, s10, v48
	v_cndmask_b32_e32 v48, v148, v149, vcc_lo
	v_mul_hi_u32 v52, s34, v49
	v_mov_b32_e32 v113, v111
	s_lshl_b32 s0, s10, 4
	v_dual_mov_b32 v71, v111 :: v_dual_add_nc_u32 v86, s1, v84
	v_dual_mov_b32 v62, v111 :: v_dual_lshlrev_b32 v167, 2, v48
	v_add_nc_u32_e32 v100, s0, v98
	v_add_nc_u32_e32 v52, v49, v52
	v_and_b32_e32 v48, 8, v244
	v_or_b32_e32 v110, 32, v55
	v_lshlrev_b32_e32 v174, 2, v55
	v_dual_mov_b32 v55, v111 :: v_dual_add_nc_u32 v104, s0, v100
	v_lshrrev_b32_e32 v52, s35, v52
	v_mul_u32_u24_e32 v134, 0x1a0, v48
	v_dual_mov_b32 v146, 0xfeffffff :: v_dual_add_nc_u32 v51, 0, v156
	s_delay_alu instid0(VALU_DEP_4) | instskip(NEXT) | instid1(VALU_DEP_4)
	v_add_nc_u32_e32 v106, s0, v104
	v_mul_lo_u32 v52, v52, s8
	v_mov_b32_e32 v70, v111
	s_movk_i32 s0, 0x1a0
	v_mul_u32_u24_e32 v135, 0x90, v210
	v_dual_mov_b32 v68, v111 :: v_dual_add_nc_u32 v159, 0x80, v50
	v_dual_mov_b32 v69, v111 :: v_dual_add_nc_u32 v160, 0x1a80, v50
	v_sub_nc_u32_e32 v49, v49, v52
	v_dual_mov_b32 v57, v111 :: v_dual_add_nc_u32 v88, s1, v86
	v_lshlrev_b32_e32 v52, 1, v143
	v_mad_u32_u24 v130, v48, s0, 0x1a00
	s_delay_alu instid0(VALU_DEP_4) | instskip(SKIP_4) | instid1(VALU_DEP_4)
	v_mad_i64_i32 v[90:91], null, v49, s82, 0
	v_lshlrev_b32_e32 v49, 2, v112
	v_add3_u32 v48, 0, 0x80, v134
	v_lshl_add_u32 v82, s12, 5, v80
	v_dual_mov_b32 v61, v111 :: v_dual_add_nc_u32 v94, s1, v88
	v_add3_u32 v161, 0, v140, v49
	v_and_or_b32 v49, v209, 12, v72
	v_mul_u32_u24_e32 v155, 0xd0, v143
	v_lshl_add_u32 v108, s10, 5, v102
	v_add3_u32 v168, 0, v134, v128
	v_add3_u32 v173, v48, v128, 0x1a00
	v_lshrrev_b32_e32 v49, 2, v49
	v_add_nc_u32_e32 v48, v51, v135
	v_ashrrev_i32_e32 v81, 31, v80
	v_ashrrev_i32_e32 v83, 31, v82
	;; [unrolled: 1-line block ×3, first 2 shown]
	v_mad_u32_u24 v50, 0x90, v49, 0
	v_mul_u32_u24_e32 v151, 0x90, v49
	v_add3_u32 v49, 0, 64, v134
	v_dual_mov_b32 v59, v111 :: v_dual_add_nc_u32 v162, 0xd00, v161
	v_ashrrev_i32_e32 v87, 31, v86
	v_dual_mov_b32 v56, v111 :: v_dual_add_nc_u32 v163, 0x1a00, v161
	s_delay_alu instid0(VALU_DEP_4)
	v_add3_u32 v171, v49, v128, 0x1a00
	v_mov_b32_e32 v49, v111
	v_add3_u32 v165, v50, v150, v52
	v_ashrrev_i32_e32 v89, 31, v88
	v_dual_mov_b32 v63, v111 :: v_dual_add_nc_u32 v164, 0x2700, v161
	v_ashrrev_i32_e32 v95, 31, v94
	v_or_b32_e32 v145, 32, v143
	v_dual_mov_b32 v53, v111 :: v_dual_add_nc_u32 v166, 0x3400, v165
	v_xor_b32_e32 v97, 1, v127
	v_ashrrev_i32_e32 v103, 31, v102
	v_ashrrev_i32_e32 v109, 31, v108
	;; [unrolled: 1-line block ×5, first 2 shown]
	v_or_b32_e32 v133, 0xd0, v126
	v_or_b32_e32 v132, 0x1a0, v126
	;; [unrolled: 1-line block ×3, first 2 shown]
	v_add_nc_u32_e32 v169, 0x1a00, v168
	v_add_nc_u32_e32 v170, 64, v168
	;; [unrolled: 1-line block ×3, first 2 shown]
	v_lshlrev_b32_e32 v176, 2, v112
	v_dual_mov_b32 v50, v111 :: v_dual_add_nc_u32 v177, v152, v155
	v_add_nc_u32_e32 v178, 0x3400, v48
	v_mov_b32_e32 v48, v111
	v_mov_b32_e32 v51, v111
	v_ashrrev_i32_e32 v101, 31, v100
	v_mov_b32_e32 v52, v111
	v_mov_b32_e32 v54, v111
	s_mov_b32 s16, 0
	s_ashr_i32 s5, s12, 31
	s_ashr_i32 s25, s10, 31
	s_lshl_b32 s6, s14, 6
	s_mov_b32 s17, s16
	s_mov_b32 s18, s16
	;; [unrolled: 1-line block ×7, first 2 shown]
.LBB14_432:                             ; =>This Inner Loop Header: Depth=1
	s_ashr_i32 s7, s6, 31
	v_lshlrev_b64 v[72:73], 1, v[92:93]
	s_lshl_b64 s[0:1], s[6:7], 1
	v_lshlrev_b64 v[74:75], 1, v[90:91]
	v_add_co_u32 v76, vcc_lo, v157, s0
	v_add_co_ci_u32_e32 v77, vcc_lo, s1, v158, vcc_lo
	s_mul_hi_i32 s1, s6, s12
	s_delay_alu instid0(VALU_DEP_2) | instskip(NEXT) | instid1(VALU_DEP_2)
	v_add_co_u32 v72, vcc_lo, v76, v72
	v_add_co_ci_u32_e32 v73, vcc_lo, v77, v73, vcc_lo
	v_add_co_u32 v74, vcc_lo, v76, v74
	v_add_co_ci_u32_e32 v75, vcc_lo, v77, v75, vcc_lo
	s_mul_i32 s0, s6, s12
	s_clause 0x1
	global_load_b32 v72, v[72:73], off
	global_load_b32 v73, v[74:75], off
	s_lshl_b64 s[0:1], s[0:1], 2
	v_dual_mov_b32 v186, s23 :: v_dual_mov_b32 v185, s22
	s_add_u32 s0, s15, s0
	s_addc_u32 s1, s26, s1
	v_dual_mov_b32 v184, s21 :: v_dual_mov_b32 v183, s20
	v_dual_mov_b32 v182, s19 :: v_dual_mov_b32 v181, s18
	;; [unrolled: 1-line block ×3, first 2 shown]
	v_cmp_eq_u32_e64 s2, 0, v127
	v_add_nc_u32_e32 v175, 0x200, v168
	v_add_nc_u32_e32 v204, 0xa00, v168
	s_waitcnt vmcnt(0)
	ds_store_2addr_b32 v178, v72, v73 offset1:144
	v_lshlrev_b64 v[72:73], 2, v[80:81]
	s_delay_alu instid0(VALU_DEP_1) | instskip(NEXT) | instid1(VALU_DEP_2)
	v_add_co_u32 v74, vcc_lo, s0, v72
	v_add_co_ci_u32_e32 v75, vcc_lo, s1, v73, vcc_lo
	v_lshlrev_b64 v[72:73], 2, v[82:83]
	s_delay_alu instid0(VALU_DEP_1) | instskip(NEXT) | instid1(VALU_DEP_2)
	v_add_co_u32 v76, vcc_lo, s0, v72
	v_add_co_ci_u32_e32 v77, vcc_lo, s1, v73, vcc_lo
	v_add_co_u32 v72, vcc_lo, v74, v174
	v_add_co_ci_u32_e32 v73, vcc_lo, 0, v75, vcc_lo
	s_delay_alu instid0(VALU_DEP_4) | instskip(NEXT) | instid1(VALU_DEP_4)
	v_add_co_u32 v76, vcc_lo, v76, v174
	v_add_co_ci_u32_e32 v77, vcc_lo, 0, v77, vcc_lo
	s_clause 0x1
	global_load_b128 v[72:75], v[72:73], off offset:128
	global_load_b128 v[76:79], v[76:77], off offset:128
	s_waitcnt vmcnt(1)
	ds_store_b128 v159, v[72:75]
	s_waitcnt vmcnt(0)
	ds_store_b128 v160, v[76:79]
	v_lshlrev_b64 v[72:73], 2, v[84:85]
	s_delay_alu instid0(VALU_DEP_1) | instskip(NEXT) | instid1(VALU_DEP_2)
	v_add_co_u32 v74, vcc_lo, s0, v72
	v_add_co_ci_u32_e32 v75, vcc_lo, s1, v73, vcc_lo
	v_lshlrev_b64 v[72:73], 2, v[86:87]
	s_delay_alu instid0(VALU_DEP_1) | instskip(NEXT) | instid1(VALU_DEP_2)
	v_add_co_u32 v76, vcc_lo, s0, v72
	v_add_co_ci_u32_e32 v77, vcc_lo, s1, v73, vcc_lo
	v_add_co_u32 v72, vcc_lo, v74, v176
	v_add_co_ci_u32_e32 v73, vcc_lo, 0, v75, vcc_lo
	s_delay_alu instid0(VALU_DEP_4) | instskip(NEXT) | instid1(VALU_DEP_4)
	v_add_co_u32 v76, vcc_lo, v76, v176
	v_add_co_ci_u32_e32 v77, vcc_lo, 0, v77, vcc_lo
	s_clause 0x1
	global_load_b128 v[72:75], v[72:73], off
	global_load_b128 v[76:79], v[76:77], off
	s_waitcnt vmcnt(1)
	ds_store_b128 v161, v[72:75]
	s_waitcnt vmcnt(0)
	ds_store_b128 v162, v[76:79]
	v_lshlrev_b64 v[72:73], 2, v[88:89]
	s_delay_alu instid0(VALU_DEP_1) | instskip(NEXT) | instid1(VALU_DEP_2)
	v_add_co_u32 v74, vcc_lo, s0, v72
	v_add_co_ci_u32_e32 v75, vcc_lo, s1, v73, vcc_lo
	v_lshlrev_b64 v[72:73], 2, v[94:95]
	s_delay_alu instid0(VALU_DEP_1) | instskip(NEXT) | instid1(VALU_DEP_2)
	v_add_co_u32 v76, vcc_lo, s0, v72
	v_add_co_ci_u32_e32 v77, vcc_lo, s1, v73, vcc_lo
	v_add_co_u32 v72, vcc_lo, v74, v176
	v_add_co_ci_u32_e32 v73, vcc_lo, 0, v75, vcc_lo
	s_delay_alu instid0(VALU_DEP_4) | instskip(NEXT) | instid1(VALU_DEP_4)
	v_add_co_u32 v76, vcc_lo, v76, v176
	v_add_co_ci_u32_e32 v77, vcc_lo, 0, v77, vcc_lo
	s_clause 0x1
	global_load_b128 v[72:75], v[72:73], off
	global_load_b128 v[76:79], v[76:77], off
	s_waitcnt vmcnt(1)
	ds_store_b128 v163, v[72:75]
	s_waitcnt vmcnt(0)
	ds_store_b128 v164, v[76:79]
	s_waitcnt lgkmcnt(0)
	s_barrier
	buffer_gl0_inv
	ds_load_b128 v[72:75], v177
	ds_load_b128 v[76:79], v177 offset:16
	ds_load_b128 v[114:117], v177 offset:6656
	;; [unrolled: 1-line block ×3, first 2 shown]
	s_mul_hi_i32 s1, s6, s10
	s_mul_i32 s0, s6, s10
	s_delay_alu instid0(SALU_CYCLE_1) | instskip(NEXT) | instid1(SALU_CYCLE_1)
	s_lshl_b64 s[0:1], s[0:1], 2
	s_add_u32 s0, s11, s0
	s_addc_u32 s1, s13, s1
	s_add_i32 s14, s14, 1
	s_add_i32 s6, s6, 64
	s_waitcnt lgkmcnt(2)
	v_wmma_f32_16x16x16_f16 v[187:194], v[72:79], v[8:15], v[179:186]
	ds_load_b128 v[72:75], v177 offset:32
	ds_load_b128 v[76:79], v177 offset:48
	s_waitcnt lgkmcnt(2)
	v_wmma_f32_16x16x16_f16 v[195:202], v[114:121], v[8:15], v[179:186]
	s_waitcnt lgkmcnt(0)
	v_wmma_f32_16x16x16_f16 v[187:194], v[72:79], v[0:7], v[187:194]
	ds_load_b128 v[72:75], v177 offset:6688
	ds_load_b128 v[76:79], v177 offset:6704
	s_waitcnt lgkmcnt(0)
	v_wmma_f32_16x16x16_f16 v[195:202], v[72:79], v[0:7], v[195:202]
	ds_load_b128 v[72:75], v177 offset:64
	ds_load_b128 v[76:79], v177 offset:80
	;; [unrolled: 4-line block ×9, first 2 shown]
	s_waitcnt lgkmcnt(0)
	s_barrier
	buffer_gl0_inv
	v_wmma_f32_16x16x16_f16 v[195:202], v[72:79], v[40:47], v[195:202]
	ds_load_u16 v72, v165 offset:13312
	ds_load_u16 v73, v165 offset:13316
	ds_load_u16 v74, v165 offset:13320
	ds_load_u16 v75, v165 offset:13324
	ds_load_u16 v76, v165 offset:13328
	ds_load_u16 v77, v165 offset:13332
	ds_load_u16 v78, v165 offset:13336
	ds_load_u16 v79, v165 offset:13340
	ds_load_u16 v96, v166 offset:64
	ds_load_u16 v114, v166 offset:68
	ds_load_u16 v115, v166 offset:72
	ds_load_u16 v116, v166 offset:76
	ds_load_u16 v117, v166 offset:80
	ds_load_u16 v118, v166 offset:84
	ds_load_u16 v119, v166 offset:88
	ds_load_u16 v120, v166 offset:92
	s_waitcnt lgkmcnt(15)
	v_cvt_f32_f16_e32 v72, v72
	s_waitcnt lgkmcnt(7)
	v_cvt_f32_f16_e32 v96, v96
	;; [unrolled: 2-line block ×6, first 2 shown]
	v_dual_add_f32 v185, v195, v96 :: v_dual_add_f32 v186, v196, v114
	s_delay_alu instid0(VALU_DEP_3)
	v_dual_add_f32 v184, v197, v115 :: v_dual_add_f32 v183, v198, v116
	v_lshlrev_b64 v[114:115], 2, v[102:103]
	s_waitcnt lgkmcnt(1)
	v_cvt_f32_f16_e32 v119, v119
	v_cvt_f32_f16_e32 v118, v118
	v_add_f32_e32 v182, v199, v117
	s_waitcnt lgkmcnt(0)
	v_cvt_f32_f16_e32 v120, v120
	v_cvt_f32_f16_e32 v73, v73
	v_add_co_u32 v96, vcc_lo, s0, v114
	v_add_f32_e32 v181, v200, v118
	v_add_co_ci_u32_e32 v116, vcc_lo, s1, v115, vcc_lo
	v_lshlrev_b64 v[114:115], 2, v[108:109]
	v_dual_add_f32 v180, v201, v119 :: v_dual_add_f32 v179, v202, v120
	v_cvt_f32_f16_e32 v74, v74
	v_cvt_f32_f16_e32 v75, v75
	v_dual_add_f32 v72, v187, v72 :: v_dual_add_f32 v73, v188, v73
	v_add_co_u32 v117, vcc_lo, s0, v114
	v_add_co_ci_u32_e32 v119, vcc_lo, s1, v115, vcc_lo
	v_add_co_u32 v114, vcc_lo, v96, v174
	v_add_co_ci_u32_e32 v115, vcc_lo, 0, v116, vcc_lo
	s_delay_alu instid0(VALU_DEP_4) | instskip(NEXT) | instid1(VALU_DEP_4)
	v_add_co_u32 v118, vcc_lo, v117, v174
	v_add_co_ci_u32_e32 v119, vcc_lo, 0, v119, vcc_lo
	s_clause 0x1
	global_load_b128 v[114:117], v[114:115], off offset:128
	global_load_b128 v[118:121], v[118:119], off offset:128
	s_waitcnt vmcnt(1)
	ds_store_b128 v159, v[114:117]
	s_waitcnt vmcnt(0)
	ds_store_b128 v160, v[118:121]
	v_lshlrev_b64 v[114:115], 2, v[98:99]
	v_cvt_f32_f16_e32 v76, v76
	v_cvt_f32_f16_e32 v77, v77
	v_dual_add_f32 v74, v189, v74 :: v_dual_add_f32 v75, v190, v75
	v_cvt_f32_f16_e32 v78, v78
	v_add_co_u32 v96, vcc_lo, s0, v114
	v_add_co_ci_u32_e32 v116, vcc_lo, s1, v115, vcc_lo
	v_lshlrev_b64 v[114:115], 2, v[100:101]
	v_cvt_f32_f16_e32 v79, v79
	v_dual_add_f32 v76, v191, v76 :: v_dual_add_f32 v77, v192, v77
	s_delay_alu instid0(VALU_DEP_2) | instskip(NEXT) | instid1(VALU_DEP_4)
	v_dual_add_f32 v78, v193, v78 :: v_dual_add_f32 v79, v194, v79
	v_add_co_u32 v117, vcc_lo, s0, v114
	v_add_co_ci_u32_e32 v119, vcc_lo, s1, v115, vcc_lo
	v_add_co_u32 v114, vcc_lo, v96, v176
	v_add_co_ci_u32_e32 v115, vcc_lo, 0, v116, vcc_lo
	s_delay_alu instid0(VALU_DEP_4) | instskip(NEXT) | instid1(VALU_DEP_4)
	v_add_co_u32 v118, vcc_lo, v117, v176
	v_add_co_ci_u32_e32 v119, vcc_lo, 0, v119, vcc_lo
	s_clause 0x1
	global_load_b128 v[114:117], v[114:115], off
	global_load_b128 v[118:121], v[118:119], off
	s_waitcnt vmcnt(1)
	ds_store_b128 v161, v[114:117]
	s_waitcnt vmcnt(0)
	ds_store_b128 v162, v[118:121]
	v_lshlrev_b64 v[114:115], 2, v[104:105]
	s_delay_alu instid0(VALU_DEP_1) | instskip(NEXT) | instid1(VALU_DEP_2)
	v_add_co_u32 v96, vcc_lo, s0, v114
	v_add_co_ci_u32_e32 v116, vcc_lo, s1, v115, vcc_lo
	v_lshlrev_b64 v[114:115], 2, v[106:107]
	s_delay_alu instid0(VALU_DEP_1) | instskip(NEXT) | instid1(VALU_DEP_2)
	v_add_co_u32 v117, vcc_lo, s0, v114
	v_add_co_ci_u32_e32 v119, vcc_lo, s1, v115, vcc_lo
	v_add_co_u32 v114, vcc_lo, v96, v176
	v_add_co_ci_u32_e32 v115, vcc_lo, 0, v116, vcc_lo
	s_delay_alu instid0(VALU_DEP_4) | instskip(NEXT) | instid1(VALU_DEP_4)
	v_add_co_u32 v118, vcc_lo, v117, v176
	v_add_co_ci_u32_e32 v119, vcc_lo, 0, v119, vcc_lo
	s_clause 0x1
	global_load_b128 v[114:117], v[114:115], off
	global_load_b128 v[118:121], v[118:119], off
	s_waitcnt vmcnt(1)
	ds_store_b128 v163, v[114:117]
	s_waitcnt vmcnt(0)
	ds_store_b128 v164, v[118:121]
	v_dual_mov_b32 v96, v146 :: v_dual_add_f32 v115, 0x40051340, v73
	v_add_f32_e32 v114, 0x40051340, v72
	v_add_f32_e32 v116, 0x40051340, v75
	v_cmp_eq_u32_e64 s1, 1, v127
	s_waitcnt lgkmcnt(0)
	s_barrier
	v_max3_f32 v114, v96, v114, v115
	v_add_f32_e32 v115, 0x40051340, v74
	buffer_gl0_inv
	v_max3_f32 v114, v114, v115, v116
	v_dual_add_f32 v115, 0x40051340, v76 :: v_dual_add_f32 v116, 0x40051340, v77
	s_delay_alu instid0(VALU_DEP_1) | instskip(SKIP_1) | instid1(VALU_DEP_1)
	v_max3_f32 v114, v114, v115, v116
	v_dual_add_f32 v115, 0x40051340, v78 :: v_dual_add_f32 v116, 0x40051340, v79
	v_max3_f32 v114, v114, v115, v116
	v_dual_add_f32 v115, 0x40051340, v185 :: v_dual_add_f32 v116, 0x40051340, v186
	s_delay_alu instid0(VALU_DEP_1) | instskip(SKIP_1) | instid1(VALU_DEP_1)
	v_max3_f32 v114, v114, v115, v116
	v_dual_add_f32 v115, 0x40051340, v184 :: v_dual_add_f32 v116, 0x40051340, v183
	v_max3_f32 v114, v114, v115, v116
	v_dual_add_f32 v115, 0x40051340, v182 :: v_dual_add_f32 v116, 0x40051340, v181
	s_delay_alu instid0(VALU_DEP_1) | instskip(SKIP_1) | instid1(VALU_DEP_1)
	v_max3_f32 v114, v114, v115, v116
	v_dual_add_f32 v115, 0x40051340, v180 :: v_dual_add_f32 v116, 0x40051340, v179
	v_max3_f32 v114, v114, v115, v116
	ds_bpermute_b32 v115, v167, v114
	s_waitcnt lgkmcnt(0)
	v_max_f32_e32 v115, v115, v115
	s_delay_alu instid0(VALU_DEP_1) | instskip(NEXT) | instid1(VALU_DEP_1)
	v_max_f32_e32 v146, v114, v115
	v_sub_f32_e32 v73, v73, v146
	s_delay_alu instid0(VALU_DEP_1) | instskip(SKIP_1) | instid1(VALU_DEP_2)
	v_mul_f32_e32 v114, 0x3fb8aa3b, v73
	v_cmp_ngt_f32_e32 vcc_lo, 0xc2ce8ed0, v73
	v_fma_f32 v115, 0x3fb8aa3b, v73, -v114
	v_rndne_f32_e32 v116, v114
	s_delay_alu instid0(VALU_DEP_1) | instskip(SKIP_4) | instid1(VALU_DEP_4)
	v_dual_fmac_f32 v115, 0x32a5705f, v73 :: v_dual_sub_f32 v114, v114, v116
	v_sub_f32_e32 v72, v72, v146
	v_cvt_i32_f32_e32 v116, v116
	v_sub_f32_e32 v76, v76, v146
	v_sub_f32_e32 v96, v96, v146
	v_dual_add_f32 v114, v114, v115 :: v_dual_mul_f32 v115, 0x3fb8aa3b, v72
	v_sub_f32_e32 v78, v78, v146
	v_sub_f32_e32 v79, v79, v146
	s_delay_alu instid0(VALU_DEP_3) | instskip(NEXT) | instid1(VALU_DEP_3)
	v_exp_f32_e32 v114, v114
	v_fma_f32 v117, 0x3fb8aa3b, v72, -v115
	v_rndne_f32_e32 v118, v115
	s_delay_alu instid0(VALU_DEP_1) | instskip(SKIP_4) | instid1(VALU_DEP_2)
	v_sub_f32_e32 v115, v115, v118
	s_waitcnt_depctr 0xfff
	v_ldexp_f32 v114, v114, v116
	v_fmac_f32_e32 v117, 0x32a5705f, v72
	v_cvt_i32_f32_e32 v116, v118
	v_dual_cndmask_b32 v114, 0, v114 :: v_dual_add_f32 v115, v115, v117
	v_cmp_ngt_f32_e64 s0, 0xc2ce8ed0, v72
	v_cmp_nlt_f32_e32 vcc_lo, 0x42b17218, v73
	s_delay_alu instid0(VALU_DEP_3) | instskip(NEXT) | instid1(VALU_DEP_3)
	v_exp_f32_e32 v115, v115
	v_cndmask_b32_e32 v188, 0x7f800000, v114, vcc_lo
	v_cmp_eq_u32_e32 vcc_lo, 1, v97
	v_sub_f32_e32 v75, v75, v146
	v_sub_f32_e32 v74, v74, v146
	;; [unrolled: 1-line block ×3, first 2 shown]
	ds_bpermute_b32 v114, v167, v188
	v_ldexp_f32 v115, v115, v116
	v_cmp_ngt_f32_e64 s3, 0xc2ce8ed0, v74
	s_delay_alu instid0(VALU_DEP_2) | instskip(SKIP_1) | instid1(VALU_DEP_1)
	v_cndmask_b32_e64 v73, 0, v115, s0
	v_cmp_nlt_f32_e64 s0, 0x42b17218, v72
	v_cndmask_b32_e64 v187, 0x7f800000, v73, s0
	v_cmp_eq_u32_e64 s0, 0, v97
	ds_bpermute_b32 v72, v167, v187
	s_waitcnt lgkmcnt(0)
	v_cndmask_b32_e32 v73, v187, v72, vcc_lo
	v_cndmask_b32_e64 v72, v187, v72, s0
	s_delay_alu instid0(VALU_DEP_2) | instskip(NEXT) | instid1(VALU_DEP_2)
	v_cndmask_b32_e64 v116, v73, v188, s1
	v_cndmask_b32_e64 v115, v72, v188, s2
	v_cvt_f16_f32_e32 v72, v72
	s_delay_alu instid0(VALU_DEP_2) | instskip(NEXT) | instid1(VALU_DEP_4)
	v_cndmask_b32_e64 v115, v115, v114, s0
	v_cndmask_b32_e32 v114, v116, v114, vcc_lo
	v_cvt_f16_f32_e32 v73, v73
	s_delay_alu instid0(VALU_DEP_3) | instskip(NEXT) | instid1(VALU_DEP_3)
	v_cvt_f16_f32_e32 v116, v115
	v_cvt_f16_f32_e32 v117, v114
	s_delay_alu instid0(VALU_DEP_3) | instskip(NEXT) | instid1(VALU_DEP_2)
	v_pack_b32_f16 v72, v72, v73
	v_pack_b32_f16 v73, v116, v117
	v_mul_f32_e32 v116, 0x3fb8aa3b, v74
	s_delay_alu instid0(VALU_DEP_1) | instskip(SKIP_1) | instid1(VALU_DEP_2)
	v_fma_f32 v117, 0x3fb8aa3b, v74, -v116
	v_rndne_f32_e32 v118, v116
	v_fmac_f32_e32 v117, 0x32a5705f, v74
	s_delay_alu instid0(VALU_DEP_2) | instskip(NEXT) | instid1(VALU_DEP_1)
	v_sub_f32_e32 v116, v116, v118
	v_add_f32_e32 v116, v116, v117
	v_cvt_i32_f32_e32 v117, v118
	s_delay_alu instid0(VALU_DEP_2) | instskip(SKIP_2) | instid1(VALU_DEP_1)
	v_exp_f32_e32 v116, v116
	s_waitcnt_depctr 0xfff
	v_ldexp_f32 v116, v116, v117
	v_cndmask_b32_e64 v116, 0, v116, s3
	v_cmp_nlt_f32_e64 s3, 0x42b17218, v74
	s_delay_alu instid0(VALU_DEP_1) | instskip(SKIP_1) | instid1(VALU_DEP_2)
	v_cndmask_b32_e64 v189, 0x7f800000, v116, s3
	v_cmp_ngt_f32_e64 s3, 0xc2ce8ed0, v75
	v_cndmask_b32_e64 v74, v115, v189, s2
	ds_bpermute_b32 v115, v167, v189
	v_cndmask_b32_e64 v114, v114, v189, s1
	s_waitcnt lgkmcnt(0)
	v_cndmask_b32_e64 v116, v74, v115, s0
	s_delay_alu instid0(VALU_DEP_2) | instskip(NEXT) | instid1(VALU_DEP_2)
	v_cndmask_b32_e32 v114, v114, v115, vcc_lo
	v_cvt_f16_f32_e32 v74, v116
	s_delay_alu instid0(VALU_DEP_2) | instskip(NEXT) | instid1(VALU_DEP_1)
	v_cvt_f16_f32_e32 v115, v114
	v_pack_b32_f16 v74, v74, v115
	v_mul_f32_e32 v115, 0x3fb8aa3b, v75
	s_delay_alu instid0(VALU_DEP_1) | instskip(SKIP_1) | instid1(VALU_DEP_2)
	v_fma_f32 v117, 0x3fb8aa3b, v75, -v115
	v_rndne_f32_e32 v118, v115
	v_fmac_f32_e32 v117, 0x32a5705f, v75
	s_delay_alu instid0(VALU_DEP_2) | instskip(NEXT) | instid1(VALU_DEP_1)
	v_sub_f32_e32 v115, v115, v118
	v_add_f32_e32 v115, v115, v117
	v_cvt_i32_f32_e32 v117, v118
	s_delay_alu instid0(VALU_DEP_2) | instskip(SKIP_2) | instid1(VALU_DEP_1)
	v_exp_f32_e32 v115, v115
	s_waitcnt_depctr 0xfff
	v_ldexp_f32 v115, v115, v117
	v_cndmask_b32_e64 v115, 0, v115, s3
	v_cmp_nlt_f32_e64 s3, 0x42b17218, v75
	s_delay_alu instid0(VALU_DEP_1) | instskip(SKIP_4) | instid1(VALU_DEP_2)
	v_cndmask_b32_e64 v190, 0x7f800000, v115, s3
	ds_bpermute_b32 v115, v167, v190
	v_cndmask_b32_e64 v75, v116, v190, s2
	v_cndmask_b32_e64 v114, v114, v190, s1
	s_waitcnt lgkmcnt(0)
	v_cndmask_b32_e64 v116, v75, v115, s0
	s_delay_alu instid0(VALU_DEP_2) | instskip(NEXT) | instid1(VALU_DEP_2)
	v_cndmask_b32_e32 v114, v114, v115, vcc_lo
	v_cvt_f16_f32_e32 v75, v116
	s_delay_alu instid0(VALU_DEP_2) | instskip(NEXT) | instid1(VALU_DEP_1)
	v_cvt_f16_f32_e32 v115, v114
	v_pack_b32_f16 v75, v75, v115
	v_mul_f32_e32 v115, 0x3fb8aa3b, v76
	s_delay_alu instid0(VALU_DEP_1) | instskip(SKIP_1) | instid1(VALU_DEP_2)
	v_fma_f32 v117, 0x3fb8aa3b, v76, -v115
	v_rndne_f32_e32 v118, v115
	v_fmac_f32_e32 v117, 0x32a5705f, v76
	s_delay_alu instid0(VALU_DEP_2) | instskip(NEXT) | instid1(VALU_DEP_1)
	v_sub_f32_e32 v115, v115, v118
	v_add_f32_e32 v115, v115, v117
	v_cvt_i32_f32_e32 v117, v118
	v_cmp_ngt_f32_e64 s3, 0xc2ce8ed0, v76
	s_delay_alu instid0(VALU_DEP_3) | instskip(SKIP_2) | instid1(VALU_DEP_1)
	v_exp_f32_e32 v115, v115
	s_waitcnt_depctr 0xfff
	v_ldexp_f32 v115, v115, v117
	v_cndmask_b32_e64 v115, 0, v115, s3
	v_cmp_nlt_f32_e64 s3, 0x42b17218, v76
	s_delay_alu instid0(VALU_DEP_1)
	v_cndmask_b32_e64 v191, 0x7f800000, v115, s3
	v_cmp_ngt_f32_e64 s3, 0xc2ce8ed0, v77
	ds_bpermute_b32 v115, v167, v191
	v_cndmask_b32_e64 v76, v116, v191, s2
	v_cndmask_b32_e64 v114, v114, v191, s1
	s_waitcnt lgkmcnt(0)
	s_delay_alu instid0(VALU_DEP_2) | instskip(NEXT) | instid1(VALU_DEP_2)
	v_cndmask_b32_e64 v116, v76, v115, s0
	v_cndmask_b32_e32 v114, v114, v115, vcc_lo
	s_delay_alu instid0(VALU_DEP_2) | instskip(NEXT) | instid1(VALU_DEP_2)
	v_cvt_f16_f32_e32 v76, v116
	v_cvt_f16_f32_e32 v115, v114
	s_delay_alu instid0(VALU_DEP_1) | instskip(SKIP_1) | instid1(VALU_DEP_1)
	v_pack_b32_f16 v76, v76, v115
	v_mul_f32_e32 v115, 0x3fb8aa3b, v77
	v_fma_f32 v117, 0x3fb8aa3b, v77, -v115
	v_rndne_f32_e32 v118, v115
	s_delay_alu instid0(VALU_DEP_2) | instskip(NEXT) | instid1(VALU_DEP_2)
	v_fmac_f32_e32 v117, 0x32a5705f, v77
	v_sub_f32_e32 v115, v115, v118
	s_delay_alu instid0(VALU_DEP_1) | instskip(SKIP_1) | instid1(VALU_DEP_2)
	v_add_f32_e32 v115, v115, v117
	v_cvt_i32_f32_e32 v117, v118
	v_exp_f32_e32 v115, v115
	s_waitcnt_depctr 0xfff
	v_ldexp_f32 v115, v115, v117
	s_delay_alu instid0(VALU_DEP_1) | instskip(SKIP_1) | instid1(VALU_DEP_1)
	v_cndmask_b32_e64 v115, 0, v115, s3
	v_cmp_nlt_f32_e64 s3, 0x42b17218, v77
	v_cndmask_b32_e64 v192, 0x7f800000, v115, s3
	v_cmp_ngt_f32_e64 s3, 0xc2ce8ed0, v78
	ds_bpermute_b32 v115, v167, v192
	v_cndmask_b32_e64 v77, v116, v192, s2
	v_cndmask_b32_e64 v114, v114, v192, s1
	s_waitcnt lgkmcnt(0)
	s_delay_alu instid0(VALU_DEP_2) | instskip(NEXT) | instid1(VALU_DEP_2)
	v_cndmask_b32_e64 v116, v77, v115, s0
	v_cndmask_b32_e32 v114, v114, v115, vcc_lo
	s_delay_alu instid0(VALU_DEP_2) | instskip(NEXT) | instid1(VALU_DEP_2)
	v_cvt_f16_f32_e32 v77, v116
	v_cvt_f16_f32_e32 v115, v114
	s_delay_alu instid0(VALU_DEP_1) | instskip(SKIP_1) | instid1(VALU_DEP_1)
	v_pack_b32_f16 v77, v77, v115
	v_mul_f32_e32 v115, 0x3fb8aa3b, v78
	v_fma_f32 v117, 0x3fb8aa3b, v78, -v115
	v_rndne_f32_e32 v118, v115
	s_delay_alu instid0(VALU_DEP_2) | instskip(NEXT) | instid1(VALU_DEP_2)
	v_fmac_f32_e32 v117, 0x32a5705f, v78
	v_sub_f32_e32 v115, v115, v118
	s_delay_alu instid0(VALU_DEP_1) | instskip(SKIP_1) | instid1(VALU_DEP_2)
	v_add_f32_e32 v115, v115, v117
	v_cvt_i32_f32_e32 v117, v118
	v_exp_f32_e32 v115, v115
	s_waitcnt_depctr 0xfff
	v_ldexp_f32 v115, v115, v117
	s_delay_alu instid0(VALU_DEP_1) | instskip(SKIP_1) | instid1(VALU_DEP_1)
	v_cndmask_b32_e64 v115, 0, v115, s3
	v_cmp_nlt_f32_e64 s3, 0x42b17218, v78
	;; [unrolled: 29-line block ×4, first 2 shown]
	v_cndmask_b32_e64 v114, 0x7f800000, v114, s3
	v_cmp_le_f32_e64 s3, 0xc1a00000, v96
	v_add_nc_u32_e32 v96, 0x400, v168
	s_delay_alu instid0(VALU_DEP_2)
	v_cndmask_b32_e64 v195, 0, v114, s3
	ds_load_2addr_b32 v[120:121], v168 offset1:16
	ds_load_2addr_b32 v[114:115], v168 offset0:32 offset1:52
	ds_load_2addr_b32 v[122:123], v168 offset0:104 offset1:120
	;; [unrolled: 1-line block ×6, first 2 shown]
	v_add_nc_u32_e32 v175, 0x800, v168
	ds_load_2addr_b32 v[207:208], v96 offset0:160 offset1:212
	v_cvt_f16_f32_e64 v196, v195
	ds_load_2addr_b32 v[211:212], v175 offset0:112 offset1:164
	ds_load_2addr_b32 v[213:214], v175 offset0:8 offset1:24
	;; [unrolled: 1-line block ×5, first 2 shown]
	v_pk_mul_f16 v64, v196, v64 op_sel_hi:[0,1]
	v_pk_mul_f16 v65, v196, v65 op_sel_hi:[0,1]
	v_pk_mul_f16 v66, v196, v66 op_sel_hi:[0,1]
	v_pk_mul_f16 v67, v196, v67 op_sel_hi:[0,1]
	v_pk_mul_f16 v68, v196, v68 op_sel_hi:[0,1]
	v_pk_mul_f16 v69, v196, v69 op_sel_hi:[0,1]
	v_pk_mul_f16 v70, v196, v70 op_sel_hi:[0,1]
	v_pk_mul_f16 v71, v196, v71 op_sel_hi:[0,1]
	s_waitcnt lgkmcnt(11)
	v_perm_b32 v197, v115, v120, 0x5040100
	s_waitcnt lgkmcnt(9)
	v_perm_b32 v198, v117, v122, 0x5040100
	;; [unrolled: 2-line block ×4, first 2 shown]
	ds_load_2addr_b32 v[221:222], v168 offset0:68 offset1:84
	ds_load_2addr_b32 v[223:224], v168 offset0:172 offset1:188
	s_waitcnt lgkmcnt(7)
	v_perm_b32 v201, v208, v207, 0x5040100
	ds_load_2addr_b32 v[225:226], v96 offset0:124 offset1:140
	v_pk_mul_f16 v56, v196, v56 op_sel_hi:[0,1]
	v_pk_mul_f16 v57, v196, v57 op_sel_hi:[0,1]
	s_waitcnt lgkmcnt(7)
	v_perm_b32 v203, v212, v211, 0x5040100
	s_waitcnt lgkmcnt(5)
	v_perm_b32 v202, v216, v213, 0x5040100
	;; [unrolled: 2-line block ×3, first 2 shown]
	v_pk_mul_f16 v58, v196, v58 op_sel_hi:[0,1]
	v_pk_mul_f16 v59, v196, v59 op_sel_hi:[0,1]
	;; [unrolled: 1-line block ×4, first 2 shown]
	v_wmma_f16_16x16x16_f16 v[64:71], v[197:204], v[72:79], v[64:71]
	v_add_nc_u32_e32 v199, 0x300, v170
	ds_load_2addr_b32 v[227:228], v199 offset0:16 offset1:224
	ds_load_2addr_b32 v[229:230], v96 offset0:20 offset1:36
	;; [unrolled: 1-line block ×3, first 2 shown]
	v_add_nc_u32_e32 v96, 0xc00, v168
	ds_load_2addr_b32 v[233:234], v175 offset0:76 offset1:92
	v_pk_mul_f16 v62, v196, v62 op_sel_hi:[0,1]
	v_pk_mul_f16 v63, v196, v63 op_sel_hi:[0,1]
	s_waitcnt lgkmcnt(6)
	v_perm_b32 v197, v221, v121, 0x5040100
	ds_load_2addr_b32 v[235:236], v96 offset0:28 offset1:44
	ds_load_b32 v96, v170 offset:2496
	ds_load_2addr_b32 v[237:238], v175 offset0:180 offset1:196
	ds_load_b32 v175, v170 offset:9776
	ds_load_b32 v241, v169 offset:2496
	s_waitcnt lgkmcnt(10)
	v_perm_b32 v198, v223, v123, 0x5040100
	s_waitcnt lgkmcnt(9)
	v_perm_b32 v200, v225, v125, 0x5040100
	v_pk_mul_f16 v48, v196, v48 op_sel_hi:[0,1]
	v_pk_mul_f16 v49, v196, v49 op_sel_hi:[0,1]
	;; [unrolled: 1-line block ×8, first 2 shown]
	v_perm_b32 v196, v222, v114, 0x5040100
	s_waitcnt lgkmcnt(7)
	v_perm_b32 v199, v229, v227, 0x5040100
	s_waitcnt lgkmcnt(6)
	v_perm_b32 v201, v231, v228, 0x5040100
	v_perm_b32 v114, v222, v114, 0x7060302
	s_waitcnt lgkmcnt(5)
	v_perm_b32 v202, v233, v214, 0x5040100
	s_waitcnt lgkmcnt(2)
	v_perm_b32 v203, v237, v96, 0x5040100
	v_perm_b32 v204, v235, v220, 0x5040100
	s_delay_alu instid0(VALU_DEP_1)
	v_wmma_f16_16x16x16_f16 v[56:63], v[197:204], v[72:79], v[56:63]
	v_add_nc_u32_e32 v198, 0x300, v172
	v_perm_b32 v197, v224, v116, 0x5040100
	v_perm_b32 v199, v226, v118, 0x5040100
	;; [unrolled: 1-line block ×4, first 2 shown]
	ds_load_2addr_b32 v[239:240], v198 offset0:16 offset1:224
	ds_load_b32 v204, v172 offset:2496
	ds_load_b32 v242, v172 offset:9776
	;; [unrolled: 1-line block ×3, first 2 shown]
	s_waitcnt lgkmcnt(2)
	v_perm_b32 v202, v238, v204, 0x5040100
	v_perm_b32 v198, v230, v239, 0x5040100
	;; [unrolled: 1-line block ×3, first 2 shown]
	s_delay_alu instid0(VALU_DEP_1)
	v_wmma_f16_16x16x16_f16 v[48:55], v[196:203], v[72:79], v[48:55]
	v_perm_b32 v198, v206, v205, 0x7060302
	v_perm_b32 v200, v208, v207, 0x7060302
	;; [unrolled: 1-line block ×12, first 2 shown]
	v_wmma_f16_16x16x16_f16 v[64:71], v[196:203], v[72:79], v[64:71] op_sel:[0,0,1]
	v_perm_b32 v196, v221, v121, 0x7060302
	v_perm_b32 v197, v223, v123, 0x7060302
	;; [unrolled: 1-line block ×11, first 2 shown]
	s_delay_alu instid0(VALU_DEP_4) | instskip(NEXT) | instid1(VALU_DEP_2)
	v_wmma_f16_16x16x16_f16 v[56:63], v[196:203], v[72:79], v[56:63] op_sel:[0,0,1]
	v_wmma_f16_16x16x16_f16 v[48:55], v[114:121], v[72:79], v[48:55] op_sel:[0,0,1]
	v_dual_sub_f32 v72, v186, v146 :: v_dual_add_nc_u32 v119, 0x2000, v168
	s_delay_alu instid0(VALU_DEP_1) | instskip(SKIP_1) | instid1(VALU_DEP_2)
	v_mul_f32_e32 v73, 0x3fb8aa3b, v72
	v_cmp_ngt_f32_e64 s3, 0xc2ce8ed0, v72
	v_fma_f32 v74, 0x3fb8aa3b, v72, -v73
	v_rndne_f32_e32 v75, v73
	s_delay_alu instid0(VALU_DEP_1) | instskip(SKIP_1) | instid1(VALU_DEP_2)
	v_dual_fmac_f32 v74, 0x32a5705f, v72 :: v_dual_sub_f32 v73, v73, v75
	v_cvt_i32_f32_e32 v75, v75
	v_add_f32_e32 v73, v73, v74
	v_sub_f32_e32 v74, v185, v146
	s_delay_alu instid0(VALU_DEP_2) | instskip(NEXT) | instid1(VALU_DEP_1)
	v_exp_f32_e32 v73, v73
	v_mul_f32_e32 v76, 0x3fb8aa3b, v74
	v_cmp_ngt_f32_e64 s4, 0xc2ce8ed0, v74
	s_delay_alu instid0(VALU_DEP_2)
	v_fma_f32 v77, 0x3fb8aa3b, v74, -v76
	v_rndne_f32_e32 v78, v76
	s_waitcnt_depctr 0xfff
	v_ldexp_f32 v73, v73, v75
	v_fmac_f32_e32 v77, 0x32a5705f, v74
	v_sub_f32_e32 v76, v76, v78
	v_cvt_i32_f32_e32 v75, v78
	s_delay_alu instid0(VALU_DEP_4) | instskip(SKIP_1) | instid1(VALU_DEP_4)
	v_cndmask_b32_e64 v73, 0, v73, s3
	v_cmp_nlt_f32_e64 s3, 0x42b17218, v72
	v_add_f32_e32 v76, v76, v77
	s_delay_alu instid0(VALU_DEP_2) | instskip(NEXT) | instid1(VALU_DEP_2)
	v_cndmask_b32_e64 v208, 0x7f800000, v73, s3
	v_exp_f32_e32 v76, v76
	s_waitcnt_depctr 0xfff
	v_ldexp_f32 v75, v76, v75
	s_delay_alu instid0(VALU_DEP_1)
	v_cndmask_b32_e64 v72, 0, v75, s4
	v_cmp_nlt_f32_e64 s4, 0x42b17218, v74
	ds_bpermute_b32 v74, v167, v208
	v_cndmask_b32_e64 v96, 0x7f800000, v72, s4
	ds_bpermute_b32 v72, v167, v96
	s_waitcnt lgkmcnt(0)
	v_cndmask_b32_e32 v73, v96, v72, vcc_lo
	v_cndmask_b32_e64 v72, v96, v72, s0
	s_delay_alu instid0(VALU_DEP_2) | instskip(NEXT) | instid1(VALU_DEP_2)
	v_cndmask_b32_e64 v76, v73, v208, s1
	v_cndmask_b32_e64 v75, v72, v208, s2
	v_cvt_f16_f32_e32 v72, v72
	v_cvt_f16_f32_e32 v73, v73
	s_delay_alu instid0(VALU_DEP_3) | instskip(SKIP_1) | instid1(VALU_DEP_3)
	v_cndmask_b32_e64 v75, v75, v74, s0
	v_cndmask_b32_e32 v74, v76, v74, vcc_lo
	v_pack_b32_f16 v72, v72, v73
	s_delay_alu instid0(VALU_DEP_3) | instskip(NEXT) | instid1(VALU_DEP_3)
	v_cvt_f16_f32_e32 v76, v75
	v_cvt_f16_f32_e32 v77, v74
	s_delay_alu instid0(VALU_DEP_1) | instskip(SKIP_1) | instid1(VALU_DEP_1)
	v_pack_b32_f16 v73, v76, v77
	v_sub_f32_e32 v76, v184, v146
	v_mul_f32_e32 v77, 0x3fb8aa3b, v76
	v_cmp_ngt_f32_e64 s3, 0xc2ce8ed0, v76
	s_delay_alu instid0(VALU_DEP_2) | instskip(SKIP_1) | instid1(VALU_DEP_1)
	v_fma_f32 v78, 0x3fb8aa3b, v76, -v77
	v_rndne_f32_e32 v79, v77
	v_dual_fmac_f32 v78, 0x32a5705f, v76 :: v_dual_sub_f32 v77, v77, v79
	s_delay_alu instid0(VALU_DEP_1) | instskip(SKIP_1) | instid1(VALU_DEP_2)
	v_add_f32_e32 v77, v77, v78
	v_cvt_i32_f32_e32 v78, v79
	v_exp_f32_e32 v77, v77
	s_waitcnt_depctr 0xfff
	v_ldexp_f32 v77, v77, v78
	s_delay_alu instid0(VALU_DEP_1) | instskip(SKIP_1) | instid1(VALU_DEP_1)
	v_cndmask_b32_e64 v77, 0, v77, s3
	v_cmp_nlt_f32_e64 s3, 0x42b17218, v76
	v_cndmask_b32_e64 v229, 0x7f800000, v77, s3
	ds_bpermute_b32 v76, v167, v229
	v_cndmask_b32_e64 v75, v75, v229, s2
	v_cndmask_b32_e64 v74, v74, v229, s1
	s_waitcnt lgkmcnt(0)
	s_delay_alu instid0(VALU_DEP_2) | instskip(NEXT) | instid1(VALU_DEP_2)
	v_cndmask_b32_e64 v75, v75, v76, s0
	v_cndmask_b32_e32 v76, v74, v76, vcc_lo
	s_delay_alu instid0(VALU_DEP_2) | instskip(NEXT) | instid1(VALU_DEP_2)
	v_cvt_f16_f32_e32 v74, v75
	v_cvt_f16_f32_e32 v77, v76
	s_delay_alu instid0(VALU_DEP_1) | instskip(SKIP_1) | instid1(VALU_DEP_1)
	v_pack_b32_f16 v74, v74, v77
	v_sub_f32_e32 v77, v183, v146
	v_mul_f32_e32 v78, 0x3fb8aa3b, v77
	v_cmp_ngt_f32_e64 s3, 0xc2ce8ed0, v77
	s_delay_alu instid0(VALU_DEP_2) | instskip(SKIP_1) | instid1(VALU_DEP_1)
	v_fma_f32 v79, 0x3fb8aa3b, v77, -v78
	v_rndne_f32_e32 v114, v78
	v_dual_fmac_f32 v79, 0x32a5705f, v77 :: v_dual_sub_f32 v78, v78, v114
	s_delay_alu instid0(VALU_DEP_1) | instskip(SKIP_1) | instid1(VALU_DEP_2)
	v_add_f32_e32 v78, v78, v79
	v_cvt_i32_f32_e32 v79, v114
	v_exp_f32_e32 v78, v78
	s_waitcnt_depctr 0xfff
	v_ldexp_f32 v78, v78, v79
	s_delay_alu instid0(VALU_DEP_1) | instskip(SKIP_1) | instid1(VALU_DEP_1)
	v_cndmask_b32_e64 v78, 0, v78, s3
	v_cmp_nlt_f32_e64 s3, 0x42b17218, v77
	v_cndmask_b32_e64 v230, 0x7f800000, v78, s3
	ds_bpermute_b32 v77, v167, v230
	v_cndmask_b32_e64 v75, v75, v230, s2
	v_cndmask_b32_e64 v76, v76, v230, s1
	s_waitcnt lgkmcnt(0)
	s_delay_alu instid0(VALU_DEP_2) | instskip(NEXT) | instid1(VALU_DEP_2)
	v_cndmask_b32_e64 v78, v75, v77, s0
	v_cndmask_b32_e32 v76, v76, v77, vcc_lo
	s_delay_alu instid0(VALU_DEP_2) | instskip(NEXT) | instid1(VALU_DEP_2)
	v_cvt_f16_f32_e32 v75, v78
	v_cvt_f16_f32_e32 v77, v76
	s_delay_alu instid0(VALU_DEP_1) | instskip(SKIP_1) | instid1(VALU_DEP_1)
	v_pack_b32_f16 v75, v75, v77
	v_sub_f32_e32 v77, v182, v146
	v_mul_f32_e32 v79, 0x3fb8aa3b, v77
	v_cmp_ngt_f32_e64 s3, 0xc2ce8ed0, v77
	s_delay_alu instid0(VALU_DEP_2) | instskip(SKIP_1) | instid1(VALU_DEP_1)
	v_fma_f32 v114, 0x3fb8aa3b, v77, -v79
	v_rndne_f32_e32 v115, v79
	v_dual_fmac_f32 v114, 0x32a5705f, v77 :: v_dual_sub_f32 v79, v79, v115
	s_delay_alu instid0(VALU_DEP_1) | instskip(SKIP_1) | instid1(VALU_DEP_2)
	v_add_f32_e32 v79, v79, v114
	v_cvt_i32_f32_e32 v114, v115
	v_exp_f32_e32 v79, v79
	s_waitcnt_depctr 0xfff
	v_ldexp_f32 v79, v79, v114
	s_delay_alu instid0(VALU_DEP_1) | instskip(SKIP_1) | instid1(VALU_DEP_1)
	v_cndmask_b32_e64 v79, 0, v79, s3
	v_cmp_nlt_f32_e64 s3, 0x42b17218, v77
	v_cndmask_b32_e64 v231, 0x7f800000, v79, s3
	s_delay_alu instid0(VALU_DEP_1) | instskip(SKIP_4) | instid1(VALU_DEP_2)
	v_cndmask_b32_e64 v77, v78, v231, s2
	ds_bpermute_b32 v78, v167, v231
	v_cndmask_b32_e64 v76, v76, v231, s1
	s_waitcnt lgkmcnt(0)
	v_cndmask_b32_e64 v77, v77, v78, s0
	v_cndmask_b32_e32 v78, v76, v78, vcc_lo
	s_delay_alu instid0(VALU_DEP_2) | instskip(NEXT) | instid1(VALU_DEP_2)
	v_cvt_f16_f32_e32 v76, v77
	v_cvt_f16_f32_e32 v79, v78
	s_delay_alu instid0(VALU_DEP_1) | instskip(SKIP_1) | instid1(VALU_DEP_1)
	v_pack_b32_f16 v76, v76, v79
	v_sub_f32_e32 v79, v181, v146
	v_mul_f32_e32 v114, 0x3fb8aa3b, v79
	v_cmp_ngt_f32_e64 s3, 0xc2ce8ed0, v79
	s_delay_alu instid0(VALU_DEP_2) | instskip(SKIP_1) | instid1(VALU_DEP_1)
	v_fma_f32 v115, 0x3fb8aa3b, v79, -v114
	v_rndne_f32_e32 v116, v114
	v_dual_fmac_f32 v115, 0x32a5705f, v79 :: v_dual_sub_f32 v114, v114, v116
	s_delay_alu instid0(VALU_DEP_1) | instskip(SKIP_1) | instid1(VALU_DEP_2)
	v_add_f32_e32 v114, v114, v115
	v_cvt_i32_f32_e32 v115, v116
	v_exp_f32_e32 v114, v114
	s_waitcnt_depctr 0xfff
	v_ldexp_f32 v114, v114, v115
	s_delay_alu instid0(VALU_DEP_1) | instskip(SKIP_1) | instid1(VALU_DEP_1)
	v_cndmask_b32_e64 v114, 0, v114, s3
	v_cmp_nlt_f32_e64 s3, 0x42b17218, v79
	v_cndmask_b32_e64 v232, 0x7f800000, v114, s3
	ds_bpermute_b32 v79, v167, v232
	v_cndmask_b32_e64 v77, v77, v232, s2
	v_cndmask_b32_e64 v78, v78, v232, s1
	s_waitcnt lgkmcnt(0)
	s_delay_alu instid0(VALU_DEP_2) | instskip(NEXT) | instid1(VALU_DEP_2)
	v_cndmask_b32_e64 v114, v77, v79, s0
	v_cndmask_b32_e32 v78, v78, v79, vcc_lo
	s_delay_alu instid0(VALU_DEP_2) | instskip(NEXT) | instid1(VALU_DEP_2)
	v_cvt_f16_f32_e32 v77, v114
	v_cvt_f16_f32_e32 v79, v78
	s_delay_alu instid0(VALU_DEP_1) | instskip(SKIP_1) | instid1(VALU_DEP_1)
	v_pack_b32_f16 v77, v77, v79
	v_sub_f32_e32 v79, v180, v146
	v_mul_f32_e32 v115, 0x3fb8aa3b, v79
	v_cmp_ngt_f32_e64 s3, 0xc2ce8ed0, v79
	s_delay_alu instid0(VALU_DEP_2) | instskip(SKIP_1) | instid1(VALU_DEP_1)
	v_fma_f32 v116, 0x3fb8aa3b, v79, -v115
	v_rndne_f32_e32 v117, v115
	v_dual_fmac_f32 v116, 0x32a5705f, v79 :: v_dual_sub_f32 v115, v115, v117
	s_delay_alu instid0(VALU_DEP_1) | instskip(SKIP_1) | instid1(VALU_DEP_2)
	v_add_f32_e32 v115, v115, v116
	v_cvt_i32_f32_e32 v116, v117
	v_exp_f32_e32 v115, v115
	s_waitcnt_depctr 0xfff
	v_ldexp_f32 v115, v115, v116
	s_delay_alu instid0(VALU_DEP_1) | instskip(SKIP_1) | instid1(VALU_DEP_1)
	v_cndmask_b32_e64 v115, 0, v115, s3
	v_cmp_nlt_f32_e64 s3, 0x42b17218, v79
	v_cndmask_b32_e64 v233, 0x7f800000, v115, s3
	s_delay_alu instid0(VALU_DEP_1) | instskip(SKIP_4) | instid1(VALU_DEP_2)
	v_cndmask_b32_e64 v79, v114, v233, s2
	ds_bpermute_b32 v114, v167, v233
	v_cndmask_b32_e64 v78, v78, v233, s1
	s_waitcnt lgkmcnt(0)
	v_cndmask_b32_e64 v79, v79, v114, s0
	v_cndmask_b32_e32 v114, v78, v114, vcc_lo
	s_delay_alu instid0(VALU_DEP_2) | instskip(NEXT) | instid1(VALU_DEP_2)
	v_cvt_f16_f32_e32 v78, v79
	v_cvt_f16_f32_e32 v115, v114
	s_delay_alu instid0(VALU_DEP_1) | instskip(SKIP_1) | instid1(VALU_DEP_1)
	v_pack_b32_f16 v78, v78, v115
	v_sub_f32_e32 v115, v179, v146
	v_mul_f32_e32 v116, 0x3fb8aa3b, v115
	v_cmp_ngt_f32_e64 s3, 0xc2ce8ed0, v115
	s_delay_alu instid0(VALU_DEP_2) | instskip(SKIP_1) | instid1(VALU_DEP_1)
	v_fma_f32 v117, 0x3fb8aa3b, v115, -v116
	v_rndne_f32_e32 v118, v116
	v_dual_fmac_f32 v117, 0x32a5705f, v115 :: v_dual_sub_f32 v116, v116, v118
	s_delay_alu instid0(VALU_DEP_1) | instskip(SKIP_1) | instid1(VALU_DEP_2)
	v_add_f32_e32 v116, v116, v117
	v_cvt_i32_f32_e32 v117, v118
	v_exp_f32_e32 v116, v116
	s_waitcnt_depctr 0xfff
	v_ldexp_f32 v116, v116, v117
	s_delay_alu instid0(VALU_DEP_1) | instskip(SKIP_1) | instid1(VALU_DEP_1)
	v_cndmask_b32_e64 v116, 0, v116, s3
	v_cmp_nlt_f32_e64 s3, 0x42b17218, v115
	v_cndmask_b32_e64 v234, 0x7f800000, v116, s3
	v_add_nc_u32_e32 v116, 0x1e00, v168
	ds_bpermute_b32 v115, v167, v234
	v_cndmask_b32_e64 v79, v79, v234, s2
	v_cndmask_b32_e64 v114, v114, v234, s1
	s_waitcnt lgkmcnt(0)
	s_delay_alu instid0(VALU_DEP_2) | instskip(NEXT) | instid1(VALU_DEP_2)
	v_cndmask_b32_e64 v79, v79, v115, s0
	v_dual_cndmask_b32 v114, v114, v115 :: v_dual_add_nc_u32 v115, 0x1c00, v168
	v_cmp_lt_i32_e32 vcc_lo, s14, v154
	s_delay_alu instid0(VALU_DEP_3) | instskip(NEXT) | instid1(VALU_DEP_3)
	v_cvt_f16_f32_e32 v79, v79
	v_cvt_f16_f32_e32 v114, v114
	s_and_b32 vcc_lo, exec_lo, vcc_lo
	s_delay_alu instid0(VALU_DEP_1)
	v_pack_b32_f16 v79, v79, v114
	v_add_nc_u32_e32 v114, 0x300, v169
	ds_load_2addr_b32 v[122:123], v114 offset0:16 offset1:224
	ds_load_2addr_b32 v[124:125], v115 offset0:132 offset1:184
	;; [unrolled: 1-line block ×3, first 2 shown]
	v_add_nc_u32_e32 v114, 0x2400, v168
	ds_load_2addr_b32 v[181:182], v114 offset0:36 offset1:88
	ds_load_b32 v235, v168 offset:9776
	v_add_nc_u32_e32 v114, 0x1800, v168
	v_add_nc_u32_e32 v115, 0x1a00, v168
	ds_load_2addr_b32 v[196:197], v119 offset0:136 offset1:188
	ds_load_2addr_b32 v[183:184], v114 offset0:128 offset1:180
	;; [unrolled: 1-line block ×3, first 2 shown]
	s_waitcnt lgkmcnt(6)
	v_perm_b32 v116, v124, v122, 0x5040100
	s_waitcnt lgkmcnt(5)
	v_perm_b32 v117, v179, v125, 0x5040100
	v_perm_b32 v118, v180, v123, 0x5040100
	s_waitcnt lgkmcnt(4)
	v_perm_b32 v120, v181, v241, 0x5040100
	s_waitcnt lgkmcnt(3)
	;; [unrolled: 2-line block ×5, first 2 shown]
	v_perm_b32 v115, v186, v185, 0x5040100
	s_delay_alu instid0(VALU_DEP_1)
	v_wmma_f16_16x16x16_f16 v[64:71], v[114:121], v[72:79], v[64:71]
	v_add_nc_u32_e32 v114, 0x300, v171
	v_add_nc_u32_e32 v115, 0x1c00, v170
	v_add_nc_u32_e32 v116, 0x1e00, v170
	ds_load_2addr_b32 v[198:199], v114 offset0:16 offset1:224
	ds_load_2addr_b32 v[200:201], v115 offset0:132 offset1:184
	;; [unrolled: 1-line block ×3, first 2 shown]
	v_add_nc_u32_e32 v114, 0x1800, v170
	v_add_nc_u32_e32 v115, 0x1a00, v170
	v_add_nc_u32_e32 v119, 0x2000, v170
	v_add_nc_u32_e32 v120, 0x2400, v170
	ds_load_2addr_b32 v[204:205], v114 offset0:128 offset1:180
	ds_load_2addr_b32 v[206:207], v115 offset0:104 offset1:156
	;; [unrolled: 1-line block ×4, first 2 shown]
	s_waitcnt lgkmcnt(5)
	v_perm_b32 v116, v200, v198, 0x5040100
	s_waitcnt lgkmcnt(4)
	v_perm_b32 v117, v202, v201, 0x5040100
	v_perm_b32 v118, v203, v199, 0x5040100
	s_waitcnt lgkmcnt(3)
	v_perm_b32 v114, v205, v204, 0x5040100
	s_waitcnt lgkmcnt(2)
	;; [unrolled: 2-line block ×4, first 2 shown]
	v_perm_b32 v120, v213, v243, 0x5040100
	v_perm_b32 v121, v175, v214, 0x5040100
	s_delay_alu instid0(VALU_DEP_1)
	v_wmma_f16_16x16x16_f16 v[56:63], v[114:121], v[72:79], v[56:63]
	v_add_nc_u32_e32 v114, 0x1800, v172
	v_add_nc_u32_e32 v116, 0x300, v173
	;; [unrolled: 1-line block ×4, first 2 shown]
	ds_load_2addr_b32 v[215:216], v114 offset0:128 offset1:180
	ds_load_2addr_b32 v[217:218], v115 offset0:104 offset1:156
	;; [unrolled: 1-line block ×4, first 2 shown]
	v_add_nc_u32_e32 v117, 0x1e00, v172
	v_add_nc_u32_e32 v119, 0x2000, v172
	v_add_nc_u32_e32 v120, 0x2400, v172
	ds_load_2addr_b32 v[223:224], v117 offset0:108 offset1:212
	ds_load_2addr_b32 v[225:226], v119 offset0:136 offset1:188
	ds_load_b32 v236, v173 offset:2496
	ds_load_2addr_b32 v[227:228], v120 offset0:36 offset1:88
	s_waitcnt lgkmcnt(0)
	s_barrier
	buffer_gl0_inv
	v_perm_b32 v114, v216, v215, 0x5040100
	v_perm_b32 v115, v218, v217, 0x5040100
	;; [unrolled: 1-line block ×8, first 2 shown]
	s_delay_alu instid0(VALU_DEP_1)
	v_wmma_f16_16x16x16_f16 v[48:55], v[114:121], v[72:79], v[48:55]
	v_perm_b32 v116, v124, v122, 0x7060302
	v_perm_b32 v117, v179, v125, 0x7060302
	;; [unrolled: 1-line block ×8, first 2 shown]
	s_delay_alu instid0(VALU_DEP_1)
	v_wmma_f16_16x16x16_f16 v[64:71], v[114:121], v[72:79], v[64:71] op_sel:[0,0,1]
	v_perm_b32 v116, v200, v198, 0x7060302
	v_perm_b32 v117, v202, v201, 0x7060302
	;; [unrolled: 1-line block ×8, first 2 shown]
	s_delay_alu instid0(VALU_DEP_1)
	v_wmma_f16_16x16x16_f16 v[56:63], v[114:121], v[72:79], v[56:63] op_sel:[0,0,1]
	v_perm_b32 v116, v221, v219, 0x7060302
	v_perm_b32 v117, v223, v222, 0x7060302
	;; [unrolled: 1-line block ×8, first 2 shown]
	s_delay_alu instid0(VALU_DEP_1) | instskip(SKIP_1) | instid1(VALU_DEP_1)
	v_wmma_f16_16x16x16_f16 v[48:55], v[114:121], v[72:79], v[48:55] op_sel:[0,0,1]
	v_add_f32_e32 v72, v187, v188
	v_dual_mov_b32 v73, v139 :: v_dual_add_f32 v72, v189, v72
	s_delay_alu instid0(VALU_DEP_1) | instskip(NEXT) | instid1(VALU_DEP_1)
	v_add_f32_e32 v72, v190, v72
	v_add_f32_e32 v72, v191, v72
	s_delay_alu instid0(VALU_DEP_1) | instskip(NEXT) | instid1(VALU_DEP_1)
	v_add_f32_e32 v72, v192, v72
	v_add_f32_e32 v72, v193, v72
	;; [unrolled: 3-line block ×6, first 2 shown]
	s_delay_alu instid0(VALU_DEP_1) | instskip(NEXT) | instid1(VALU_DEP_1)
	v_add_f32_e32 v139, v234, v72
	v_fmac_f32_e32 v139, v73, v195
	s_cbranch_vccnz .LBB14_432
.LBB14_433:
	s_lshl_b32 s8, s14, 6
	v_lshlrev_b64 v[72:73], 1, v[92:93]
	s_ashr_i32 s9, s8, 31
	v_lshlrev_b64 v[74:75], 1, v[90:91]
	s_lshl_b64 s[0:1], s[8:9], 1
	v_lshlrev_b64 v[114:115], 2, v[110:111]
	s_add_u32 s0, s27, s0
	s_addc_u32 s1, s28, s1
	v_add_co_u32 v76, s0, s0, v156
	s_delay_alu instid0(VALU_DEP_1) | instskip(SKIP_1) | instid1(VALU_DEP_2)
	v_add_co_ci_u32_e64 v77, null, s1, 0, s0
	s_mul_i32 s0, s12, s9
	v_add_co_u32 v72, vcc_lo, v76, v72
	s_mul_hi_u32 s1, s12, s8
	s_delay_alu instid0(VALU_DEP_2)
	v_add_co_ci_u32_e32 v73, vcc_lo, v77, v73, vcc_lo
	s_add_i32 s0, s1, s0
	s_mul_i32 s1, s5, s8
	v_add_co_u32 v74, vcc_lo, v76, v74
	v_add_co_ci_u32_e32 v75, vcc_lo, v77, v75, vcc_lo
	s_add_i32 s1, s0, s1
	s_mul_i32 s0, s12, s8
	v_lshlrev_b64 v[76:77], 2, v[80:81]
	s_lshl_b64 s[0:1], s[0:1], 2
	s_clause 0x1
	global_load_b32 v118, v[72:73], off
	global_load_b32 v119, v[74:75], off
	s_add_u32 s0, s15, s0
	s_addc_u32 s1, s26, s1
	v_lshlrev_b64 v[72:73], 2, v[82:83]
	v_add_co_u32 v74, vcc_lo, s0, v76
	v_add_co_ci_u32_e32 v75, vcc_lo, s1, v77, vcc_lo
	v_lshlrev_b64 v[116:117], 2, v[112:113]
	s_delay_alu instid0(VALU_DEP_3) | instskip(NEXT) | instid1(VALU_DEP_3)
	v_add_co_u32 v74, vcc_lo, v74, v114
	v_add_co_ci_u32_e32 v75, vcc_lo, v75, v115, vcc_lo
	v_add_co_u32 v76, vcc_lo, s0, v72
	v_add_co_ci_u32_e32 v77, vcc_lo, s1, v73, vcc_lo
	v_lshlrev_b64 v[72:73], 2, v[84:85]
	s_delay_alu instid0(VALU_DEP_3) | instskip(NEXT) | instid1(VALU_DEP_3)
	v_add_co_u32 v76, vcc_lo, v76, v114
	v_add_co_ci_u32_e32 v77, vcc_lo, v77, v115, vcc_lo
	v_add3_u32 v121, 0, v151, v150
	s_delay_alu instid0(VALU_DEP_4) | instskip(SKIP_2) | instid1(VALU_DEP_3)
	v_add_co_u32 v78, vcc_lo, s0, v72
	v_add_co_ci_u32_e32 v79, vcc_lo, s1, v73, vcc_lo
	v_lshlrev_b64 v[72:73], 2, v[86:87]
	v_add_co_u32 v80, vcc_lo, v78, v116
	s_delay_alu instid0(VALU_DEP_3) | instskip(SKIP_1) | instid1(VALU_DEP_3)
	v_add_co_ci_u32_e32 v81, vcc_lo, v79, v117, vcc_lo
	s_mul_hi_u32 s12, s10, s8
	v_add_co_u32 v78, vcc_lo, s0, v72
	s_delay_alu instid0(VALU_DEP_4) | instskip(SKIP_1) | instid1(VALU_DEP_3)
	v_add_co_ci_u32_e32 v79, vcc_lo, s1, v73, vcc_lo
	v_lshlrev_b64 v[72:73], 2, v[88:89]
	v_add_co_u32 v84, vcc_lo, v78, v116
	s_delay_alu instid0(VALU_DEP_3) | instskip(SKIP_1) | instid1(VALU_DEP_4)
	v_add_co_ci_u32_e32 v85, vcc_lo, v79, v117, vcc_lo
	v_lshlrev_b64 v[78:79], 2, v[94:95]
	v_add_co_u32 v72, vcc_lo, s0, v72
	v_add_co_ci_u32_e32 v73, vcc_lo, s1, v73, vcc_lo
	s_mul_i32 s14, s25, s8
	s_delay_alu instid0(VALU_DEP_3) | instskip(NEXT) | instid1(VALU_DEP_4)
	v_add_co_u32 v78, vcc_lo, s0, v78
	v_add_co_ci_u32_e32 v79, vcc_lo, s1, v79, vcc_lo
	v_add_co_u32 v88, vcc_lo, v72, v116
	v_add_co_ci_u32_e32 v89, vcc_lo, v73, v117, vcc_lo
	s_delay_alu instid0(VALU_DEP_4) | instskip(NEXT) | instid1(VALU_DEP_4)
	v_add_co_u32 v92, vcc_lo, v78, v116
	v_add_co_ci_u32_e32 v93, vcc_lo, v79, v117, vcc_lo
	s_clause 0x5
	global_load_b128 v[72:75], v[74:75], off
	global_load_b128 v[76:79], v[76:77], off
	;; [unrolled: 1-line block ×6, first 2 shown]
	v_cmp_lt_i32_e32 vcc_lo, v149, v147
	s_mov_b32 s0, 0
	v_lshlrev_b32_e32 v113, 2, v110
	s_mov_b32 s7, s0
	s_mov_b32 s1, s0
	v_cndmask_b32_e32 v122, v148, v149, vcc_lo
	s_mov_b32 s2, s0
	s_mov_b32 s3, s0
	;; [unrolled: 1-line block ×5, first 2 shown]
	v_lshlrev_b32_e32 v111, 2, v112
	v_add_nc_u32_e32 v110, v152, v155
	v_add_nc_u32_e32 v112, v152, v153
	v_dual_mov_b32 v154, s7 :: v_dual_mov_b32 v149, s2
	v_dual_mov_b32 v153, s6 :: v_dual_add_nc_u32 v120, 0, v156
	v_dual_mov_b32 v152, s5 :: v_dual_mov_b32 v147, s0
	v_dual_mov_b32 v151, s4 :: v_dual_mov_b32 v150, s3
	v_mov_b32_e32 v148, s1
	s_mul_i32 s0, s10, s9
	v_lshlrev_b64 v[123:124], 2, v[102:103]
	s_add_i32 s0, s12, s0
	s_mul_i32 s8, s10, s8
	s_add_i32 s9, s0, s14
	v_lshlrev_b64 v[108:109], 2, v[108:109]
	s_lshl_b64 s[0:1], s[8:9], 2
	v_lshlrev_b64 v[155:156], 2, v[98:99]
	s_add_u32 s0, s11, s0
	v_add3_u32 v103, 0, v136, v113
	s_addc_u32 s1, s13, s1
	v_add_co_u32 v136, vcc_lo, s0, v123
	v_lshlrev_b64 v[205:206], 2, v[104:105]
	v_add_nc_u32_e32 v105, v120, v137
	v_add_co_ci_u32_e32 v137, vcc_lo, s1, v124, vcc_lo
	v_add_nc_u32_e32 v96, v120, v135
	v_add3_u32 v104, 0, v138, v113
	v_add_co_u32 v138, vcc_lo, s0, v108
	v_add3_u32 v99, 0, v140, v111
	v_add_co_ci_u32_e32 v140, vcc_lo, s1, v109, vcc_lo
	v_lshlrev_b64 v[203:204], 2, v[100:101]
	v_add3_u32 v100, 0, v141, v111
	v_add_co_u32 v141, vcc_lo, s0, v155
	v_lshlrev_b64 v[207:208], 2, v[106:107]
	v_add3_u32 v101, 0, v142, v111
	v_add3_u32 v102, 0, v144, v111
	v_lshl_add_u32 v113, v143, 1, v121
	v_lshl_add_u32 v135, v145, 1, v121
	v_lshlrev_b32_e32 v98, 2, v122
	v_add_co_ci_u32_e32 v142, vcc_lo, s1, v156, vcc_lo
	v_cmp_eq_u32_e64 s2, 1, v127
	s_waitcnt vmcnt(7)
	ds_store_b32 v96, v118 offset:13312
	s_waitcnt vmcnt(6)
	ds_store_b32 v105, v119 offset:13312
	s_waitcnt vmcnt(5)
	ds_store_b128 v103, v[72:75]
	s_waitcnt vmcnt(4)
	ds_store_b128 v104, v[76:79]
	;; [unrolled: 2-line block ×6, first 2 shown]
	s_waitcnt lgkmcnt(0)
	s_barrier
	buffer_gl0_inv
	ds_load_b128 v[72:75], v110
	ds_load_b128 v[76:79], v110 offset:16
	ds_load_b128 v[80:83], v110 offset:32
	;; [unrolled: 1-line block ×11, first 2 shown]
	ds_load_b128 v[171:174], v112
	ds_load_b128 v[175:178], v112 offset:16
	ds_load_b128 v[179:182], v112 offset:32
	;; [unrolled: 1-line block ×11, first 2 shown]
	s_waitcnt lgkmcnt(22)
	v_wmma_f32_16x16x16_f16 v[219:226], v[72:79], v[8:15], v[147:154]
	s_waitcnt lgkmcnt(0)
	s_barrier
	buffer_gl0_inv
	v_wmma_f32_16x16x16_f16 v[219:226], v[80:87], v[0:7], v[219:226]
	ds_load_u16 v96, v113 offset:13312
	ds_load_u16 v143, v113 offset:13316
	;; [unrolled: 1-line block ×16, first 2 shown]
	v_wmma_f32_16x16x16_f16 v[147:154], v[171:178], v[8:15], v[147:154]
	v_wmma_f32_16x16x16_f16 v[219:226], v[88:95], v[16:23], v[219:226]
	s_delay_alu instid0(VALU_DEP_2) | instskip(NEXT) | instid1(VALU_DEP_2)
	v_wmma_f32_16x16x16_f16 v[147:154], v[179:186], v[0:7], v[147:154]
	v_wmma_f32_16x16x16_f16 v[219:226], v[118:125], v[24:31], v[219:226]
	s_delay_alu instid0(VALU_DEP_2) | instskip(NEXT) | instid1(VALU_DEP_2)
	v_wmma_f32_16x16x16_f16 v[147:154], v[187:194], v[16:23], v[147:154]
	v_wmma_f32_16x16x16_f16 v[219:226], v[155:162], v[32:39], v[219:226]
	s_waitcnt lgkmcnt(15)
	v_cvt_f32_f16_e32 v8, v96
	s_waitcnt lgkmcnt(14)
	v_cvt_f32_f16_e64 v9, v143
	s_waitcnt lgkmcnt(13)
	v_cvt_f32_f16_e64 v10, v144
	v_wmma_f32_16x16x16_f16 v[147:154], v[195:202], v[24:31], v[147:154]
	s_waitcnt lgkmcnt(9)
	v_cvt_f32_f16_e64 v1, v229
	v_wmma_f32_16x16x16_f16 v[219:226], v[163:170], v[40:47], v[219:226]
	v_cvt_f32_f16_e64 v11, v145
	v_cvt_f32_f16_e64 v12, v227
	v_wmma_f32_16x16x16_f16 v[147:154], v[211:218], v[32:39], v[147:154]
	s_waitcnt lgkmcnt(7)
	v_cvt_f32_f16_e32 v3, v72
	v_dual_add_f32 v16, v219, v8 :: v_dual_add_f32 v21, v225, v1
	v_add_f32_e32 v17, v220, v9
	v_wmma_f32_16x16x16_f16 v[147:154], v[105:112], v[40:47], v[147:154]
	v_cvt_f32_f16_e64 v0, v228
	s_delay_alu instid0(VALU_DEP_4) | instskip(NEXT) | instid1(VALU_DEP_4)
	v_dual_add_f32 v19, v222, v11 :: v_dual_add_f32 v8, 0x40051340, v16
	v_add_f32_e32 v9, 0x40051340, v17
	s_delay_alu instid0(VALU_DEP_4)
	v_add_f32_e32 v23, v147, v3
	v_dual_add_f32 v12, v223, v12 :: v_dual_add_f32 v3, 0x40051340, v21
	v_add_f32_e32 v18, v221, v10
	v_cvt_f32_f16_e32 v2, v113
	s_waitcnt lgkmcnt(5)
	v_cvt_f32_f16_e32 v5, v74
	v_add_f32_e32 v1, 0x40051340, v12
	s_waitcnt lgkmcnt(2)
	v_cvt_f32_f16_e32 v13, v77
	v_add_f32_e32 v20, v224, v0
	v_add_f32_e32 v0, 0x40051340, v18
	;; [unrolled: 1-line block ×3, first 2 shown]
	v_max3_f32 v8, v146, v8, v9
	v_add_f32_e32 v13, v152, v13
	v_cvt_f32_f16_e32 v4, v73
	v_cvt_f32_f16_e32 v7, v76
	v_add_f32_e32 v22, v226, v2
	v_max3_f32 v0, v8, v0, v10
	v_dual_add_f32 v25, v149, v5 :: v_dual_add_f32 v2, 0x40051340, v20
	v_cvt_f32_f16_e32 v6, v75
	s_waitcnt lgkmcnt(1)
	v_cvt_f32_f16_e32 v14, v78
	s_waitcnt lgkmcnt(0)
	v_cvt_f32_f16_e32 v15, v79
	v_add_f32_e32 v24, v148, v4
	v_max3_f32 v0, v0, v1, v2
	v_dual_add_f32 v27, v151, v7 :: v_dual_add_f32 v4, 0x40051340, v22
	v_dual_add_f32 v26, v150, v6 :: v_dual_add_f32 v1, 0x40051340, v23
	v_dual_add_f32 v14, v153, v14 :: v_dual_add_f32 v15, v154, v15
	v_add_f32_e32 v2, 0x40051340, v24
	s_delay_alu instid0(VALU_DEP_4) | instskip(NEXT) | instid1(VALU_DEP_4)
	v_max3_f32 v0, v0, v3, v4
	v_dual_add_f32 v3, 0x40051340, v25 :: v_dual_add_f32 v4, 0x40051340, v26
	v_add_co_u32 v6, vcc_lo, s0, v203
	s_delay_alu instid0(VALU_DEP_3) | instskip(SKIP_2) | instid1(VALU_DEP_3)
	v_max3_f32 v0, v0, v1, v2
	v_dual_add_f32 v1, 0x40051340, v27 :: v_dual_add_f32 v2, 0x40051340, v13
	v_add_co_ci_u32_e32 v7, vcc_lo, s1, v204, vcc_lo
	v_max3_f32 v0, v0, v3, v4
	v_add_co_u32 v8, vcc_lo, s0, v205
	v_dual_add_f32 v3, 0x40051340, v14 :: v_dual_add_f32 v4, 0x40051340, v15
	s_delay_alu instid0(VALU_DEP_3) | instskip(SKIP_3) | instid1(VALU_DEP_4)
	v_max3_f32 v0, v0, v1, v2
	v_add_co_ci_u32_e32 v9, vcc_lo, s1, v206, vcc_lo
	v_add_co_u32 v10, vcc_lo, s0, v207
	v_add_co_ci_u32_e32 v11, vcc_lo, s1, v208, vcc_lo
	v_max3_f32 v28, v0, v3, v4
	v_add_co_u32 v0, vcc_lo, v136, v114
	v_add_co_ci_u32_e32 v1, vcc_lo, v137, v115, vcc_lo
	v_add_co_u32 v2, vcc_lo, v138, v114
	v_add_co_ci_u32_e32 v3, vcc_lo, v140, v115, vcc_lo
	s_clause 0x1
	global_load_b128 v[30:33], v[0:1], off
	global_load_b128 v[34:37], v[2:3], off
	v_add_co_u32 v4, vcc_lo, v141, v116
	v_add_co_ci_u32_e32 v5, vcc_lo, v142, v117, vcc_lo
	v_add_co_u32 v6, vcc_lo, v6, v116
	v_add_co_ci_u32_e32 v7, vcc_lo, v7, v117, vcc_lo
	;; [unrolled: 2-line block ×4, first 2 shown]
	s_clause 0x3
	global_load_b128 v[38:41], v[4:5], off
	global_load_b128 v[42:45], v[6:7], off
	;; [unrolled: 1-line block ×4, first 2 shown]
	ds_bpermute_b32 v29, v98, v28
	v_cmp_eq_u32_e64 s0, 1, v97
	v_cmp_eq_u32_e64 s1, 0, v127
	s_waitcnt vmcnt(5)
	ds_store_b128 v103, v[30:33]
	s_waitcnt vmcnt(4)
	ds_store_b128 v104, v[34:37]
	s_waitcnt lgkmcnt(2)
	v_dual_max_f32 v29, v29, v29 :: v_dual_add_nc_u32 v30, 0, v134
	s_waitcnt vmcnt(3)
	ds_store_b128 v99, v[38:41]
	s_waitcnt vmcnt(2)
	ds_store_b128 v100, v[42:45]
	;; [unrolled: 2-line block ×4, first 2 shown]
	v_max_f32_e32 v80, v28, v29
	v_add_nc_u32_e32 v72, v30, v128
	s_waitcnt lgkmcnt(0)
	s_barrier
	buffer_gl0_inv
	v_sub_f32_e32 v0, v16, v80
	v_sub_f32_e32 v1, v17, v80
	s_delay_alu instid0(VALU_DEP_2) | instskip(SKIP_4) | instid1(VALU_DEP_4)
	v_mul_f32_e32 v17, 0x3fb8aa3b, v0
	v_sub_f32_e32 v3, v19, v80
	v_sub_f32_e32 v5, v20, v80
	;; [unrolled: 1-line block ×4, first 2 shown]
	v_dual_sub_f32 v9, v24, v80 :: v_dual_mul_f32 v20, 0x3fb8aa3b, v3
	v_sub_f32_e32 v15, v15, v80
	v_rndne_f32_e32 v84, v17
	s_delay_alu instid0(VALU_DEP_4)
	v_mul_f32_e32 v24, 0x3fb8aa3b, v7
	v_sub_f32_e32 v8, v23, v80
	v_fma_f32 v89, 0x3fb8aa3b, v3, -v20
	v_dual_mul_f32 v81, 0x3fb8aa3b, v15 :: v_dual_sub_f32 v14, v14, v80
	v_rndne_f32_e32 v90, v20
	v_mul_f32_e32 v28, 0x3fb8aa3b, v11
	s_delay_alu instid0(VALU_DEP_4) | instskip(NEXT) | instid1(VALU_DEP_4)
	v_dual_fmac_f32 v89, 0x32a5705f, v3 :: v_dual_sub_f32 v6, v21, v80
	v_dual_mul_f32 v47, 0x3fb8aa3b, v14 :: v_dual_sub_f32 v2, v18, v80
	v_mul_f32_e32 v18, 0x3fb8aa3b, v1
	v_sub_f32_e32 v20, v20, v90
	s_delay_alu instid0(VALU_DEP_4)
	v_mul_f32_e32 v23, 0x3fb8aa3b, v6
	v_dual_sub_f32 v13, v13, v80 :: v_dual_mul_f32 v22, 0x3fb8aa3b, v5
	v_mul_f32_e32 v19, 0x3fb8aa3b, v2
	v_fma_f32 v83, 0x3fb8aa3b, v0, -v17
	v_fma_f32 v85, 0x3fb8aa3b, v1, -v18
	v_sub_f32_e32 v10, v25, v80
	v_mul_f32_e32 v25, 0x3fb8aa3b, v8
	v_rndne_f32_e32 v86, v18
	v_fmac_f32_e32 v83, 0x32a5705f, v0
	v_sub_f32_e32 v17, v17, v84
	v_fmac_f32_e32 v85, 0x32a5705f, v1
	v_fma_f32 v107, 0x3fb8aa3b, v8, -v25
	v_sub_f32_e32 v18, v18, v86
	s_delay_alu instid0(VALU_DEP_4) | instskip(SKIP_2) | instid1(VALU_DEP_4)
	v_dual_sub_f32 v4, v12, v80 :: v_dual_add_f32 v17, v17, v83
	v_fma_f32 v87, 0x3fb8aa3b, v2, -v19
	v_sub_f32_e32 v12, v27, v80
	v_dual_fmac_f32 v107, 0x32a5705f, v8 :: v_dual_add_f32 v18, v18, v85
	s_delay_alu instid0(VALU_DEP_4)
	v_exp_f32_e32 v17, v17
	v_mul_f32_e32 v46, 0x3fb8aa3b, v13
	v_cvt_i32_f32_e32 v84, v84
	v_fmac_f32_e32 v87, 0x32a5705f, v2
	v_mul_f32_e32 v29, 0x3fb8aa3b, v12
	v_exp_f32_e32 v18, v18
	v_fma_f32 v105, 0x3fb8aa3b, v7, -v24
	v_fma_f32 v117, 0x3fb8aa3b, v13, -v46
	v_rndne_f32_e32 v118, v46
	v_cvt_i32_f32_e32 v86, v86
	v_ldexp_f32 v17, v17, v84
	v_cmp_ngt_f32_e32 vcc_lo, 0xc2ce8ed0, v0
	v_rndne_f32_e32 v116, v29
	v_dual_fmac_f32 v105, 0x32a5705f, v7 :: v_dual_sub_f32 v46, v46, v118
	s_delay_alu instid0(TRANS32_DEP_1)
	v_ldexp_f32 v18, v18, v86
	v_cndmask_b32_e32 v17, 0, v17, vcc_lo
	v_cmp_ngt_f32_e32 vcc_lo, 0xc2ce8ed0, v1
	v_fmac_f32_e32 v117, 0x32a5705f, v13
	v_fma_f32 v115, 0x3fb8aa3b, v12, -v29
	v_rndne_f32_e32 v88, v19
	v_mul_f32_e32 v27, 0x3fb8aa3b, v10
	v_dual_cndmask_b32 v18, 0, v18 :: v_dual_sub_f32 v29, v29, v116
	v_dual_add_f32 v46, v46, v117 :: v_dual_mul_f32 v21, 0x3fb8aa3b, v4
	v_mul_f32_e32 v26, 0x3fb8aa3b, v9
	v_rndne_f32_e32 v94, v22
	v_sub_f32_e32 v19, v19, v88
	s_delay_alu instid0(VALU_DEP_4)
	v_exp_f32_e32 v46, v46
	v_cvt_i32_f32_e32 v118, v118
	v_fma_f32 v91, 0x3fb8aa3b, v4, -v21
	v_rndne_f32_e32 v92, v21
	v_fma_f32 v93, 0x3fb8aa3b, v5, -v22
	v_sub_f32_e32 v22, v22, v94
	v_rndne_f32_e32 v108, v25
	v_sub_f32_e32 v16, v146, v80
	v_rndne_f32_e32 v106, v24
	v_fmac_f32_e32 v93, 0x32a5705f, v5
	v_ldexp_f32 v46, v46, v118
	v_add_f32_e32 v19, v19, v87
	v_rndne_f32_e32 v110, v26
	v_dual_fmac_f32 v91, 0x32a5705f, v4 :: v_dual_sub_f32 v24, v24, v106
	v_sub_f32_e32 v21, v21, v92
	v_dual_sub_f32 v25, v25, v108 :: v_dual_add_f32 v20, v20, v89
	v_exp_f32_e32 v19, v19
	v_fma_f32 v95, 0x3fb8aa3b, v6, -v23
	v_rndne_f32_e32 v96, v23
	v_fma_f32 v109, 0x3fb8aa3b, v9, -v26
	v_fma_f32 v111, 0x3fb8aa3b, v10, -v27
	v_rndne_f32_e32 v122, v81
	v_mul_f32_e32 v82, 0x3fb8aa3b, v16
	v_cvt_i32_f32_e32 v88, v88
	v_dual_sub_f32 v26, v26, v110 :: v_dual_add_f32 v21, v21, v91
	v_exp_f32_e32 v20, v20
	v_rndne_f32_e32 v114, v28
	v_fma_f32 v121, 0x3fb8aa3b, v15, -v81
	v_cvt_i32_f32_e32 v90, v90
	v_sub_f32_e32 v23, v23, v96
	v_dual_fmac_f32 v111, 0x32a5705f, v10 :: v_dual_add_f32 v22, v22, v93
	v_sub_f32_e32 v81, v81, v122
	v_rndne_f32_e32 v124, v82
	v_fmac_f32_e32 v95, 0x32a5705f, v6
	v_exp_f32_e32 v21, v21
	v_ldexp_f32 v19, v19, v88
	v_cmp_ngt_f32_e32 vcc_lo, 0xc2ce8ed0, v2
	v_rndne_f32_e32 v112, v27
	v_fma_f32 v113, 0x3fb8aa3b, v11, -v28
	v_fma_f32 v119, 0x3fb8aa3b, v14, -v47
	v_fma_f32 v123, 0x3fb8aa3b, v16, -v82
	v_sub_f32_e32 v82, v82, v124
	v_cvt_i32_f32_e32 v92, v92
	v_dual_sub_f32 v28, v28, v114 :: v_dual_add_f32 v23, v23, v95
	v_exp_f32_e32 v22, v22
	v_ldexp_f32 v20, v20, v90
	v_cndmask_b32_e32 v19, 0, v19, vcc_lo
	v_cmp_ngt_f32_e32 vcc_lo, 0xc2ce8ed0, v3
	v_cvt_i32_f32_e32 v94, v94
	v_dual_sub_f32 v27, v27, v112 :: v_dual_add_f32 v24, v24, v105
	v_dual_fmac_f32 v119, 0x32a5705f, v14 :: v_dual_cndmask_b32 v20, 0, v20
	v_exp_f32_e32 v23, v23
	v_ldexp_f32 v21, v21, v92
	v_cmp_ngt_f32_e32 vcc_lo, 0xc2ce8ed0, v4
	v_rndne_f32_e32 v120, v47
	v_cvt_i32_f32_e32 v96, v96
	v_exp_f32_e32 v24, v24
	v_ldexp_f32 v22, v22, v94
	v_cndmask_b32_e32 v21, 0, v21, vcc_lo
	v_add_f32_e32 v25, v25, v107
	v_cmp_ngt_f32_e32 vcc_lo, 0xc2ce8ed0, v5
	v_cvt_i32_f32_e32 v106, v106
	v_sub_f32_e32 v47, v47, v120
	v_ldexp_f32 v23, v23, v96
	v_exp_f32_e32 v25, v25
	v_cndmask_b32_e32 v22, 0, v22, vcc_lo
	v_cmp_ngt_f32_e32 vcc_lo, 0xc2ce8ed0, v6
	v_cvt_i32_f32_e32 v108, v108
	v_ldexp_f32 v24, v24, v106
	v_cvt_i32_f32_e32 v110, v110
	v_cvt_i32_f32_e32 v112, v112
	v_cndmask_b32_e32 v23, 0, v23, vcc_lo
	v_cmp_ngt_f32_e32 vcc_lo, 0xc2ce8ed0, v7
	v_fmac_f32_e32 v121, 0x32a5705f, v15
	v_ldexp_f32 v25, v25, v108
	v_cvt_i32_f32_e32 v114, v114
	v_cvt_i32_f32_e32 v116, v116
	v_cndmask_b32_e32 v24, 0, v24, vcc_lo
	v_cmp_ngt_f32_e32 vcc_lo, 0xc2ce8ed0, v8
	v_add_f32_e32 v27, v27, v111
	v_add_f32_e32 v81, v81, v121
	v_cvt_i32_f32_e32 v120, v120
	v_cvt_i32_f32_e32 v122, v122
	v_cndmask_b32_e32 v25, 0, v25, vcc_lo
	v_cmp_ngt_f32_e32 vcc_lo, 0xc2ce8ed0, v9
	v_fmac_f32_e32 v123, 0x32a5705f, v16
	v_fmac_f32_e32 v109, 0x32a5705f, v9
	v_exp_f32_e32 v27, v27
	v_exp_f32_e32 v81, v81
	v_cvt_i32_f32_e32 v124, v124
	v_add_f32_e32 v82, v82, v123
	v_dual_fmac_f32 v113, 0x32a5705f, v11 :: v_dual_add_f32 v26, v26, v109
	v_fmac_f32_e32 v115, 0x32a5705f, v12
	v_add_nc_u32_e32 v121, 0x400, v72
	s_delay_alu instid0(VALU_DEP_4) | instskip(NEXT) | instid1(VALU_DEP_3)
	v_exp_f32_e32 v82, v82
	v_add_f32_e32 v28, v28, v113
	v_exp_f32_e32 v26, v26
	v_ldexp_f32 v27, v27, v112
	v_ldexp_f32 v81, v81, v122
	v_lshlrev_b32_e32 v113, 2, v131
	v_exp_f32_e32 v28, v28
	v_add_nc_u32_e32 v123, 0x800, v72
	s_delay_alu instid0(TRANS32_DEP_3) | instskip(NEXT) | instid1(VALU_DEP_3)
	v_ldexp_f32 v82, v82, v124
	v_add_nc_u32_e32 v143, v30, v113
	s_delay_alu instid0(TRANS32_DEP_2) | instskip(SKIP_4) | instid1(VALU_DEP_2)
	v_ldexp_f32 v26, v26, v110
	s_waitcnt_depctr 0xfff
	v_ldexp_f32 v28, v28, v114
	v_dual_cndmask_b32 v26, 0, v26 :: v_dual_add_f32 v29, v29, v115
	v_cmp_ngt_f32_e32 vcc_lo, 0xc2ce8ed0, v10
	v_exp_f32_e32 v29, v29
	v_cndmask_b32_e32 v27, 0, v27, vcc_lo
	v_cmp_ngt_f32_e32 vcc_lo, 0xc2ce8ed0, v11
	v_dual_cndmask_b32 v28, 0, v28 :: v_dual_add_f32 v47, v47, v119
	v_cmp_ngt_f32_e32 vcc_lo, 0xc2ce8ed0, v12
	s_waitcnt_depctr 0xfff
	v_ldexp_f32 v29, v29, v116
	v_exp_f32_e32 v47, v47
	s_delay_alu instid0(VALU_DEP_1)
	v_cndmask_b32_e32 v29, 0, v29, vcc_lo
	v_cmp_ngt_f32_e32 vcc_lo, 0xc2ce8ed0, v13
	v_cndmask_b32_e32 v46, 0, v46, vcc_lo
	v_cmp_ngt_f32_e32 vcc_lo, 0xc2ce8ed0, v14
	s_waitcnt_depctr 0xfff
	v_ldexp_f32 v47, v47, v120
	s_delay_alu instid0(VALU_DEP_1)
	v_cndmask_b32_e32 v47, 0, v47, vcc_lo
	v_cmp_ngt_f32_e32 vcc_lo, 0xc2ce8ed0, v15
	v_cndmask_b32_e32 v81, 0, v81, vcc_lo
	v_cmp_nlt_f32_e32 vcc_lo, 0x42b17218, v0
	v_cndmask_b32_e32 v17, 0x7f800000, v17, vcc_lo
	v_cmp_nlt_f32_e32 vcc_lo, 0x42b17218, v1
	v_cndmask_b32_e32 v18, 0x7f800000, v18, vcc_lo
	v_cmp_ngt_f32_e32 vcc_lo, 0xc2ce8ed0, v16
	v_cndmask_b32_e32 v0, 0, v82, vcc_lo
	v_cmp_nlt_f32_e32 vcc_lo, 0x42b17218, v2
	v_cndmask_b32_e32 v82, 0x7f800000, v19, vcc_lo
	v_cmp_nlt_f32_e32 vcc_lo, 0x42b17218, v3
	v_cndmask_b32_e32 v83, 0x7f800000, v20, vcc_lo
	v_cmp_nlt_f32_e32 vcc_lo, 0x42b17218, v4
	ds_bpermute_b32 v20, v98, v18
	ds_bpermute_b32 v88, v98, v83
	v_cndmask_b32_e32 v84, 0x7f800000, v21, vcc_lo
	v_cmp_nlt_f32_e32 vcc_lo, 0x42b17218, v5
	v_cndmask_b32_e32 v85, 0x7f800000, v22, vcc_lo
	v_cmp_nlt_f32_e32 vcc_lo, 0x42b17218, v6
	v_add_f32_e32 v1, v17, v18
	ds_bpermute_b32 v22, v98, v82
	v_cndmask_b32_e32 v86, 0x7f800000, v23, vcc_lo
	v_cmp_nlt_f32_e32 vcc_lo, 0x42b17218, v7
	v_cndmask_b32_e32 v24, 0x7f800000, v24, vcc_lo
	v_cmp_nlt_f32_e32 vcc_lo, 0x42b17218, v8
	;; [unrolled: 2-line block ×7, first 2 shown]
	v_dual_add_f32 v1, v82, v1 :: v_dual_cndmask_b32 v46, 0x7f800000, v46
	v_cmp_nlt_f32_e32 vcc_lo, 0x42b17218, v16
	s_delay_alu instid0(VALU_DEP_2) | instskip(SKIP_1) | instid1(VALU_DEP_2)
	v_dual_add_f32 v1, v83, v1 :: v_dual_cndmask_b32 v0, 0x7f800000, v0
	v_cmp_nlt_f32_e32 vcc_lo, 0x42b17218, v14
	v_add_f32_e32 v1, v84, v1
	v_cndmask_b32_e32 v47, 0x7f800000, v47, vcc_lo
	v_cmp_le_f32_e32 vcc_lo, 0xc1a00000, v16
	v_cndmask_b32_e32 v19, 0, v0, vcc_lo
	v_cmp_nlt_f32_e32 vcc_lo, 0x42b17218, v15
	ds_bpermute_b32 v15, v98, v17
	v_cvt_f16_f32_e32 v23, v19
	v_cndmask_b32_e32 v87, 0x7f800000, v81, vcc_lo
	v_cmp_eq_u32_e32 vcc_lo, 0, v97
	v_lshlrev_b32_e32 v97, 2, v132
	s_delay_alu instid0(VALU_DEP_4) | instskip(SKIP_2) | instid1(VALU_DEP_4)
	v_pk_mul_f16 v8, v23, v56 op_sel_hi:[0,1]
	v_pk_mul_f16 v10, v23, v58 op_sel_hi:[0,1]
	;; [unrolled: 1-line block ×3, first 2 shown]
	v_add_nc_u32_e32 v142, v30, v97
	v_add_f32_e32 v1, v85, v1
	v_pk_mul_f16 v2, v23, v66 op_sel_hi:[0,1]
	v_pk_mul_f16 v3, v23, v67 op_sel_hi:[0,1]
	;; [unrolled: 1-line block ×4, first 2 shown]
	v_add_f32_e32 v1, v86, v1
	v_pk_mul_f16 v7, v23, v71 op_sel_hi:[0,1]
	v_pk_mul_f16 v11, v23, v59 op_sel_hi:[0,1]
	s_waitcnt lgkmcnt(0)
	v_cndmask_b32_e32 v56, v17, v15, vcc_lo
	v_pk_mul_f16 v12, v23, v60 op_sel_hi:[0,1]
	v_add_f32_e32 v1, v24, v1
	v_pk_mul_f16 v14, v23, v62 op_sel_hi:[0,1]
	ds_bpermute_b32 v59, v98, v86
	v_add_f32_e32 v0, v25, v1
	s_delay_alu instid0(VALU_DEP_1) | instskip(SKIP_1) | instid1(VALU_DEP_2)
	v_add_f32_e32 v1, v26, v0
	v_pk_mul_f16 v0, v23, v64 op_sel_hi:[0,1]
	v_add_f32_e32 v5, v27, v1
	v_pk_mul_f16 v1, v23, v65 op_sel_hi:[0,1]
	s_delay_alu instid0(VALU_DEP_2) | instskip(SKIP_1) | instid1(VALU_DEP_2)
	v_add_f32_e32 v9, v28, v5
	v_pk_mul_f16 v5, v23, v69 op_sel_hi:[0,1]
	v_add_f32_e32 v13, v29, v9
	v_pk_mul_f16 v9, v23, v57 op_sel_hi:[0,1]
	v_cndmask_b32_e64 v57, v17, v15, s0
	v_cndmask_b32_e64 v17, v56, v18, s1
	v_pk_mul_f16 v15, v23, v63 op_sel_hi:[0,1]
	v_add_f32_e32 v16, v46, v13
	v_pk_mul_f16 v13, v23, v61 op_sel_hi:[0,1]
	v_cndmask_b32_e64 v18, v57, v18, s2
	v_cvt_f16_f32_e32 v53, v57
	s_delay_alu instid0(VALU_DEP_4) | instskip(NEXT) | instid1(VALU_DEP_3)
	v_add_f32_e32 v16, v47, v16
	v_cndmask_b32_e64 v58, v18, v20, s0
	v_pk_mul_f16 v18, v23, v50 op_sel_hi:[0,1]
	s_delay_alu instid0(VALU_DEP_3)
	v_add_f32_e32 v81, v87, v16
	v_pk_mul_f16 v16, v23, v48 op_sel_hi:[0,1]
	v_cndmask_b32_e32 v48, v17, v20, vcc_lo
	v_pk_mul_f16 v17, v23, v49 op_sel_hi:[0,1]
	v_cndmask_b32_e64 v50, v58, v82, s2
	v_fmac_f32_e32 v81, v139, v19
	v_pk_mul_f16 v19, v23, v51 op_sel_hi:[0,1]
	v_cndmask_b32_e64 v49, v48, v82, s1
	ds_bpermute_b32 v51, v98, v84
	v_cndmask_b32_e64 v50, v50, v22, s0
	v_pk_mul_f16 v20, v23, v52 op_sel_hi:[0,1]
	v_cvt_f16_f32_e32 v52, v56
	v_cndmask_b32_e32 v49, v49, v22, vcc_lo
	v_pk_mul_f16 v22, v23, v54 op_sel_hi:[0,1]
	v_cndmask_b32_e64 v56, v50, v83, s2
	v_pk_mul_f16 v23, v23, v55 op_sel_hi:[0,1]
	v_pack_b32_f16 v64, v52, v53
	v_cndmask_b32_e64 v54, v49, v83, s1
	ds_bpermute_b32 v55, v98, v85
	v_cndmask_b32_e64 v53, v56, v88, s0
	ds_bpermute_b32 v56, v98, v25
	v_cvt_f16_f32_e32 v48, v48
	v_cndmask_b32_e32 v52, v54, v88, vcc_lo
	v_cvt_f16_f32_e32 v54, v58
	v_cndmask_b32_e64 v58, v53, v84, s2
	v_cvt_f16_f32_e32 v53, v53
	s_delay_alu instid0(VALU_DEP_4) | instskip(NEXT) | instid1(VALU_DEP_4)
	v_cndmask_b32_e64 v57, v52, v84, s1
	v_pack_b32_f16 v65, v48, v54
	v_cvt_f16_f32_e32 v48, v49
	v_cvt_f16_f32_e32 v49, v50
	ds_bpermute_b32 v54, v98, v26
	s_waitcnt lgkmcnt(3)
	v_cndmask_b32_e32 v50, v57, v51, vcc_lo
	v_cndmask_b32_e64 v51, v58, v51, s0
	v_cvt_f16_f32_e32 v52, v52
	v_pack_b32_f16 v66, v48, v49
	v_lshlrev_b32_e32 v84, 2, v133
	v_cvt_f16_f32_e32 v57, v50
	v_cndmask_b32_e64 v50, v50, v85, s1
	v_cvt_f16_f32_e32 v58, v51
	v_cndmask_b32_e64 v48, v51, v85, s2
	ds_bpermute_b32 v51, v98, v27
	v_pack_b32_f16 v67, v52, v53
	s_waitcnt lgkmcnt(3)
	v_cndmask_b32_e32 v49, v50, v55, vcc_lo
	s_waitcnt lgkmcnt(2)
	v_cndmask_b32_e64 v50, v25, v56, s0
	v_cndmask_b32_e32 v25, v25, v56, vcc_lo
	v_pack_b32_f16 v68, v57, v58
	v_cndmask_b32_e64 v48, v48, v55, s0
	ds_bpermute_b32 v52, v98, v24
	v_cndmask_b32_e64 v53, v50, v26, s2
	v_cndmask_b32_e64 v26, v25, v26, s1
	ds_bpermute_b32 v57, v98, v28
	v_cvt_f16_f32_e32 v55, v49
	v_cvt_f16_f32_e32 v56, v48
	s_waitcnt lgkmcnt(3)
	v_cndmask_b32_e64 v53, v53, v54, s0
	v_cndmask_b32_e32 v26, v26, v54, vcc_lo
	v_cndmask_b32_e64 v49, v49, v86, s1
	v_cndmask_b32_e64 v48, v48, v86, s2
	v_pack_b32_f16 v69, v55, v56
	v_cndmask_b32_e64 v54, v53, v27, s2
	v_cndmask_b32_e64 v27, v26, v27, s1
	v_cndmask_b32_e32 v49, v49, v59, vcc_lo
	v_cndmask_b32_e64 v48, v48, v59, s0
	ds_bpermute_b32 v56, v98, v29
	s_waitcnt lgkmcnt(3)
	v_cndmask_b32_e64 v54, v54, v51, s0
	v_cndmask_b32_e32 v27, v27, v51, vcc_lo
	v_cvt_f16_f32_e32 v55, v49
	v_cndmask_b32_e64 v49, v49, v24, s1
	v_cndmask_b32_e64 v24, v48, v24, s2
	v_cndmask_b32_e64 v51, v54, v28, s2
	v_cndmask_b32_e64 v28, v27, v28, s1
	v_cvt_f16_f32_e32 v48, v48
	s_waitcnt lgkmcnt(2)
	v_cndmask_b32_e32 v49, v49, v52, vcc_lo
	v_cndmask_b32_e64 v24, v24, v52, s0
	s_waitcnt lgkmcnt(1)
	v_cndmask_b32_e64 v51, v51, v57, s0
	ds_bpermute_b32 v52, v98, v46
	v_cndmask_b32_e32 v28, v28, v57, vcc_lo
	v_cvt_f16_f32_e32 v49, v49
	v_cvt_f16_f32_e32 v24, v24
	v_cndmask_b32_e64 v57, v51, v29, s2
	v_cvt_f16_f32_e32 v25, v25
	v_cndmask_b32_e64 v29, v28, v29, s1
	v_cvt_f16_f32_e32 v50, v50
	v_pack_b32_f16 v70, v55, v48
	v_pack_b32_f16 v71, v49, v24
	s_waitcnt lgkmcnt(1)
	v_cndmask_b32_e64 v48, v57, v56, s0
	ds_bpermute_b32 v49, v98, v47
	v_cndmask_b32_e32 v29, v29, v56, vcc_lo
	v_pack_b32_f16 v24, v25, v50
	v_cvt_f16_f32_e32 v25, v26
	v_cvt_f16_f32_e32 v26, v53
	v_cndmask_b32_e64 v50, v48, v46, s2
	v_cvt_f16_f32_e32 v27, v27
	v_cvt_f16_f32_e32 v53, v54
	v_cndmask_b32_e64 v46, v29, v46, s1
	v_pack_b32_f16 v25, v25, v26
	s_waitcnt lgkmcnt(1)
	v_cndmask_b32_e64 v50, v50, v52, s0
	ds_bpermute_b32 v55, v98, v87
	v_pack_b32_f16 v26, v27, v53
	v_cndmask_b32_e32 v27, v46, v52, vcc_lo
	v_cvt_f16_f32_e32 v46, v51
	v_cndmask_b32_e64 v51, v50, v47, s2
	v_cvt_f16_f32_e32 v28, v28
	v_cvt_f16_f32_e32 v29, v29
	v_cndmask_b32_e64 v47, v27, v47, s1
	v_cvt_f16_f32_e32 v48, v48
	v_cvt_f16_f32_e32 v52, v27
	v_pack_b32_f16 v27, v28, v46
	s_waitcnt lgkmcnt(1)
	v_cndmask_b32_e64 v51, v51, v49, s0
	v_cndmask_b32_e32 v47, v47, v49, vcc_lo
	v_pack_b32_f16 v28, v29, v48
	v_cvt_f16_f32_e32 v50, v50
	v_add_nc_u32_e32 v125, v30, v84
	v_cndmask_b32_e64 v46, v51, v87, s2
	v_cvt_f16_f32_e32 v56, v47
	v_cndmask_b32_e64 v82, v47, v87, s1
	ds_load_2addr_b32 v[47:48], v72 offset1:16
	ds_load_2addr_b32 v[73:74], v72 offset0:32 offset1:52
	v_pack_b32_f16 v29, v52, v50
	v_cvt_f16_f32_e32 v63, v51
	ds_load_2addr_b32 v[49:50], v72 offset0:104 offset1:120
	ds_load_2addr_b32 v[75:76], v72 offset0:136 offset1:156
	ds_load_2addr_b32 v[51:52], v125 offset1:16
	ds_load_2addr_b32 v[53:54], v121 offset0:4 offset1:20
	ds_load_2addr_b32 v[77:78], v121 offset0:36 offset1:56
	;; [unrolled: 1-line block ×3, first 2 shown]
	ds_load_2addr_b32 v[59:60], v142 offset1:16
	ds_load_2addr_b32 v[85:86], v121 offset0:140 offset1:212
	ds_load_2addr_b32 v[61:62], v123 offset0:8 offset1:24
	;; [unrolled: 1-line block ×3, first 2 shown]
	s_waitcnt lgkmcnt(12)
	v_dual_cndmask_b32 v31, v82, v55 :: v_dual_add_nc_u32 v30, 0xc00, v72
	ds_load_2addr_b32 v[82:83], v143 offset1:16
	ds_load_2addr_b32 v[89:90], v123 offset0:164 offset1:180
	ds_load_2addr_b32 v[91:92], v123 offset0:196 offset1:216
	;; [unrolled: 1-line block ×3, first 2 shown]
	v_cndmask_b32_e64 v46, v46, v55, s0
	v_pack_b32_f16 v30, v56, v63
	v_cmp_gt_u32_e32 vcc_lo, 16, v209
	v_cvt_f16_f32_e32 v55, v31
	s_delay_alu instid0(VALU_DEP_4)
	v_cvt_f16_f32_e32 v56, v46
	s_waitcnt lgkmcnt(14)
	v_perm_b32 v31, v74, v47, 0x5040100
	v_perm_b32 v39, v74, v47, 0x7060302
	v_add_nc_u32_e32 v47, 0, v130
	s_waitcnt lgkmcnt(12)
	v_perm_b32 v32, v76, v49, 0x5040100
	v_perm_b32 v40, v76, v49, 0x7060302
	s_waitcnt lgkmcnt(8)
	v_perm_b32 v34, v57, v78, 0x5040100
	v_perm_b32 v42, v57, v78, 0x7060302
	v_add_nc_u32_e32 v63, v47, v128
	v_add_nc_u32_e32 v74, v47, v84
	s_waitcnt lgkmcnt(4)
	v_perm_b32 v36, v88, v61, 0x5040100
	v_perm_b32 v44, v88, v61, 0x7060302
	s_waitcnt lgkmcnt(2)
	v_perm_b32 v37, v89, v82, 0x5040100
	v_add_nc_u32_e32 v76, 0x400, v63
	v_perm_b32 v45, v89, v82, 0x7060302
	ds_load_2addr_b32 v[78:79], v63 offset1:16
	ds_load_2addr_b32 v[95:96], v63 offset0:32 offset1:52
	ds_load_2addr_b32 v[88:89], v63 offset0:104 offset1:120
	;; [unrolled: 1-line block ×3, first 2 shown]
	v_add_nc_u32_e32 v82, v47, v97
	ds_load_2addr_b32 v[101:102], v74 offset1:16
	ds_load_2addr_b32 v[103:104], v76 offset0:4 offset1:20
	ds_load_2addr_b32 v[105:106], v76 offset0:36 offset1:56
	;; [unrolled: 1-line block ×3, first 2 shown]
	ds_load_2addr_b32 v[109:110], v82 offset1:16
	v_perm_b32 v33, v53, v51, 0x5040100
	v_perm_b32 v35, v86, v59, 0x5040100
	s_waitcnt lgkmcnt(9)
	v_perm_b32 v38, v93, v92, 0x5040100
	v_perm_b32 v41, v53, v51, 0x7060302
	;; [unrolled: 1-line block ×3, first 2 shown]
	v_add_nc_u32_e32 v86, v47, v113
	v_add_nc_u32_e32 v84, 0x800, v63
	v_perm_b32 v46, v93, v92, 0x7060302
	v_wmma_f16_16x16x16_f16 v[0:7], v[31:38], v[64:71], v[0:7]
	ds_load_2addr_b32 v[111:112], v76 offset0:140 offset1:212
	ds_load_2addr_b32 v[92:93], v84 offset0:8 offset1:24
	ds_load_2addr_b32 v[113:114], v84 offset0:40 offset1:60
	ds_load_2addr_b32 v[115:116], v86 offset1:16
	ds_load_2addr_b32 v[117:118], v84 offset0:164 offset1:180
	v_wmma_f16_16x16x16_f16 v[0:7], v[39:46], v[64:71], v[0:7] op_sel:[0,0,1]
	ds_load_2addr_b32 v[119:120], v72 offset0:172 offset1:188
	v_pack_b32_f16 v31, v55, v56
	s_waitcnt lgkmcnt(13)
	v_perm_b32 v40, v96, v78, 0x5040100
	v_perm_b32 v32, v96, v78, 0x7060302
	s_waitcnt lgkmcnt(11)
	v_perm_b32 v41, v100, v88, 0x5040100
	ds_load_2addr_b32 v[96:97], v72 offset0:68 offset1:84
	v_perm_b32 v33, v100, v88, 0x7060302
	s_waitcnt lgkmcnt(10)
	v_perm_b32 v42, v103, v101, 0x5040100
	v_perm_b32 v34, v103, v101, 0x7060302
	s_waitcnt lgkmcnt(8)
	v_perm_b32 v43, v107, v106, 0x5040100
	v_perm_b32 v35, v107, v106, 0x7060302
	ds_load_2addr_b32 v[100:101], v121 offset0:72 offset1:88
	ds_load_2addr_b32 v[106:107], v121 offset0:228 offset1:244
	;; [unrolled: 1-line block ×4, first 2 shown]
	v_perm_b32 v49, v54, v52, 0x5040100
	v_perm_b32 v57, v54, v52, 0x7060302
	;; [unrolled: 1-line block ×4, first 2 shown]
	v_add_nc_u32_e32 v39, 0xc00, v63
	s_waitcnt lgkmcnt(8)
	v_perm_b32 v45, v114, v92, 0x5040100
	s_waitcnt lgkmcnt(5)
	v_perm_b32 v56, v119, v50, 0x7060302
	v_perm_b32 v37, v114, v92, 0x7060302
	v_perm_b32 v46, v117, v115, 0x5040100
	v_perm_b32 v38, v117, v115, 0x7060302
	ds_load_2addr_b32 v[114:115], v84 offset0:196 offset1:216
	ds_load_2addr_b32 v[130:131], v39 offset0:12 offset1:28
	s_waitcnt lgkmcnt(6)
	v_perm_b32 v47, v96, v48, 0x5040100
	v_perm_b32 v55, v96, v48, 0x7060302
	v_perm_b32 v48, v119, v50, 0x5040100
	ds_load_2addr_b32 v[132:133], v63 offset0:68 offset1:84
	ds_load_2addr_b32 v[134:135], v63 offset0:172 offset1:188
	ds_load_2addr_b32 v[136:137], v76 offset0:72 offset1:88
	s_waitcnt lgkmcnt(8)
	v_perm_b32 v50, v58, v100, 0x5040100
	s_waitcnt lgkmcnt(7)
	v_perm_b32 v51, v106, v60, 0x5040100
	;; [unrolled: 2-line block ×4, first 2 shown]
	v_perm_b32 v58, v58, v100, 0x7060302
	v_perm_b32 v59, v106, v60, 0x7060302
	;; [unrolled: 1-line block ×4, first 2 shown]
	v_wmma_f16_16x16x16_f16 v[8:15], v[47:54], v[64:71], v[8:15]
	ds_load_2addr_b32 v[138:139], v76 offset0:228 offset1:244
	ds_load_2addr_b32 v[140:141], v84 offset0:76 offset1:92
	v_perm_b32 v83, v120, v75, 0x7060302
	v_perm_b32 v44, v112, v109, 0x5040100
	v_wmma_f16_16x16x16_f16 v[8:15], v[55:62], v[64:71], v[8:15] op_sel:[0,0,1]
	ds_load_b32 v54, v125 offset:128
	ds_load_b32 v55, v142 offset:128
	;; [unrolled: 1-line block ×8, first 2 shown]
	v_perm_b32 v72, v97, v73, 0x5040100
	v_perm_b32 v82, v97, v73, 0x7060302
	s_waitcnt lgkmcnt(12)
	v_perm_b32 v56, v132, v79, 0x5040100
	v_perm_b32 v48, v132, v79, 0x7060302
	;; [unrolled: 1-line block ×4, first 2 shown]
	s_waitcnt lgkmcnt(11)
	v_perm_b32 v57, v134, v89, 0x5040100
	v_perm_b32 v49, v134, v89, 0x7060302
	;; [unrolled: 1-line block ×6, first 2 shown]
	s_waitcnt lgkmcnt(7)
	v_perm_b32 v74, v77, v54, 0x5040100
	s_waitcnt lgkmcnt(6)
	v_perm_b32 v76, v107, v55, 0x5040100
	;; [unrolled: 2-line block ×3, first 2 shown]
	v_perm_b32 v61, v140, v93, 0x5040100
	v_perm_b32 v53, v140, v93, 0x7060302
	ds_load_2addr_b32 v[92:93], v84 offset0:232 offset1:248
	v_perm_b32 v84, v77, v54, 0x7060302
	v_perm_b32 v77, v122, v87, 0x5040100
	s_waitcnt lgkmcnt(1)
	v_perm_b32 v79, v63, v124, 0x5040100
	v_perm_b32 v86, v107, v55, 0x7060302
	v_perm_b32 v87, v122, v87, 0x7060302
	v_perm_b32 v88, v91, v62, 0x7060302
	v_perm_b32 v89, v63, v124, 0x7060302
	v_wmma_f16_16x16x16_f16 v[16:23], v[72:79], v[64:71], v[16:23]
	v_perm_b32 v58, v104, v102, 0x5040100
	v_perm_b32 v50, v104, v102, 0x7060302
	v_perm_b32 v59, v108, v136, 0x5040100
	v_perm_b32 v51, v108, v136, 0x7060302
	v_wmma_f16_16x16x16_f16 v[16:23], v[82:89], v[64:71], v[16:23] op_sel:[0,0,1]
	ds_bpermute_b32 v82, v98, v81
	v_perm_b32 v60, v138, v110, 0x5040100
	v_perm_b32 v52, v138, v110, 0x7060302
	;; [unrolled: 1-line block ×5, first 2 shown]
	s_waitcnt lgkmcnt(1)
	v_perm_b32 v63, v131, v92, 0x5040100
	v_perm_b32 v55, v131, v92, 0x7060302
	;; [unrolled: 1-line block ×17, first 2 shown]
	s_waitcnt lgkmcnt(0)
	s_barrier
	buffer_gl0_inv
	s_and_saveexec_b32 s0, vcc_lo
	s_cbranch_execz .LBB14_435
; %bb.434:
	v_or_b32_e32 v83, v129, v209
	v_add_f32_e32 v81, v81, v82
	s_delay_alu instid0(VALU_DEP_2)
	v_mad_i32_i24 v83, 0xd0, v83, 0
	ds_store_2addr_b32 v83, v80, v81 offset0:48 offset1:49
.LBB14_435:
	s_or_b32 exec_lo, exec_lo, s0
	v_wmma_f16_16x16x16_f16 v[0:7], v[40:47], v[24:31], v[0:7]
	v_wmma_f16_16x16x16_f16 v[8:15], v[56:63], v[24:31], v[8:15]
	;; [unrolled: 1-line block ×3, first 2 shown]
	v_cmp_eq_u32_e64 s0, 0, v245
	v_cmp_eq_u32_e64 s1, 1, v245
	s_waitcnt lgkmcnt(0)
	s_barrier
	buffer_gl0_inv
	s_and_saveexec_b32 s2, s1
	s_delay_alu instid0(SALU_CYCLE_1)
	s_xor_b32 s1, exec_lo, s2
	s_cbranch_execz .LBB14_437
; %bb.436:
	s_barrier
	buffer_gl0_inv
                                        ; implicit-def: $vgpr98
                                        ; implicit-def: $vgpr244
.LBB14_437:
	s_or_saveexec_b32 s4, s1
	v_wmma_f16_16x16x16_f16 v[0:7], v[32:39], v[24:31], v[0:7] op_sel:[0,0,1]
	v_wmma_f16_16x16x16_f16 v[8:15], v[48:55], v[24:31], v[8:15] op_sel:[0,0,1]
	;; [unrolled: 1-line block ×3, first 2 shown]
	s_xor_b32 exec_lo, exec_lo, s4
	s_cbranch_execz .LBB14_441
; %bb.438:
	v_add_nc_u32_e32 v24, v129, v209
	s_mov_b32 s3, 0
	s_delay_alu instid0(VALU_DEP_1)
	v_mad_i32_i24 v28, 0xd0, v24, 0
	ds_load_b64 v[26:27], v28 offset:192
	s_waitcnt lgkmcnt(0)
	s_barrier
	buffer_gl0_inv
	v_max_f32_e32 v25, v26, v26
	ds_bpermute_b32 v24, v98, v26
	s_waitcnt lgkmcnt(0)
	v_max_f32_e32 v24, v24, v24
	s_delay_alu instid0(VALU_DEP_1) | instskip(NEXT) | instid1(VALU_DEP_1)
	v_max_f32_e32 v24, v25, v24
	v_sub_f32_e32 v25, v26, v24
	s_delay_alu instid0(VALU_DEP_1) | instskip(SKIP_1) | instid1(VALU_DEP_2)
	v_mul_f32_e32 v26, 0x3fb8aa3b, v25
	v_cmp_ngt_f32_e64 s1, 0xc2ce8ed0, v25
	v_fma_f32 v29, 0x3fb8aa3b, v25, -v26
	v_rndne_f32_e32 v30, v26
	s_delay_alu instid0(VALU_DEP_1) | instskip(NEXT) | instid1(VALU_DEP_1)
	v_dual_fmamk_f32 v29, v25, 0x32a5705f, v29 :: v_dual_sub_f32 v26, v26, v30
	v_add_f32_e32 v26, v26, v29
	v_cvt_i32_f32_e32 v29, v30
	s_delay_alu instid0(VALU_DEP_2) | instskip(SKIP_2) | instid1(VALU_DEP_1)
	v_exp_f32_e32 v26, v26
	s_waitcnt_depctr 0xfff
	v_ldexp_f32 v26, v26, v29
	v_cndmask_b32_e64 v26, 0, v26, s1
	v_cmp_nlt_f32_e64 s1, 0x42b17218, v25
	s_delay_alu instid0(VALU_DEP_1) | instskip(NEXT) | instid1(VALU_DEP_1)
	v_cndmask_b32_e64 v25, 0x7f800000, v26, s1
	v_mul_f32_e32 v26, v27, v25
	ds_bpermute_b32 v26, v98, v26
	s_waitcnt lgkmcnt(0)
	v_fmac_f32_e32 v26, v27, v25
	ds_store_b64 v28, v[25:26] offset:192
	s_and_saveexec_b32 s1, vcc_lo
	s_cbranch_execz .LBB14_440
; %bb.439:
	v_or_b32_e32 v25, v244, v209
	s_add_i32 s2, s37, s36
	s_delay_alu instid0(SALU_CYCLE_1) | instskip(NEXT) | instid1(SALU_CYCLE_1)
	s_lshl_b32 s2, s2, 5
	s_lshl_b64 s[2:3], s[2:3], 3
	s_delay_alu instid0(VALU_DEP_1)
	v_lshlrev_b32_e32 v27, 3, v25
	v_mov_b32_e32 v25, v26
	s_add_u32 s2, s30, s2
	s_addc_u32 s3, s31, s3
	global_store_b64 v27, v[24:25], s[2:3]
.LBB14_440:
	s_or_b32 exec_lo, exec_lo, s1
.LBB14_441:
	s_delay_alu instid0(SALU_CYCLE_1) | instskip(SKIP_2) | instid1(VALU_DEP_1)
	s_or_b32 exec_lo, exec_lo, s4
	v_or_b32_e32 v24, v129, v126
	s_mov_b32 s1, 0
	v_mad_i32_i24 v24, v24, 52, v127
	s_delay_alu instid0(VALU_DEP_1)
	v_lshl_add_u32 v24, v24, 2, 0
	ds_store_2addr_b32 v24, v0, v1 offset1:2
	ds_store_2addr_b32 v24, v2, v3 offset0:4 offset1:6
	ds_store_2addr_b32 v24, v4, v5 offset0:8 offset1:10
	;; [unrolled: 1-line block ×11, first 2 shown]
	s_waitcnt lgkmcnt(0)
	s_waitcnt_vscnt null, 0x0
	s_barrier
	buffer_gl0_inv
	s_and_saveexec_b32 s2, s0
	s_cbranch_execz .LBB14_443
; %bb.442:
	v_lshrrev_b32_e32 v22, 1, v210
	v_bfe_u32 v23, v210, 1, 4
	v_lshlrev_b32_e32 v24, 2, v209
	s_mul_i32 s0, s36, 0x600
	s_delay_alu instid0(SALU_CYCLE_1)
	s_lshl_b64 s[4:5], s[0:1], 3
	v_add_nc_u32_e32 v0, 2, v22
	v_and_or_b32 v1, 0x3e0, v210, v23
	v_add_nc_u32_e32 v4, 4, v22
	v_add_nc_u32_e32 v9, 6, v22
	v_mul_u32_u24_e32 v8, 48, v22
	v_lshlrev_b32_e32 v2, 1, v0
	v_and_b32_e32 v0, 15, v0
	v_mad_u32_u24 v1, 0xd0, v1, 0
	v_lshlrev_b32_e32 v11, 1, v4
	v_and_b32_e32 v12, 15, v4
	v_add_nc_u32_e32 v10, 8, v22
	v_and_or_b32 v0, 0x7e0, v2, v0
	v_add_nc_u32_e32 v2, 0xc0, v1
	v_add_nc_u32_e32 v3, v1, v24
	v_and_or_b32 v11, 0x7e0, v11, v12
	v_lshlrev_b32_e32 v12, 1, v9
	v_mad_u32_u24 v5, 0xd0, v0, 0
	ds_load_2addr_stride64_b32 v[0:1], v2 offset1:13
	ds_load_2addr_stride64_b32 v[2:3], v3 offset1:13
	v_and_b32_e32 v9, 15, v9
	v_mad_u32_u24 v11, 0xd0, v11, 0
	v_add_lshl_u32 v25, v8, v209, 3
	v_add_nc_u32_e32 v6, 0xc0, v5
	v_add_nc_u32_e32 v7, v5, v24
	v_and_or_b32 v8, 0x7e0, v12, v9
	ds_load_2addr_stride64_b32 v[4:5], v6 offset1:13
	ds_load_2addr_stride64_b32 v[6:7], v7 offset1:13
	v_add_nc_u32_e32 v13, 10, v22
	v_lshlrev_b32_e32 v14, 1, v10
	v_and_b32_e32 v15, 15, v10
	v_add_nc_u32_e32 v9, 0xc0, v11
	v_mad_u32_u24 v16, 0xd0, v8, 0
	v_add_nc_u32_e32 v10, v11, v24
	ds_load_2addr_stride64_b32 v[8:9], v9 offset1:13
	ds_load_2addr_stride64_b32 v[10:11], v10 offset1:13
	s_waitcnt lgkmcnt(4)
	v_fma_mix_f32 v12, v0, v2, 0 op_sel_hi:[0,1,0]
	v_fma_mix_f32 v2, v0, v2, 0 op_sel:[0,1,0] op_sel_hi:[0,1,0]
	v_and_or_b32 v14, 0x7e0, v14, v15
	v_lshlrev_b32_e32 v15, 1, v13
	v_add_nc_u32_e32 v26, 14, v22
	v_fma_mix_f32 v0, v1, v3, v12 op_sel_hi:[0,1,0]
	v_fma_mix_f32 v1, v1, v3, v2 op_sel:[0,1,0] op_sel_hi:[0,1,0]
	v_add_nc_u32_e32 v2, 0xc0, v16
	v_add_nc_u32_e32 v12, v16, v24
	v_and_b32_e32 v16, 15, v13
	s_waitcnt lgkmcnt(2)
	v_fma_mix_f32 v17, v4, v6, 0 op_sel_hi:[0,1,0]
	v_mad_u32_u24 v14, 0xd0, v14, 0
	ds_load_2addr_stride64_b32 v[2:3], v2 offset1:13
	ds_load_2addr_stride64_b32 v[12:13], v12 offset1:13
	v_and_or_b32 v15, 0x7e0, v15, v16
	v_add_nc_u32_e32 v16, 12, v22
	v_fma_mix_f32 v6, v4, v6, 0 op_sel:[0,1,0] op_sel_hi:[0,1,0]
	v_fma_mix_f32 v4, v5, v7, v17 op_sel_hi:[0,1,0]
	v_add_nc_u32_e32 v17, 0xc0, v14
	v_mad_u32_u24 v18, 0xd0, v15, 0
	v_lshlrev_b32_e32 v19, 1, v16
	v_and_b32_e32 v16, 15, v16
	v_add_nc_u32_e32 v14, v14, v24
	v_fma_mix_f32 v5, v5, v7, v6 op_sel:[0,1,0] op_sel_hi:[0,1,0]
	ds_load_2addr_stride64_b32 v[6:7], v17 offset1:13
	ds_load_2addr_stride64_b32 v[14:15], v14 offset1:13
	v_add_nc_u32_e32 v17, 0xc0, v18
	v_and_or_b32 v19, 0x7e0, v19, v16
	v_add_nc_u32_e32 v18, v18, v24
	s_waitcnt lgkmcnt(4)
	v_fma_mix_f32 v20, v8, v10, 0 op_sel_hi:[0,1,0]
	v_fma_mix_f32 v10, v8, v10, 0 op_sel:[0,1,0] op_sel_hi:[0,1,0]
	ds_load_2addr_stride64_b32 v[16:17], v17 offset1:13
	v_mad_u32_u24 v21, 0xd0, v19, 0
	ds_load_2addr_stride64_b32 v[18:19], v18 offset1:13
	v_fma_mix_f32 v8, v9, v11, v20 op_sel_hi:[0,1,0]
	v_fma_mix_f32 v9, v9, v11, v10 op_sel:[0,1,0] op_sel_hi:[0,1,0]
	s_waitcnt lgkmcnt(4)
	v_fma_mix_f32 v10, v2, v12, 0 op_sel_hi:[0,1,0]
	v_add_nc_u32_e32 v11, 0xc0, v21
	v_add_nc_u32_e32 v20, v21, v24
	v_fma_mix_f32 v12, v2, v12, 0 op_sel:[0,1,0] op_sel_hi:[0,1,0]
	v_lshlrev_b32_e32 v27, 1, v26
	v_fma_mix_f32 v2, v3, v13, v10 op_sel_hi:[0,1,0]
	ds_load_2addr_stride64_b32 v[10:11], v11 offset1:13
	ds_load_2addr_stride64_b32 v[20:21], v20 offset1:13
	v_and_b32_e32 v26, 15, v26
	v_fma_mix_f32 v3, v3, v13, v12 op_sel:[0,1,0] op_sel_hi:[0,1,0]
	s_waitcnt lgkmcnt(4)
	v_fma_mix_f32 v28, v6, v14, 0 op_sel_hi:[0,1,0]
	v_fma_mix_f32 v14, v6, v14, 0 op_sel:[0,1,0] op_sel_hi:[0,1,0]
	s_add_u32 s3, s30, s4
	v_and_or_b32 v12, 0x7e0, v27, v26
	v_add_nc_u32_e32 v27, 18, v22
	v_fma_mix_f32 v6, v7, v15, v28 op_sel_hi:[0,1,0]
	v_fma_mix_f32 v7, v7, v15, v14 op_sel:[0,1,0] op_sel_hi:[0,1,0]
	s_addc_u32 s4, s31, s5
	s_waitcnt lgkmcnt(2)
	v_fma_mix_f32 v13, v16, v18, 0 op_sel_hi:[0,1,0]
	v_fma_mix_f32 v14, v16, v18, 0 op_sel:[0,1,0] op_sel_hi:[0,1,0]
	v_add_nc_u32_e32 v16, 32, v210
	v_mad_u32_u24 v15, 0xd0, v12, 0
	v_lshlrev_b32_e32 v30, 1, v27
	v_fma_mix_f32 v12, v17, v19, v13 op_sel_hi:[0,1,0]
	v_fma_mix_f32 v13, v17, v19, v14 op_sel:[0,1,0] op_sel_hi:[0,1,0]
	v_and_or_b32 v16, 0x7e0, v16, v23
	v_add_nc_u32_e32 v14, 0xc0, v15
	v_add_nc_u32_e32 v17, v15, v24
	s_waitcnt lgkmcnt(0)
	v_fma_mix_f32 v18, v10, v20, 0 op_sel_hi:[0,1,0]
	v_and_b32_e32 v27, 15, v27
	v_mad_u32_u24 v19, 0xd0, v16, 0
	ds_load_2addr_stride64_b32 v[14:15], v14 offset1:13
	ds_load_2addr_stride64_b32 v[16:17], v17 offset1:13
	v_fma_mix_f32 v20, v10, v20, 0 op_sel:[0,1,0] op_sel_hi:[0,1,0]
	v_fma_mix_f32 v10, v11, v21, v18 op_sel_hi:[0,1,0]
	v_add_nc_u32_e32 v18, 0xc0, v19
	v_add_nc_u32_e32 v28, v19, v24
	s_lshl_b32 s0, s37, 6
	v_and_or_b32 v27, 0x7e0, v30, v27
	s_lshl_b64 s[0:1], s[0:1], 3
	v_fma_mix_f32 v11, v11, v21, v20 op_sel:[0,1,0] op_sel_hi:[0,1,0]
	ds_load_2addr_stride64_b32 v[18:19], v18 offset1:13
	ds_load_2addr_stride64_b32 v[20:21], v28 offset1:13
	s_add_u32 s0, s3, s0
	s_addc_u32 s1, s4, s1
	v_add_nc_u32_e32 v29, 0x900, v25
	v_add_nc_u32_e32 v26, 0xc00, v25
	s_clause 0x3
	global_store_b64 v25, v[0:1], s[0:1]
	global_store_b64 v25, v[4:5], s[0:1] offset:768
	global_store_b64 v25, v[8:9], s[0:1] offset:1536
	global_store_b64 v29, v[2:3], s[0:1]
	v_mad_u32_u24 v0, 0xd0, v27, 0
	v_add_nc_u32_e32 v23, 0xf00, v25
	v_add_nc_u32_e32 v31, 0x1200, v25
	s_clause 0x2
	global_store_b64 v26, v[6:7], s[0:1]
	global_store_b64 v23, v[12:13], s[0:1]
	;; [unrolled: 1-line block ×3, first 2 shown]
	v_add_nc_u32_e32 v2, 0xc0, v0
	v_add_nc_u32_e32 v6, 20, v22
	;; [unrolled: 1-line block ×3, first 2 shown]
	ds_load_2addr_stride64_b32 v[2:3], v2 offset1:13
	ds_load_2addr_stride64_b32 v[4:5], v4 offset1:13
	v_lshlrev_b32_e32 v8, 1, v6
	v_and_b32_e32 v6, 15, v6
	s_waitcnt lgkmcnt(4)
	v_fma_mix_f32 v1, v14, v16, 0 op_sel_hi:[0,1,0]
	v_fma_mix_f32 v7, v14, v16, 0 op_sel:[0,1,0] op_sel_hi:[0,1,0]
	v_add_nc_u32_e32 v11, 22, v22
	s_waitcnt lgkmcnt(2)
	v_fma_mix_f32 v9, v18, v20, 0 op_sel:[0,1,0] op_sel_hi:[0,1,0]
	v_and_or_b32 v8, 0x7e0, v8, v6
	v_fma_mix_f32 v0, v15, v17, v1 op_sel_hi:[0,1,0]
	v_fma_mix_f32 v1, v15, v17, v7 op_sel:[0,1,0] op_sel_hi:[0,1,0]
	v_fma_mix_f32 v7, v18, v20, 0 op_sel_hi:[0,1,0]
	v_add_nc_u32_e32 v10, 0x1500, v25
	v_mad_u32_u24 v8, 0xd0, v8, 0
	v_lshlrev_b32_e32 v12, 1, v11
	v_and_b32_e32 v11, 15, v11
	v_fma_mix_f32 v6, v19, v21, v7 op_sel_hi:[0,1,0]
	v_fma_mix_f32 v7, v19, v21, v9 op_sel:[0,1,0] op_sel_hi:[0,1,0]
	v_add_nc_u32_e32 v9, 0x1800, v25
	s_clause 0x1
	global_store_b64 v10, v[0:1], s[0:1]
	global_store_b64 v9, v[6:7], s[0:1]
	v_add_nc_u32_e32 v0, 0xc0, v8
	v_add_nc_u32_e32 v6, v8, v24
	v_and_or_b32 v8, 0x7e0, v12, v11
	v_add_nc_u32_e32 v9, 24, v22
	s_waitcnt lgkmcnt(0)
	v_fma_mix_f32 v10, v2, v4, 0 op_sel_hi:[0,1,0]
	ds_load_2addr_stride64_b32 v[0:1], v0 offset1:13
	ds_load_2addr_stride64_b32 v[6:7], v6 offset1:13
	v_add_nc_u32_e32 v12, 26, v22
	v_mad_u32_u24 v8, 0xd0, v8, 0
	v_lshlrev_b32_e32 v11, 1, v9
	v_and_b32_e32 v9, 15, v9
	v_fma_mix_f32 v4, v2, v4, 0 op_sel:[0,1,0] op_sel_hi:[0,1,0]
	v_fma_mix_f32 v2, v3, v5, v10 op_sel_hi:[0,1,0]
	v_add_nc_u32_e32 v10, 0xc0, v8
	v_add_nc_u32_e32 v8, v8, v24
	v_and_or_b32 v9, 0x7e0, v11, v9
	v_lshlrev_b32_e32 v11, 1, v12
	v_and_b32_e32 v12, 15, v12
	v_fma_mix_f32 v3, v3, v5, v4 op_sel:[0,1,0] op_sel_hi:[0,1,0]
	ds_load_2addr_stride64_b32 v[4:5], v10 offset1:13
	v_mad_u32_u24 v13, 0xd0, v9, 0
	ds_load_2addr_stride64_b32 v[8:9], v8 offset1:13
	v_and_or_b32 v10, 0x7e0, v11, v12
	v_add_nc_u32_e32 v16, 28, v22
	v_add_nc_u32_e32 v18, 0x1b00, v25
	;; [unrolled: 1-line block ×4, first 2 shown]
	v_mad_u32_u24 v14, 0xd0, v10, 0
	s_waitcnt lgkmcnt(2)
	v_fma_mix_f32 v15, v0, v6, 0 op_sel_hi:[0,1,0]
	ds_load_2addr_stride64_b32 v[10:11], v11 offset1:13
	ds_load_2addr_stride64_b32 v[12:13], v12 offset1:13
	v_lshlrev_b32_e32 v20, 1, v16
	v_add_nc_u32_e32 v17, 0xc0, v14
	v_add_nc_u32_e32 v19, v14, v24
	v_and_b32_e32 v21, 15, v16
	v_fma_mix_f32 v6, v0, v6, 0 op_sel:[0,1,0] op_sel_hi:[0,1,0]
	v_fma_mix_f32 v0, v1, v7, v15 op_sel_hi:[0,1,0]
	ds_load_2addr_stride64_b32 v[14:15], v17 offset1:13
	ds_load_2addr_stride64_b32 v[16:17], v19 offset1:13
	v_and_or_b32 v19, 0x7e0, v20, v21
	v_fma_mix_f32 v1, v1, v7, v6 op_sel:[0,1,0] op_sel_hi:[0,1,0]
	s_waitcnt lgkmcnt(4)
	v_fma_mix_f32 v7, v4, v8, 0 op_sel_hi:[0,1,0]
	v_fma_mix_f32 v4, v4, v8, 0 op_sel:[0,1,0] op_sel_hi:[0,1,0]
	v_add_nc_u32_e32 v6, 0x1e00, v25
	v_mad_u32_u24 v8, 0xd0, v19, 0
	s_clause 0x1
	global_store_b64 v18, v[2:3], s[0:1]
	global_store_b64 v6, v[0:1], s[0:1]
	v_fma_mix_f32 v1, v5, v9, v4 op_sel:[0,1,0] op_sel_hi:[0,1,0]
	v_add_nc_u32_e32 v2, 0xc0, v8
	v_add_nc_u32_e32 v4, v8, v24
	v_fma_mix_f32 v0, v5, v9, v7 op_sel_hi:[0,1,0]
	s_waitcnt lgkmcnt(2)
	v_fma_mix_f32 v6, v10, v12, 0 op_sel_hi:[0,1,0]
	v_fma_mix_f32 v7, v10, v12, 0 op_sel:[0,1,0] op_sel_hi:[0,1,0]
	ds_load_2addr_stride64_b32 v[2:3], v2 offset1:13
	ds_load_2addr_stride64_b32 v[4:5], v4 offset1:13
	v_add_nc_u32_e32 v8, 30, v22
	v_add_nc_u32_e32 v18, 0x2100, v25
	s_waitcnt lgkmcnt(2)
	v_fma_mix_f32 v9, v14, v16, 0 op_sel_hi:[0,1,0]
	v_fma_mix_f32 v10, v14, v16, 0 op_sel:[0,1,0] op_sel_hi:[0,1,0]
	v_fma_mix_f32 v6, v11, v13, v6 op_sel_hi:[0,1,0]
	v_fma_mix_f32 v7, v11, v13, v7 op_sel:[0,1,0] op_sel_hi:[0,1,0]
	v_lshlrev_b32_e32 v11, 1, v8
	v_and_b32_e32 v12, 15, v8
	v_add_nc_u32_e32 v14, v127, v210
	v_add_nc_u32_e32 v13, 0x2400, v25
	v_fma_mix_f32 v8, v15, v17, v9 op_sel_hi:[0,1,0]
	v_fma_mix_f32 v9, v15, v17, v10 op_sel:[0,1,0] op_sel_hi:[0,1,0]
	v_add_nc_u32_e32 v10, 0x2700, v25
	v_and_or_b32 v11, 0x7e0, v11, v12
	s_clause 0x2
	global_store_b64 v18, v[0:1], s[0:1]
	global_store_b64 v13, v[6:7], s[0:1]
	;; [unrolled: 1-line block ×3, first 2 shown]
	v_lshlrev_b32_e32 v15, 1, v14
	v_and_b32_e32 v16, 15, v14
	v_add_nc_u32_e32 v1, 4, v14
	v_mad_u32_u24 v0, 0xd0, v11, 0
	s_waitcnt lgkmcnt(0)
	v_fma_mix_f32 v8, v2, v4, 0 op_sel_hi:[0,1,0]
	v_fma_mix_f32 v4, v2, v4, 0 op_sel:[0,1,0] op_sel_hi:[0,1,0]
	v_and_or_b32 v9, 0xfe0, v15, v16
	v_lshlrev_b32_e32 v10, 1, v1
	v_and_b32_e32 v11, 15, v1
	v_add_nc_u32_e32 v6, 0xc0, v0
	v_add_nc_u32_e32 v7, v0, v24
	v_mad_u32_u24 v9, 0xd0, v9, 0
	ds_load_2addr_stride64_b32 v[0:1], v6 offset1:13
	ds_load_2addr_stride64_b32 v[6:7], v7 offset1:13
	v_and_or_b32 v10, 0x1fe0, v10, v11
	v_add_nc_u32_e32 v11, 8, v14
	v_fma_mix_f32 v2, v3, v5, v8 op_sel_hi:[0,1,0]
	v_add_nc_u32_e32 v8, v9, v128
	v_add_nc_u32_e32 v9, 0xc0, v9
	v_mad_u32_u24 v10, 0xd0, v10, 0
	v_lshlrev_b32_e32 v12, 1, v11
	v_and_b32_e32 v11, 15, v11
	v_add_nc_u32_e32 v8, 0x80, v8
	v_fma_mix_f32 v3, v3, v5, v4 op_sel:[0,1,0] op_sel_hi:[0,1,0]
	v_add_nc_u32_e32 v13, v10, v128
	v_add_nc_u32_e32 v10, 0xc0, v10
	v_and_or_b32 v11, 0x1fe0, v12, v11
	ds_load_2addr_stride64_b32 v[4:5], v9 offset1:13
	ds_load_2addr_stride64_b32 v[8:9], v8 offset1:13
	v_add_nc_u32_e32 v12, 0x80, v13
	v_add_nc_u32_e32 v17, 0x2a00, v25
	v_mad_u32_u24 v18, 0xd0, v11, 0
	ds_load_2addr_stride64_b32 v[10:11], v10 offset1:13
	ds_load_2addr_stride64_b32 v[12:13], v12 offset1:13
	s_waitcnt lgkmcnt(4)
	v_fma_mix_f32 v19, v0, v6, 0 op_sel_hi:[0,1,0]
	v_fma_mix_f32 v6, v0, v6, 0 op_sel:[0,1,0] op_sel_hi:[0,1,0]
	v_add_nc_u32_e32 v20, v18, v128
	global_store_b64 v17, v[2:3], s[0:1]
	v_add_nc_u32_e32 v2, 0xc0, v18
	v_fma_mix_f32 v0, v1, v7, v19 op_sel_hi:[0,1,0]
	v_fma_mix_f32 v1, v1, v7, v6 op_sel:[0,1,0] op_sel_hi:[0,1,0]
	v_add_nc_u32_e32 v17, 0x2d00, v25
	v_add_nc_u32_e32 v6, 0x80, v20
	;; [unrolled: 1-line block ×3, first 2 shown]
	v_mul_u32_u24_e32 v19, 48, v14
	ds_load_2addr_stride64_b32 v[2:3], v2 offset1:13
	ds_load_2addr_stride64_b32 v[6:7], v6 offset1:13
	global_store_b64 v17, v[0:1], s[0:1]
	s_waitcnt lgkmcnt(4)
	v_fma_mix_f32 v20, v4, v8, 0 op_sel_hi:[0,1,0]
	v_fma_mix_f32 v1, v4, v8, 0 op_sel:[0,1,0] op_sel_hi:[0,1,0]
	v_lshlrev_b32_e32 v21, 1, v18
	v_and_b32_e32 v18, 15, v18
	v_or_b32_e32 v4, v19, v126
	s_waitcnt lgkmcnt(2)
	v_fma_mix_f32 v17, v10, v12, 0 op_sel_hi:[0,1,0]
	v_fma_mix_f32 v10, v10, v12, 0 op_sel:[0,1,0] op_sel_hi:[0,1,0]
	v_fma_mix_f32 v0, v5, v9, v20 op_sel_hi:[0,1,0]
	v_fma_mix_f32 v1, v5, v9, v1 op_sel:[0,1,0] op_sel_hi:[0,1,0]
	v_add_nc_u32_e32 v9, 32, v15
	v_and_or_b32 v8, 0x1fe0, v21, v18
	v_lshlrev_b32_e32 v28, 3, v4
	v_fma_mix_f32 v4, v11, v13, v17 op_sel_hi:[0,1,0]
	v_fma_mix_f32 v5, v11, v13, v10 op_sel:[0,1,0] op_sel_hi:[0,1,0]
	v_add_nc_u32_e32 v11, 20, v14
	v_and_or_b32 v12, 0x1fe0, v9, v16
	v_add_nc_u32_e32 v16, 24, v14
	v_add_nc_u32_e32 v14, 28, v14
	v_mad_u32_u24 v8, 0xd0, v8, 0
	v_lshlrev_b32_e32 v13, 1, v11
	v_and_b32_e32 v15, 15, v11
	v_mad_u32_u24 v12, 0xd0, v12, 0
	v_lshlrev_b32_e32 v17, 1, v16
	v_and_b32_e32 v16, 15, v16
	v_lshlrev_b32_e32 v19, 1, v14
	v_and_b32_e32 v14, 15, v14
	v_add_nc_u32_e32 v10, v8, v128
	v_and_or_b32 v13, 0x1fe0, v13, v15
	v_add_nc_u32_e32 v20, v12, v128
	v_and_or_b32 v16, 0x1fe0, v17, v16
	v_and_or_b32 v14, 0x1fe0, v19, v14
	v_add_nc_u32_e32 v8, 0xc0, v8
	v_add_nc_u32_e32 v10, 0x80, v10
	;; [unrolled: 1-line block ×3, first 2 shown]
	v_mad_u32_u24 v18, 0xd0, v13, 0
	v_add_nc_u32_e32 v17, 0x80, v20
	v_mad_u32_u24 v20, 0xd0, v16, 0
	v_mad_u32_u24 v21, 0xd0, v14, 0
	ds_load_2addr_stride64_b32 v[8:9], v8 offset1:13
	ds_load_2addr_stride64_b32 v[10:11], v10 offset1:13
	;; [unrolled: 1-line block ×3, first 2 shown]
	v_add_nc_u32_e32 v15, v18, v128
	v_add_nc_u32_e32 v22, v20, v128
	;; [unrolled: 1-line block ×3, first 2 shown]
	s_waitcnt lgkmcnt(3)
	v_fma_mix_f32 v30, v2, v6, 0 op_sel_hi:[0,1,0]
	v_add_nc_u32_e32 v16, 0xc0, v18
	v_add_nc_u32_e32 v18, 0x80, v15
	ds_load_2addr_stride64_b32 v[14:15], v17 offset1:13
	v_add_nc_u32_e32 v20, 0xc0, v20
	v_fma_mix_f32 v6, v2, v6, 0 op_sel:[0,1,0] op_sel_hi:[0,1,0]
	v_add_nc_u32_e32 v2, 0xc0, v21
	v_add_nc_u32_e32 v22, 0x80, v22
	;; [unrolled: 1-line block ×3, first 2 shown]
	ds_load_2addr_stride64_b32 v[16:17], v16 offset1:13
	ds_load_2addr_stride64_b32 v[18:19], v18 offset1:13
	;; [unrolled: 1-line block ×6, first 2 shown]
	v_fma_mix_f32 v2, v3, v7, v30 op_sel_hi:[0,1,0]
	v_fma_mix_f32 v3, v3, v7, v6 op_sel:[0,1,0] op_sel_hi:[0,1,0]
	s_waitcnt lgkmcnt(8)
	v_fma_mix_f32 v31, v8, v10, 0 op_sel_hi:[0,1,0]
	v_fma_mix_f32 v8, v8, v10, 0 op_sel:[0,1,0] op_sel_hi:[0,1,0]
	v_add_nc_u32_e32 v29, 0x600, v28
	v_add_nc_u32_e32 v30, 0xc00, v28
	s_delay_alu instid0(VALU_DEP_4) | instskip(NEXT) | instid1(VALU_DEP_4)
	v_fma_mix_f32 v6, v9, v11, v31 op_sel_hi:[0,1,0]
	v_fma_mix_f32 v7, v9, v11, v8 op_sel:[0,1,0] op_sel_hi:[0,1,0]
	v_add_nc_u32_e32 v31, 0x1200, v28
	s_waitcnt lgkmcnt(6)
	v_fma_mix_f32 v8, v12, v14, 0 op_sel_hi:[0,1,0]
	v_fma_mix_f32 v9, v12, v14, 0 op_sel:[0,1,0] op_sel_hi:[0,1,0]
	s_delay_alu instid0(VALU_DEP_2)
	v_fma_mix_f32 v8, v13, v15, v8 op_sel_hi:[0,1,0]
	s_waitcnt lgkmcnt(4)
	v_fma_mix_f32 v10, v16, v18, 0 op_sel_hi:[0,1,0]
	v_fma_mix_f32 v11, v16, v18, 0 op_sel:[0,1,0] op_sel_hi:[0,1,0]
	v_fma_mix_f32 v9, v13, v15, v9 op_sel:[0,1,0] op_sel_hi:[0,1,0]
	s_waitcnt lgkmcnt(2)
	v_fma_mix_f32 v12, v20, v22, 0 op_sel_hi:[0,1,0]
	v_fma_mix_f32 v13, v20, v22, 0 op_sel:[0,1,0] op_sel_hi:[0,1,0]
	s_waitcnt lgkmcnt(0)
	v_fma_mix_f32 v14, v24, v26, 0 op_sel_hi:[0,1,0]
	v_fma_mix_f32 v15, v24, v26, 0 op_sel:[0,1,0] op_sel_hi:[0,1,0]
	v_add_nc_u32_e32 v16, 0x1800, v28
	v_fma_mix_f32 v10, v17, v19, v10 op_sel_hi:[0,1,0]
	v_fma_mix_f32 v11, v17, v19, v11 op_sel:[0,1,0] op_sel_hi:[0,1,0]
	v_add_nc_u32_e32 v17, 0x1e00, v28
	v_fma_mix_f32 v12, v21, v23, v12 op_sel_hi:[0,1,0]
	v_fma_mix_f32 v13, v21, v23, v13 op_sel:[0,1,0] op_sel_hi:[0,1,0]
	v_add_nc_u32_e32 v18, 0x2400, v28
	v_fma_mix_f32 v14, v25, v27, v14 op_sel_hi:[0,1,0]
	v_fma_mix_f32 v15, v25, v27, v15 op_sel:[0,1,0] op_sel_hi:[0,1,0]
	v_add_nc_u32_e32 v19, 0x2a00, v28
	s_clause 0x7
	global_store_b64 v28, v[0:1], s[0:1] offset:256
	global_store_b64 v29, v[4:5], s[0:1] offset:256
	;; [unrolled: 1-line block ×8, first 2 shown]
.LBB14_443:
	s_or_b32 exec_lo, exec_lo, s2
	s_waitcnt_vscnt null, 0x0
	s_barrier
	buffer_gl0_inv
	s_endpgm
	.section	.rodata,"a",@progbits
	.p2align	6, 0x0
	.amdhsa_kernel _ZL18flash_attn_ext_f16ILi96ELi96ELi8ELi4ELb0ELb0EEvPKcS1_S1_S1_S1_PKiPfP15HIP_vector_typeIfLj2EEffffjfiS5_IjLj3EEiiiiiiiiiiiliiliiiiil
		.amdhsa_group_segment_fixed_size 0
		.amdhsa_private_segment_fixed_size 468
		.amdhsa_kernarg_size 464
		.amdhsa_user_sgpr_count 15
		.amdhsa_user_sgpr_dispatch_ptr 0
		.amdhsa_user_sgpr_queue_ptr 0
		.amdhsa_user_sgpr_kernarg_segment_ptr 1
		.amdhsa_user_sgpr_dispatch_id 0
		.amdhsa_user_sgpr_private_segment_size 0
		.amdhsa_wavefront_size32 1
		.amdhsa_uses_dynamic_stack 0
		.amdhsa_enable_private_segment 1
		.amdhsa_system_sgpr_workgroup_id_x 1
		.amdhsa_system_sgpr_workgroup_id_y 0
		.amdhsa_system_sgpr_workgroup_id_z 0
		.amdhsa_system_sgpr_workgroup_info 0
		.amdhsa_system_vgpr_workitem_id 1
		.amdhsa_next_free_vgpr 256
		.amdhsa_next_free_sgpr 105
		.amdhsa_reserve_vcc 1
		.amdhsa_float_round_mode_32 0
		.amdhsa_float_round_mode_16_64 0
		.amdhsa_float_denorm_mode_32 3
		.amdhsa_float_denorm_mode_16_64 3
		.amdhsa_dx10_clamp 1
		.amdhsa_ieee_mode 1
		.amdhsa_fp16_overflow 0
		.amdhsa_workgroup_processor_mode 1
		.amdhsa_memory_ordered 1
		.amdhsa_forward_progress 0
		.amdhsa_shared_vgpr_count 0
		.amdhsa_exception_fp_ieee_invalid_op 0
		.amdhsa_exception_fp_denorm_src 0
		.amdhsa_exception_fp_ieee_div_zero 0
		.amdhsa_exception_fp_ieee_overflow 0
		.amdhsa_exception_fp_ieee_underflow 0
		.amdhsa_exception_fp_ieee_inexact 0
		.amdhsa_exception_int_div_zero 0
	.end_amdhsa_kernel
	.section	.text._ZL18flash_attn_ext_f16ILi96ELi96ELi8ELi4ELb0ELb0EEvPKcS1_S1_S1_S1_PKiPfP15HIP_vector_typeIfLj2EEffffjfiS5_IjLj3EEiiiiiiiiiiiliiliiiiil,"axG",@progbits,_ZL18flash_attn_ext_f16ILi96ELi96ELi8ELi4ELb0ELb0EEvPKcS1_S1_S1_S1_PKiPfP15HIP_vector_typeIfLj2EEffffjfiS5_IjLj3EEiiiiiiiiiiiliiliiiiil,comdat
.Lfunc_end14:
	.size	_ZL18flash_attn_ext_f16ILi96ELi96ELi8ELi4ELb0ELb0EEvPKcS1_S1_S1_S1_PKiPfP15HIP_vector_typeIfLj2EEffffjfiS5_IjLj3EEiiiiiiiiiiiliiliiiiil, .Lfunc_end14-_ZL18flash_attn_ext_f16ILi96ELi96ELi8ELi4ELb0ELb0EEvPKcS1_S1_S1_S1_PKiPfP15HIP_vector_typeIfLj2EEffffjfiS5_IjLj3EEiiiiiiiiiiiliiliiiiil
                                        ; -- End function
	.section	.AMDGPU.csdata,"",@progbits
; Kernel info:
; codeLenInByte = 81972
; NumSgprs: 107
; NumVgprs: 256
; ScratchSize: 468
; MemoryBound: 0
; FloatMode: 240
; IeeeMode: 1
; LDSByteSize: 0 bytes/workgroup (compile time only)
; SGPRBlocks: 13
; VGPRBlocks: 31
; NumSGPRsForWavesPerEU: 107
; NumVGPRsForWavesPerEU: 256
; Occupancy: 5
; WaveLimiterHint : 0
; COMPUTE_PGM_RSRC2:SCRATCH_EN: 1
; COMPUTE_PGM_RSRC2:USER_SGPR: 15
; COMPUTE_PGM_RSRC2:TRAP_HANDLER: 0
; COMPUTE_PGM_RSRC2:TGID_X_EN: 1
; COMPUTE_PGM_RSRC2:TGID_Y_EN: 0
; COMPUTE_PGM_RSRC2:TGID_Z_EN: 0
; COMPUTE_PGM_RSRC2:TIDIG_COMP_CNT: 1
	.section	.text._ZL18flash_attn_ext_f16ILi96ELi96ELi8ELi4ELb1ELb0EEvPKcS1_S1_S1_S1_PKiPfP15HIP_vector_typeIfLj2EEffffjfiS5_IjLj3EEiiiiiiiiiiiliiliiiiil,"axG",@progbits,_ZL18flash_attn_ext_f16ILi96ELi96ELi8ELi4ELb1ELb0EEvPKcS1_S1_S1_S1_PKiPfP15HIP_vector_typeIfLj2EEffffjfiS5_IjLj3EEiiiiiiiiiiiliiliiiiil,comdat
	.globl	_ZL18flash_attn_ext_f16ILi96ELi96ELi8ELi4ELb1ELb0EEvPKcS1_S1_S1_S1_PKiPfP15HIP_vector_typeIfLj2EEffffjfiS5_IjLj3EEiiiiiiiiiiiliiliiiiil ; -- Begin function _ZL18flash_attn_ext_f16ILi96ELi96ELi8ELi4ELb1ELb0EEvPKcS1_S1_S1_S1_PKiPfP15HIP_vector_typeIfLj2EEffffjfiS5_IjLj3EEiiiiiiiiiiiliiliiiiil
	.p2align	8
	.type	_ZL18flash_attn_ext_f16ILi96ELi96ELi8ELi4ELb1ELb0EEvPKcS1_S1_S1_S1_PKiPfP15HIP_vector_typeIfLj2EEffffjfiS5_IjLj3EEiiiiiiiiiiiliiliiiiil,@function
_ZL18flash_attn_ext_f16ILi96ELi96ELi8ELi4ELb1ELb0EEvPKcS1_S1_S1_S1_PKiPfP15HIP_vector_typeIfLj2EEffffjfiS5_IjLj3EEiiiiiiiiiiiliiliiiiil: ; @_ZL18flash_attn_ext_f16ILi96ELi96ELi8ELi4ELb1ELb0EEvPKcS1_S1_S1_S1_PKiPfP15HIP_vector_typeIfLj2EEffffjfiS5_IjLj3EEiiiiiiiiiiiliiliiiiil
; %bb.0:
	v_mov_b32_e32 v0, 0x6cc
	s_add_u32 s8, s0, 0xd0
	s_addc_u32 s9, s1, 0
	s_mov_b32 s32, 0
	s_getpc_b64 s[0:1]
	s_add_u32 s0, s0, _ZL14no_device_codePKciS0_iS0_@rel32@lo+4
	s_addc_u32 s1, s1, _ZL14no_device_codePKciS0_iS0_@rel32@hi+12
	s_delay_alu instid0(SALU_CYCLE_1)
	s_swappc_b64 s[30:31], s[0:1]
	.section	.rodata,"a",@progbits
	.p2align	6, 0x0
	.amdhsa_kernel _ZL18flash_attn_ext_f16ILi96ELi96ELi8ELi4ELb1ELb0EEvPKcS1_S1_S1_S1_PKiPfP15HIP_vector_typeIfLj2EEffffjfiS5_IjLj3EEiiiiiiiiiiiliiliiiiil
		.amdhsa_group_segment_fixed_size 0
		.amdhsa_private_segment_fixed_size 16
		.amdhsa_kernarg_size 464
		.amdhsa_user_sgpr_count 15
		.amdhsa_user_sgpr_dispatch_ptr 0
		.amdhsa_user_sgpr_queue_ptr 0
		.amdhsa_user_sgpr_kernarg_segment_ptr 1
		.amdhsa_user_sgpr_dispatch_id 0
		.amdhsa_user_sgpr_private_segment_size 0
		.amdhsa_wavefront_size32 1
		.amdhsa_uses_dynamic_stack 0
		.amdhsa_enable_private_segment 1
		.amdhsa_system_sgpr_workgroup_id_x 1
		.amdhsa_system_sgpr_workgroup_id_y 0
		.amdhsa_system_sgpr_workgroup_id_z 0
		.amdhsa_system_sgpr_workgroup_info 0
		.amdhsa_system_vgpr_workitem_id 0
		.amdhsa_next_free_vgpr 37
		.amdhsa_next_free_sgpr 34
		.amdhsa_reserve_vcc 1
		.amdhsa_float_round_mode_32 0
		.amdhsa_float_round_mode_16_64 0
		.amdhsa_float_denorm_mode_32 3
		.amdhsa_float_denorm_mode_16_64 3
		.amdhsa_dx10_clamp 1
		.amdhsa_ieee_mode 1
		.amdhsa_fp16_overflow 0
		.amdhsa_workgroup_processor_mode 1
		.amdhsa_memory_ordered 1
		.amdhsa_forward_progress 0
		.amdhsa_shared_vgpr_count 0
		.amdhsa_exception_fp_ieee_invalid_op 0
		.amdhsa_exception_fp_denorm_src 0
		.amdhsa_exception_fp_ieee_div_zero 0
		.amdhsa_exception_fp_ieee_overflow 0
		.amdhsa_exception_fp_ieee_underflow 0
		.amdhsa_exception_fp_ieee_inexact 0
		.amdhsa_exception_int_div_zero 0
	.end_amdhsa_kernel
	.section	.text._ZL18flash_attn_ext_f16ILi96ELi96ELi8ELi4ELb1ELb0EEvPKcS1_S1_S1_S1_PKiPfP15HIP_vector_typeIfLj2EEffffjfiS5_IjLj3EEiiiiiiiiiiiliiliiiiil,"axG",@progbits,_ZL18flash_attn_ext_f16ILi96ELi96ELi8ELi4ELb1ELb0EEvPKcS1_S1_S1_S1_PKiPfP15HIP_vector_typeIfLj2EEffffjfiS5_IjLj3EEiiiiiiiiiiiliiliiiiil,comdat
.Lfunc_end15:
	.size	_ZL18flash_attn_ext_f16ILi96ELi96ELi8ELi4ELb1ELb0EEvPKcS1_S1_S1_S1_PKiPfP15HIP_vector_typeIfLj2EEffffjfiS5_IjLj3EEiiiiiiiiiiiliiliiiiil, .Lfunc_end15-_ZL18flash_attn_ext_f16ILi96ELi96ELi8ELi4ELb1ELb0EEvPKcS1_S1_S1_S1_PKiPfP15HIP_vector_typeIfLj2EEffffjfiS5_IjLj3EEiiiiiiiiiiiliiliiiiil
                                        ; -- End function
	.section	.AMDGPU.csdata,"",@progbits
; Kernel info:
; codeLenInByte = 52
; NumSgprs: 36
; NumVgprs: 37
; ScratchSize: 16
; MemoryBound: 0
; FloatMode: 240
; IeeeMode: 1
; LDSByteSize: 0 bytes/workgroup (compile time only)
; SGPRBlocks: 4
; VGPRBlocks: 4
; NumSGPRsForWavesPerEU: 36
; NumVGPRsForWavesPerEU: 37
; Occupancy: 16
; WaveLimiterHint : 1
; COMPUTE_PGM_RSRC2:SCRATCH_EN: 1
; COMPUTE_PGM_RSRC2:USER_SGPR: 15
; COMPUTE_PGM_RSRC2:TRAP_HANDLER: 0
; COMPUTE_PGM_RSRC2:TGID_X_EN: 1
; COMPUTE_PGM_RSRC2:TGID_Y_EN: 0
; COMPUTE_PGM_RSRC2:TGID_Z_EN: 0
; COMPUTE_PGM_RSRC2:TIDIG_COMP_CNT: 0
	.section	.text._ZL33flash_attn_stream_k_fixup_uniformILi96ELi8ELi4EEvPfPK15HIP_vector_typeIfLj2EEiiiiiiS1_IjLj3EES5_S5_,"axG",@progbits,_ZL33flash_attn_stream_k_fixup_uniformILi96ELi8ELi4EEvPfPK15HIP_vector_typeIfLj2EEiiiiiiS1_IjLj3EES5_S5_,comdat
	.globl	_ZL33flash_attn_stream_k_fixup_uniformILi96ELi8ELi4EEvPfPK15HIP_vector_typeIfLj2EEiiiiiiS1_IjLj3EES5_S5_ ; -- Begin function _ZL33flash_attn_stream_k_fixup_uniformILi96ELi8ELi4EEvPfPK15HIP_vector_typeIfLj2EEiiiiiiS1_IjLj3EES5_S5_
	.p2align	8
	.type	_ZL33flash_attn_stream_k_fixup_uniformILi96ELi8ELi4EEvPfPK15HIP_vector_typeIfLj2EEiiiiiiS1_IjLj3EES5_S5_,@function
_ZL33flash_attn_stream_k_fixup_uniformILi96ELi8ELi4EEvPfPK15HIP_vector_typeIfLj2EEiiiiiiS1_IjLj3EES5_S5_: ; @_ZL33flash_attn_stream_k_fixup_uniformILi96ELi8ELi4EEvPfPK15HIP_vector_typeIfLj2EEiiiiiiS1_IjLj3EES5_S5_
; %bb.0:
	s_clause 0x1
	s_load_b256 s[4:11], s[0:1], 0x1c
	s_load_b128 s[16:19], s[0:1], 0x3c
	s_waitcnt lgkmcnt(0)
	s_mul_hi_u32 s2, s7, s13
	s_delay_alu instid0(SALU_CYCLE_1) | instskip(NEXT) | instid1(SALU_CYCLE_1)
	s_add_i32 s2, s13, s2
	s_lshr_b32 s2, s2, s8
	s_delay_alu instid0(SALU_CYCLE_1) | instskip(SKIP_2) | instid1(SALU_CYCLE_1)
	s_mul_i32 s3, s2, s9
	s_load_b64 s[8:9], s[0:1], 0x10
	s_sub_i32 s3, s13, s3
	s_mul_hi_u32 s7, s3, s10
	s_delay_alu instid0(SALU_CYCLE_1) | instskip(NEXT) | instid1(SALU_CYCLE_1)
	s_add_i32 s7, s3, s7
	s_lshr_b32 s7, s7, s11
	s_delay_alu instid0(SALU_CYCLE_1) | instskip(NEXT) | instid1(SALU_CYCLE_1)
	s_mul_i32 s10, s7, s16
	s_sub_i32 s3, s3, s10
	s_delay_alu instid0(SALU_CYCLE_1) | instskip(NEXT) | instid1(SALU_CYCLE_1)
	s_mul_hi_u32 s10, s3, s17
	s_add_i32 s10, s3, s10
	s_delay_alu instid0(SALU_CYCLE_1) | instskip(NEXT) | instid1(SALU_CYCLE_1)
	s_lshr_b32 s11, s10, s18
	s_mul_i32 s10, s11, s19
	s_lshl_b32 s11, s11, 2
	s_sub_i32 s10, s3, s10
	s_delay_alu instid0(SALU_CYCLE_1) | instskip(NEXT) | instid1(SALU_CYCLE_1)
	s_lshl_b32 s3, s10, 3
	s_add_i32 s3, s3, s14
	s_waitcnt lgkmcnt(0)
	s_cmp_lt_i32 s3, s8
	s_cselect_b32 s3, -1, 0
	s_add_i32 s11, s11, s15
	s_delay_alu instid0(SALU_CYCLE_1) | instskip(SKIP_1) | instid1(SALU_CYCLE_1)
	s_cmp_lt_i32 s11, s5
	s_cselect_b32 s12, -1, 0
	s_and_b32 s3, s3, s12
	s_delay_alu instid0(SALU_CYCLE_1)
	s_and_not1_b32 vcc_lo, exec_lo, s3
	s_cbranch_vccnz .LBB16_6
; %bb.1:
	s_mul_i32 s8, s2, s8
	s_mul_i32 s7, s7, s5
	s_add_i32 s8, s8, s14
	s_add_i32 s5, s11, s7
	s_mul_i32 s8, s8, s9
	s_load_b128 s[0:3], s[0:1], 0x0
	s_mul_i32 s7, s9, s10
	s_add_i32 s5, s5, s8
	s_mulk_i32 s7, 0x300
	s_mulk_i32 s5, 0x60
	s_lshl_b32 s9, s14, 2
	v_add3_u32 v1, s5, s7, v0
	s_mul_i32 s5, s13, s6
	s_delay_alu instid0(SALU_CYCLE_1) | instskip(NEXT) | instid1(VALU_DEP_1)
	s_add_i32 s10, s5, s6
	v_ashrrev_i32_e32 v2, 31, v1
	s_delay_alu instid0(VALU_DEP_1) | instskip(SKIP_1) | instid1(VALU_DEP_1)
	v_lshlrev_b64 v[1:2], 2, v[1:2]
	s_waitcnt lgkmcnt(0)
	v_add_co_u32 v1, vcc_lo, s0, v1
	s_delay_alu instid0(VALU_DEP_2) | instskip(SKIP_4) | instid1(SALU_CYCLE_1)
	v_add_co_ci_u32_e32 v2, vcc_lo, s1, v2, vcc_lo
	s_add_i32 s0, s9, s15
	s_lshl_b32 s1, s10, 5
	global_load_b32 v5, v[1:2], off
	s_add_i32 s0, s0, s1
	s_sub_i32 s0, s0, 32
	s_delay_alu instid0(SALU_CYCLE_1) | instskip(NEXT) | instid1(SALU_CYCLE_1)
	s_ashr_i32 s1, s0, 31
	s_lshl_b64 s[0:1], s[0:1], 3
	s_delay_alu instid0(SALU_CYCLE_1)
	s_add_u32 s0, s2, s0
	s_addc_u32 s1, s3, s1
	s_add_i32 s7, s10, -2
	s_load_b32 s11, s[0:1], 0x4
	s_cmp_lt_i32 s7, s5
	s_cbranch_scc1 .LBB16_4
; %bb.2:
	s_load_b32 s12, s[0:1], 0x0
	s_lshl_b32 s16, s4, 7
	s_mulk_i32 s14, 0x180
	s_ashr_i32 s17, s16, 31
	s_waitcnt lgkmcnt(0)
	v_mov_b32_e32 v6, s11
	s_lshl_b64 s[0:1], s[16:17], 2
	s_delay_alu instid0(SALU_CYCLE_1)
	s_add_u32 s7, s2, s0
	s_addc_u32 s8, s3, s1
	s_add_i32 s13, s13, 1
	s_lshl_b32 s4, s4, 5
	s_mul_i32 s0, s6, s13
	s_mul_i32 s6, s15, 0x60
	s_lshl_b32 s1, s0, 5
	s_mulk_i32 s0, 0xc00
	s_add_i32 s6, s6, s14
	s_add_i32 s1, s15, s1
	;; [unrolled: 1-line block ×4, first 2 shown]
	v_add3_u32 v3, s6, v0, 0xffffe800
	v_mov_b32_e32 v0, s12
	s_add_i32 s0, s0, s9
	s_add_i32 s4, s10, -1
	s_sub_i32 s0, s0, 64
.LBB16_3:                               ; =>This Inner Loop Header: Depth=1
	s_delay_alu instid0(VALU_DEP_2) | instskip(SKIP_1) | instid1(SALU_CYCLE_1)
	v_ashrrev_i32_e32 v4, 31, v3
	s_ashr_i32 s1, s0, 31
	s_lshl_b64 s[10:11], s[0:1], 3
	s_delay_alu instid0(SALU_CYCLE_1) | instskip(NEXT) | instid1(VALU_DEP_1)
	s_add_u32 s10, s2, s10
	v_lshlrev_b64 v[7:8], 2, v[3:4]
	s_addc_u32 s11, s3, s11
	s_add_i32 s4, s4, -1
	s_sub_i32 s0, s0, 32
	s_cmp_le_i32 s4, s5
	s_load_b64 s[10:11], s[10:11], 0x0
	v_add_co_u32 v7, vcc_lo, s7, v7
	v_add_co_ci_u32_e32 v8, vcc_lo, s8, v8, vcc_lo
	global_load_b32 v4, v[7:8], off
	v_max_f32_e32 v7, v0, v0
	s_waitcnt lgkmcnt(0)
	v_max_f32_e64 v8, s10, s10
	s_delay_alu instid0(VALU_DEP_1) | instskip(NEXT) | instid1(VALU_DEP_1)
	v_max_f32_e32 v7, v7, v8
	v_sub_f32_e32 v8, s10, v7
	s_delay_alu instid0(VALU_DEP_1) | instskip(NEXT) | instid1(VALU_DEP_1)
	v_dual_sub_f32 v0, v0, v7 :: v_dual_mul_f32 v9, 0x3fb8aa3b, v8
	v_fma_f32 v10, 0x3fb8aa3b, v8, -v9
	v_rndne_f32_e32 v11, v9
	s_delay_alu instid0(VALU_DEP_3) | instskip(NEXT) | instid1(VALU_DEP_2)
	v_mul_f32_e32 v12, 0x3fb8aa3b, v0
	v_dual_fmac_f32 v10, 0x32a5705f, v8 :: v_dual_sub_f32 v9, v9, v11
	v_cvt_i32_f32_e32 v11, v11
	s_delay_alu instid0(VALU_DEP_3) | instskip(SKIP_1) | instid1(VALU_DEP_4)
	v_fma_f32 v13, 0x3fb8aa3b, v0, -v12
	v_rndne_f32_e32 v14, v12
	v_add_f32_e32 v9, v9, v10
	v_cmp_ngt_f32_e32 vcc_lo, 0xc2ce8ed0, v8
	s_delay_alu instid0(VALU_DEP_3) | instskip(NEXT) | instid1(VALU_DEP_3)
	v_sub_f32_e32 v10, v12, v14
	v_exp_f32_e32 v9, v9
	s_waitcnt_depctr 0xfff
	v_ldexp_f32 v9, v9, v11
	v_cvt_i32_f32_e32 v11, v14
	s_delay_alu instid0(VALU_DEP_2) | instskip(SKIP_1) | instid1(VALU_DEP_2)
	v_cndmask_b32_e32 v9, 0, v9, vcc_lo
	v_cmp_nlt_f32_e32 vcc_lo, 0x42b17218, v8
	v_cndmask_b32_e32 v9, 0x7f800000, v9, vcc_lo
	v_cmp_ngt_f32_e32 vcc_lo, 0xc2ce8ed0, v0
	v_fmac_f32_e32 v13, 0x32a5705f, v0
	s_delay_alu instid0(VALU_DEP_1) | instskip(NEXT) | instid1(VALU_DEP_1)
	v_add_f32_e32 v10, v10, v13
	v_exp_f32_e32 v10, v10
	s_waitcnt_depctr 0xfff
	v_ldexp_f32 v10, v10, v11
	s_delay_alu instid0(VALU_DEP_1)
	v_dual_mov_b32 v11, v6 :: v_dual_cndmask_b32 v10, 0, v10
	v_cmp_le_f32_e32 vcc_lo, 0xc1a00000, v8
	s_waitcnt vmcnt(1)
	v_dual_cndmask_b32 v8, 0, v9 :: v_dual_mov_b32 v9, v5
	v_cmp_nlt_f32_e32 vcc_lo, 0x42b17218, v0
	v_cndmask_b32_e32 v5, 0x7f800000, v10, vcc_lo
	s_delay_alu instid0(VALU_DEP_3) | instskip(SKIP_2) | instid1(VALU_DEP_3)
	v_mul_f32_e32 v10, s11, v8
	v_cmp_le_f32_e32 vcc_lo, 0xc1a00000, v0
	v_mov_b32_e32 v0, v7
	v_mov_b32_e32 v6, v10
	s_waitcnt vmcnt(0)
	v_dual_cndmask_b32 v12, 0, v5 :: v_dual_mul_f32 v5, v4, v8
	s_delay_alu instid0(VALU_DEP_1) | instskip(NEXT) | instid1(VALU_DEP_2)
	v_dual_fmac_f32 v6, v11, v12 :: v_dual_add_nc_u32 v3, 0xfffff400, v3
	v_fmac_f32_e32 v5, v9, v12
	s_cbranch_scc0 .LBB16_3
	s_branch .LBB16_5
.LBB16_4:
	s_waitcnt lgkmcnt(0)
	v_mov_b32_e32 v6, s11
.LBB16_5:
	s_waitcnt vmcnt(0)
	s_delay_alu instid0(VALU_DEP_1) | instskip(NEXT) | instid1(VALU_DEP_1)
	v_div_scale_f32 v0, null, v6, v6, v5
	v_rcp_f32_e32 v3, v0
	s_waitcnt_depctr 0xfff
	v_fma_f32 v4, -v0, v3, 1.0
	s_delay_alu instid0(VALU_DEP_1) | instskip(SKIP_1) | instid1(VALU_DEP_1)
	v_fmac_f32_e32 v3, v4, v3
	v_div_scale_f32 v4, vcc_lo, v5, v6, v5
	v_mul_f32_e32 v7, v4, v3
	s_delay_alu instid0(VALU_DEP_1) | instskip(NEXT) | instid1(VALU_DEP_1)
	v_fma_f32 v8, -v0, v7, v4
	v_fmac_f32_e32 v7, v8, v3
	s_delay_alu instid0(VALU_DEP_1) | instskip(NEXT) | instid1(VALU_DEP_1)
	v_fma_f32 v0, -v0, v7, v4
	v_div_fmas_f32 v0, v0, v3, v7
	s_delay_alu instid0(VALU_DEP_1)
	v_div_fixup_f32 v0, v0, v6, v5
	global_store_b32 v[1:2], v0, off
.LBB16_6:
	s_nop 0
	s_sendmsg sendmsg(MSG_DEALLOC_VGPRS)
	s_endpgm
	.section	.rodata,"a",@progbits
	.p2align	6, 0x0
	.amdhsa_kernel _ZL33flash_attn_stream_k_fixup_uniformILi96ELi8ELi4EEvPfPK15HIP_vector_typeIfLj2EEiiiiiiS1_IjLj3EES5_S5_
		.amdhsa_group_segment_fixed_size 0
		.amdhsa_private_segment_fixed_size 0
		.amdhsa_kernarg_size 76
		.amdhsa_user_sgpr_count 13
		.amdhsa_user_sgpr_dispatch_ptr 0
		.amdhsa_user_sgpr_queue_ptr 0
		.amdhsa_user_sgpr_kernarg_segment_ptr 1
		.amdhsa_user_sgpr_dispatch_id 0
		.amdhsa_user_sgpr_private_segment_size 0
		.amdhsa_wavefront_size32 1
		.amdhsa_uses_dynamic_stack 0
		.amdhsa_enable_private_segment 0
		.amdhsa_system_sgpr_workgroup_id_x 1
		.amdhsa_system_sgpr_workgroup_id_y 1
		.amdhsa_system_sgpr_workgroup_id_z 1
		.amdhsa_system_sgpr_workgroup_info 0
		.amdhsa_system_vgpr_workitem_id 0
		.amdhsa_next_free_vgpr 15
		.amdhsa_next_free_sgpr 20
		.amdhsa_reserve_vcc 1
		.amdhsa_float_round_mode_32 0
		.amdhsa_float_round_mode_16_64 0
		.amdhsa_float_denorm_mode_32 3
		.amdhsa_float_denorm_mode_16_64 3
		.amdhsa_dx10_clamp 1
		.amdhsa_ieee_mode 1
		.amdhsa_fp16_overflow 0
		.amdhsa_workgroup_processor_mode 1
		.amdhsa_memory_ordered 1
		.amdhsa_forward_progress 0
		.amdhsa_shared_vgpr_count 0
		.amdhsa_exception_fp_ieee_invalid_op 0
		.amdhsa_exception_fp_denorm_src 0
		.amdhsa_exception_fp_ieee_div_zero 0
		.amdhsa_exception_fp_ieee_overflow 0
		.amdhsa_exception_fp_ieee_underflow 0
		.amdhsa_exception_fp_ieee_inexact 0
		.amdhsa_exception_int_div_zero 0
	.end_amdhsa_kernel
	.section	.text._ZL33flash_attn_stream_k_fixup_uniformILi96ELi8ELi4EEvPfPK15HIP_vector_typeIfLj2EEiiiiiiS1_IjLj3EES5_S5_,"axG",@progbits,_ZL33flash_attn_stream_k_fixup_uniformILi96ELi8ELi4EEvPfPK15HIP_vector_typeIfLj2EEiiiiiiS1_IjLj3EES5_S5_,comdat
.Lfunc_end16:
	.size	_ZL33flash_attn_stream_k_fixup_uniformILi96ELi8ELi4EEvPfPK15HIP_vector_typeIfLj2EEiiiiiiS1_IjLj3EES5_S5_, .Lfunc_end16-_ZL33flash_attn_stream_k_fixup_uniformILi96ELi8ELi4EEvPfPK15HIP_vector_typeIfLj2EEiiiiiiS1_IjLj3EES5_S5_
                                        ; -- End function
	.section	.AMDGPU.csdata,"",@progbits
; Kernel info:
; codeLenInByte = 992
; NumSgprs: 22
; NumVgprs: 15
; ScratchSize: 0
; MemoryBound: 0
; FloatMode: 240
; IeeeMode: 1
; LDSByteSize: 0 bytes/workgroup (compile time only)
; SGPRBlocks: 2
; VGPRBlocks: 1
; NumSGPRsForWavesPerEU: 22
; NumVGPRsForWavesPerEU: 15
; Occupancy: 16
; WaveLimiterHint : 0
; COMPUTE_PGM_RSRC2:SCRATCH_EN: 0
; COMPUTE_PGM_RSRC2:USER_SGPR: 13
; COMPUTE_PGM_RSRC2:TRAP_HANDLER: 0
; COMPUTE_PGM_RSRC2:TGID_X_EN: 1
; COMPUTE_PGM_RSRC2:TGID_Y_EN: 1
; COMPUTE_PGM_RSRC2:TGID_Z_EN: 1
; COMPUTE_PGM_RSRC2:TIDIG_COMP_CNT: 0
	.section	.text._ZL33flash_attn_stream_k_fixup_generalILi96ELi8ELi4EEvPfPK15HIP_vector_typeIfLj2EEiiiiS1_IjLj3EES5_S5_S5_,"axG",@progbits,_ZL33flash_attn_stream_k_fixup_generalILi96ELi8ELi4EEvPfPK15HIP_vector_typeIfLj2EEiiiiS1_IjLj3EES5_S5_S5_,comdat
	.globl	_ZL33flash_attn_stream_k_fixup_generalILi96ELi8ELi4EEvPfPK15HIP_vector_typeIfLj2EEiiiiS1_IjLj3EES5_S5_S5_ ; -- Begin function _ZL33flash_attn_stream_k_fixup_generalILi96ELi8ELi4EEvPfPK15HIP_vector_typeIfLj2EEiiiiS1_IjLj3EES5_S5_S5_
	.p2align	8
	.type	_ZL33flash_attn_stream_k_fixup_generalILi96ELi8ELi4EEvPfPK15HIP_vector_typeIfLj2EEiiiiS1_IjLj3EES5_S5_S5_,@function
_ZL33flash_attn_stream_k_fixup_generalILi96ELi8ELi4EEvPfPK15HIP_vector_typeIfLj2EEiiiiS1_IjLj3EES5_S5_S5_: ; @_ZL33flash_attn_stream_k_fixup_generalILi96ELi8ELi4EEvPfPK15HIP_vector_typeIfLj2EEiiiiS1_IjLj3EES5_S5_S5_
; %bb.0:
	s_clause 0x1
	s_load_b128 s[4:7], s[0:1], 0x10
	s_load_b32 s20, s[0:1], 0x50
	s_mov_b32 s2, 0
	s_waitcnt lgkmcnt(0)
	s_mul_hi_i32 s3, s7, s13
	s_mul_i32 s12, s7, s13
	s_cmp_lg_u64 s[2:3], 0
	s_cbranch_scc0 .LBB17_21
; %bb.1:
	v_cvt_f32_ubyte0_e32 v1, 0
	v_cvt_f32_u32_e32 v2, s20
	s_sub_u32 s10, 0, s20
	s_subb_u32 s11, 0, 0
	s_delay_alu instid0(VALU_DEP_1) | instskip(NEXT) | instid1(VALU_DEP_1)
	v_fmamk_f32 v1, v1, 0x4f800000, v2
	v_rcp_f32_e32 v1, v1
	s_waitcnt_depctr 0xfff
	v_mul_f32_e32 v1, 0x5f7ffffc, v1
	s_delay_alu instid0(VALU_DEP_1) | instskip(NEXT) | instid1(VALU_DEP_1)
	v_mul_f32_e32 v2, 0x2f800000, v1
	v_trunc_f32_e32 v2, v2
	s_delay_alu instid0(VALU_DEP_1) | instskip(SKIP_1) | instid1(VALU_DEP_2)
	v_fmamk_f32 v1, v2, 0xcf800000, v1
	v_cvt_u32_f32_e32 v2, v2
	v_cvt_u32_f32_e32 v1, v1
	s_delay_alu instid0(VALU_DEP_2) | instskip(NEXT) | instid1(VALU_DEP_2)
	v_readfirstlane_b32 s8, v2
	v_readfirstlane_b32 s9, v1
	s_delay_alu instid0(VALU_DEP_2) | instskip(NEXT) | instid1(VALU_DEP_1)
	s_mul_i32 s16, s10, s8
	s_mul_hi_u32 s18, s10, s9
	s_mul_i32 s17, s11, s9
	s_add_i32 s16, s18, s16
	s_mul_i32 s19, s10, s9
	s_add_i32 s16, s16, s17
	s_mul_hi_u32 s18, s9, s19
	s_mul_hi_u32 s21, s8, s19
	s_mul_i32 s17, s8, s19
	s_mul_hi_u32 s19, s9, s16
	s_mul_i32 s9, s9, s16
	s_mul_hi_u32 s22, s8, s16
	s_add_u32 s9, s18, s9
	s_addc_u32 s18, 0, s19
	s_add_u32 s9, s9, s17
	s_mul_i32 s16, s8, s16
	s_addc_u32 s9, s18, s21
	s_addc_u32 s17, s22, 0
	s_add_u32 s9, s9, s16
	s_addc_u32 s16, 0, s17
	v_add_co_u32 v1, s9, v1, s9
	s_delay_alu instid0(VALU_DEP_1) | instskip(SKIP_1) | instid1(VALU_DEP_1)
	s_cmp_lg_u32 s9, 0
	s_addc_u32 s8, s8, s16
	v_readfirstlane_b32 s9, v1
	s_mul_i32 s16, s10, s8
	s_delay_alu instid0(VALU_DEP_1)
	s_mul_hi_u32 s17, s10, s9
	s_mul_i32 s11, s11, s9
	s_add_i32 s16, s17, s16
	s_mul_i32 s10, s10, s9
	s_add_i32 s16, s16, s11
	s_mul_hi_u32 s17, s8, s10
	s_mul_i32 s18, s8, s10
	s_mul_hi_u32 s10, s9, s10
	s_mul_hi_u32 s19, s9, s16
	s_mul_i32 s9, s9, s16
	s_mul_hi_u32 s11, s8, s16
	s_add_u32 s9, s10, s9
	s_addc_u32 s10, 0, s19
	s_add_u32 s9, s9, s18
	s_mul_i32 s16, s8, s16
	s_addc_u32 s9, s10, s17
	s_addc_u32 s10, s11, 0
	s_add_u32 s9, s9, s16
	s_addc_u32 s10, 0, s10
	v_add_co_u32 v1, s9, v1, s9
	s_delay_alu instid0(VALU_DEP_1) | instskip(SKIP_2) | instid1(SALU_CYCLE_1)
	s_cmp_lg_u32 s9, 0
	s_addc_u32 s16, s8, s10
	s_ashr_i32 s8, s3, 31
	s_add_u32 s10, s12, s8
	s_addc_u32 s11, s3, s8
	v_readfirstlane_b32 s3, v1
	s_mov_b32 s9, s8
	s_delay_alu instid0(SALU_CYCLE_1) | instskip(NEXT) | instid1(SALU_CYCLE_1)
	s_xor_b64 s[10:11], s[10:11], s[8:9]
	s_mul_i32 s18, s10, s16
	s_delay_alu instid0(VALU_DEP_1)
	s_mul_hi_u32 s19, s10, s3
	s_mul_hi_u32 s17, s10, s16
	;; [unrolled: 1-line block ×3, first 2 shown]
	s_mul_i32 s3, s11, s3
	s_add_u32 s18, s19, s18
	s_addc_u32 s17, 0, s17
	s_mul_hi_u32 s21, s11, s16
	s_add_u32 s3, s18, s3
	s_mul_i32 s16, s11, s16
	s_addc_u32 s3, s17, s22
	s_addc_u32 s17, s21, 0
	s_add_u32 s3, s3, s16
	s_addc_u32 s16, 0, s17
	s_mul_i32 s18, s20, s3
	s_add_u32 s17, s3, 1
	v_sub_co_u32 v1, s10, s10, s18
	s_mul_hi_u32 s18, s20, s3
	s_addc_u32 s19, s16, 0
	s_mul_i32 s21, s20, s16
	s_delay_alu instid0(VALU_DEP_1)
	v_sub_co_u32 v2, s22, v1, s20
	s_add_u32 s23, s3, 2
	s_addc_u32 s24, s16, 0
	s_add_i32 s18, s18, s21
	s_cmp_lg_u32 s10, 0
	v_readfirstlane_b32 s10, v2
	s_subb_u32 s11, s11, s18
	s_cmp_lg_u32 s22, 0
	s_subb_u32 s18, s11, 0
	s_delay_alu instid0(VALU_DEP_1) | instskip(SKIP_4) | instid1(SALU_CYCLE_1)
	s_cmp_ge_u32 s10, s20
	s_cselect_b32 s10, -1, 0
	s_cmp_eq_u32 s18, 0
	v_readfirstlane_b32 s18, v1
	s_cselect_b32 s10, s10, -1
	s_cmp_lg_u32 s10, 0
	s_cselect_b32 s10, s23, s17
	s_cselect_b32 s17, s24, s19
	s_cmp_ge_u32 s18, s20
	s_cselect_b32 s18, -1, 0
	s_cmp_eq_u32 s11, 0
	s_cselect_b32 s11, s18, -1
	s_delay_alu instid0(SALU_CYCLE_1) | instskip(SKIP_2) | instid1(SALU_CYCLE_1)
	s_cmp_lg_u32 s11, 0
	s_cselect_b32 s11, s17, s16
	s_cselect_b32 s10, s10, s3
	s_xor_b64 s[10:11], s[10:11], s[8:9]
	s_delay_alu instid0(SALU_CYCLE_1)
	s_sub_u32 s16, s10, s8
	s_load_b128 s[8:11], s[0:1], 0x44
	s_and_not1_b32 vcc_lo, exec_lo, s2
	s_cbranch_vccnz .LBB17_3
.LBB17_2:
	v_cvt_f32_u32_e32 v1, s20
	s_sub_i32 s3, 0, s20
	s_delay_alu instid0(VALU_DEP_1) | instskip(SKIP_2) | instid1(VALU_DEP_1)
	v_rcp_iflag_f32_e32 v1, v1
	s_waitcnt_depctr 0xfff
	v_mul_f32_e32 v1, 0x4f7ffffe, v1
	v_cvt_u32_f32_e32 v1, v1
	s_delay_alu instid0(VALU_DEP_1) | instskip(NEXT) | instid1(VALU_DEP_1)
	v_readfirstlane_b32 s2, v1
	s_mul_i32 s3, s3, s2
	s_delay_alu instid0(SALU_CYCLE_1) | instskip(NEXT) | instid1(SALU_CYCLE_1)
	s_mul_hi_u32 s3, s2, s3
	s_add_i32 s2, s2, s3
	s_delay_alu instid0(SALU_CYCLE_1) | instskip(NEXT) | instid1(SALU_CYCLE_1)
	s_mul_hi_u32 s2, s12, s2
	s_mul_i32 s3, s2, s20
	s_waitcnt lgkmcnt(0)
	s_add_i32 s11, s2, 1
	s_sub_i32 s3, s12, s3
	s_delay_alu instid0(SALU_CYCLE_1)
	s_sub_i32 s12, s3, s20
	s_cmp_ge_u32 s3, s20
	s_cselect_b32 s2, s11, s2
	s_cselect_b32 s3, s12, s3
	s_add_i32 s11, s2, 1
	s_cmp_ge_u32 s3, s20
	s_cselect_b32 s16, s11, s2
.LBB17_3:
	s_waitcnt lgkmcnt(0)
	s_add_i32 s11, s13, 1
	s_mov_b32 s2, 0
	s_mul_hi_i32 s3, s7, s11
	s_mul_i32 s11, s7, s11
	s_cmp_lg_u64 s[2:3], 0
	s_cbranch_scc0 .LBB17_22
; %bb.4:
	v_cvt_f32_ubyte0_e32 v1, 0
	v_cvt_f32_u32_e32 v2, s20
	s_sub_u32 s18, 0, s20
	s_subb_u32 s19, 0, 0
	s_delay_alu instid0(VALU_DEP_1) | instskip(NEXT) | instid1(VALU_DEP_1)
	v_fmamk_f32 v1, v1, 0x4f800000, v2
	v_rcp_f32_e32 v1, v1
	s_waitcnt_depctr 0xfff
	v_mul_f32_e32 v1, 0x5f7ffffc, v1
	s_delay_alu instid0(VALU_DEP_1) | instskip(NEXT) | instid1(VALU_DEP_1)
	v_mul_f32_e32 v2, 0x2f800000, v1
	v_trunc_f32_e32 v2, v2
	s_delay_alu instid0(VALU_DEP_1) | instskip(SKIP_1) | instid1(VALU_DEP_2)
	v_fmamk_f32 v1, v2, 0xcf800000, v1
	v_cvt_u32_f32_e32 v2, v2
	v_cvt_u32_f32_e32 v1, v1
	s_delay_alu instid0(VALU_DEP_2) | instskip(NEXT) | instid1(VALU_DEP_2)
	v_readfirstlane_b32 s12, v2
	v_readfirstlane_b32 s17, v1
	s_delay_alu instid0(VALU_DEP_2) | instskip(NEXT) | instid1(VALU_DEP_1)
	s_mul_i32 s21, s18, s12
	s_mul_hi_u32 s23, s18, s17
	s_mul_i32 s22, s19, s17
	s_add_i32 s21, s23, s21
	s_mul_i32 s24, s18, s17
	s_add_i32 s21, s21, s22
	s_mul_hi_u32 s23, s17, s24
	s_mul_hi_u32 s25, s12, s24
	s_mul_i32 s22, s12, s24
	s_mul_hi_u32 s24, s17, s21
	s_mul_i32 s17, s17, s21
	s_mul_hi_u32 s26, s12, s21
	s_add_u32 s17, s23, s17
	s_addc_u32 s23, 0, s24
	s_add_u32 s17, s17, s22
	s_mul_i32 s21, s12, s21
	s_addc_u32 s17, s23, s25
	s_addc_u32 s22, s26, 0
	s_add_u32 s17, s17, s21
	s_addc_u32 s21, 0, s22
	v_add_co_u32 v1, s17, v1, s17
	s_delay_alu instid0(VALU_DEP_1) | instskip(SKIP_1) | instid1(VALU_DEP_1)
	s_cmp_lg_u32 s17, 0
	s_addc_u32 s12, s12, s21
	v_readfirstlane_b32 s17, v1
	s_mul_i32 s21, s18, s12
	s_delay_alu instid0(VALU_DEP_1)
	s_mul_hi_u32 s22, s18, s17
	s_mul_i32 s19, s19, s17
	s_add_i32 s21, s22, s21
	s_mul_i32 s18, s18, s17
	s_add_i32 s21, s21, s19
	s_mul_hi_u32 s22, s12, s18
	s_mul_i32 s23, s12, s18
	s_mul_hi_u32 s18, s17, s18
	s_mul_hi_u32 s24, s17, s21
	s_mul_i32 s17, s17, s21
	s_mul_hi_u32 s19, s12, s21
	s_add_u32 s17, s18, s17
	s_addc_u32 s18, 0, s24
	s_add_u32 s17, s17, s23
	s_mul_i32 s21, s12, s21
	s_addc_u32 s17, s18, s22
	s_addc_u32 s18, s19, 0
	s_add_u32 s17, s17, s21
	s_addc_u32 s18, 0, s18
	v_add_co_u32 v1, s17, v1, s17
	s_delay_alu instid0(VALU_DEP_1) | instskip(SKIP_2) | instid1(SALU_CYCLE_1)
	s_cmp_lg_u32 s17, 0
	s_addc_u32 s12, s12, s18
	s_ashr_i32 s18, s3, 31
	s_add_u32 s22, s11, s18
	s_addc_u32 s23, s3, s18
	v_readfirstlane_b32 s3, v1
	s_mov_b32 s19, s18
	s_delay_alu instid0(SALU_CYCLE_1) | instskip(NEXT) | instid1(SALU_CYCLE_1)
	s_xor_b64 s[22:23], s[22:23], s[18:19]
	s_mul_i32 s21, s22, s12
	s_delay_alu instid0(VALU_DEP_1)
	s_mul_hi_u32 s24, s22, s3
	s_mul_hi_u32 s17, s22, s12
	;; [unrolled: 1-line block ×3, first 2 shown]
	s_mul_i32 s3, s23, s3
	s_add_u32 s21, s24, s21
	s_addc_u32 s17, 0, s17
	s_mul_hi_u32 s25, s23, s12
	s_add_u32 s3, s21, s3
	s_mul_i32 s12, s23, s12
	s_addc_u32 s3, s17, s26
	s_addc_u32 s17, s25, 0
	s_add_u32 s3, s3, s12
	s_addc_u32 s12, 0, s17
	s_mul_i32 s21, s20, s3
	s_add_u32 s17, s3, 1
	v_sub_co_u32 v1, s21, s22, s21
	s_mul_hi_u32 s22, s20, s3
	s_addc_u32 s24, s12, 0
	s_mul_i32 s25, s20, s12
	s_delay_alu instid0(VALU_DEP_1)
	v_sub_co_u32 v2, s26, v1, s20
	s_add_u32 s27, s3, 2
	s_addc_u32 s28, s12, 0
	s_add_i32 s22, s22, s25
	s_cmp_lg_u32 s21, 0
	v_readfirstlane_b32 s21, v2
	s_subb_u32 s22, s23, s22
	s_cmp_lg_u32 s26, 0
	s_subb_u32 s23, s22, 0
	s_delay_alu instid0(VALU_DEP_1) | instskip(SKIP_4) | instid1(SALU_CYCLE_1)
	s_cmp_ge_u32 s21, s20
	s_cselect_b32 s21, -1, 0
	s_cmp_eq_u32 s23, 0
	v_readfirstlane_b32 s23, v1
	s_cselect_b32 s21, s21, -1
	s_cmp_lg_u32 s21, 0
	s_cselect_b32 s17, s27, s17
	s_cselect_b32 s21, s28, s24
	s_cmp_ge_u32 s23, s20
	s_cselect_b32 s23, -1, 0
	s_cmp_eq_u32 s22, 0
	s_cselect_b32 s22, s23, -1
	s_delay_alu instid0(SALU_CYCLE_1) | instskip(SKIP_2) | instid1(SALU_CYCLE_1)
	s_cmp_lg_u32 s22, 0
	s_cselect_b32 s23, s21, s12
	s_cselect_b32 s22, s17, s3
	s_xor_b64 s[22:23], s[22:23], s[18:19]
	s_delay_alu instid0(SALU_CYCLE_1)
	s_sub_u32 s18, s22, s18
	s_and_not1_b32 vcc_lo, exec_lo, s2
	s_cbranch_vccnz .LBB17_6
.LBB17_5:
	v_cvt_f32_u32_e32 v1, s20
	s_sub_i32 s3, 0, s20
	s_delay_alu instid0(VALU_DEP_1) | instskip(SKIP_2) | instid1(VALU_DEP_1)
	v_rcp_iflag_f32_e32 v1, v1
	s_waitcnt_depctr 0xfff
	v_mul_f32_e32 v1, 0x4f7ffffe, v1
	v_cvt_u32_f32_e32 v1, v1
	s_delay_alu instid0(VALU_DEP_1) | instskip(NEXT) | instid1(VALU_DEP_1)
	v_readfirstlane_b32 s2, v1
	s_mul_i32 s3, s3, s2
	s_delay_alu instid0(SALU_CYCLE_1) | instskip(NEXT) | instid1(SALU_CYCLE_1)
	s_mul_hi_u32 s3, s2, s3
	s_add_i32 s2, s2, s3
	s_delay_alu instid0(SALU_CYCLE_1) | instskip(NEXT) | instid1(SALU_CYCLE_1)
	s_mul_hi_u32 s2, s11, s2
	s_mul_i32 s3, s2, s20
	s_delay_alu instid0(SALU_CYCLE_1)
	s_sub_i32 s3, s11, s3
	s_add_i32 s11, s2, 1
	s_sub_i32 s12, s3, s20
	s_cmp_ge_u32 s3, s20
	s_cselect_b32 s2, s11, s2
	s_cselect_b32 s3, s12, s3
	s_add_i32 s11, s2, 1
	s_cmp_ge_u32 s3, s20
	s_cselect_b32 s18, s11, s2
.LBB17_6:
	s_delay_alu instid0(SALU_CYCLE_1) | instskip(SKIP_3) | instid1(SALU_CYCLE_1)
	s_cmp_eq_u32 s16, s18
	s_mul_hi_u32 s2, s16, s8
	s_cselect_b32 s3, -1, 0
	s_add_i32 s2, s2, s16
	s_lshr_b32 s11, s2, s9
	s_delay_alu instid0(SALU_CYCLE_1) | instskip(NEXT) | instid1(SALU_CYCLE_1)
	s_mul_i32 s2, s11, s10
	s_cmp_eq_u32 s2, s16
	s_mul_hi_u32 s2, s18, s8
	s_cselect_b32 s12, -1, 0
	s_add_i32 s2, s2, s18
	s_delay_alu instid0(SALU_CYCLE_1) | instskip(NEXT) | instid1(SALU_CYCLE_1)
	s_lshr_b32 s2, s2, s9
	s_cmp_eq_u32 s11, s2
	s_mul_i32 s2, s2, s10
	s_cselect_b32 s17, -1, 0
	s_cmp_lg_u32 s2, s18
	s_cselect_b32 s2, -1, 0
	s_or_b32 s3, s3, s12
	s_and_b32 s2, s17, s2
	s_delay_alu instid0(SALU_CYCLE_1) | instskip(NEXT) | instid1(SALU_CYCLE_1)
	s_or_b32 s2, s3, s2
	s_and_b32 vcc_lo, exec_lo, s2
	s_cbranch_vccnz .LBB17_24
; %bb.7:
	s_load_b256 s[24:31], s[0:1], 0x20
	s_waitcnt lgkmcnt(0)
	s_mul_hi_u32 s2, s16, s24
	s_delay_alu instid0(SALU_CYCLE_1) | instskip(NEXT) | instid1(SALU_CYCLE_1)
	s_add_i32 s2, s2, s16
	s_lshr_b32 s17, s2, s25
	s_load_b32 s2, s[0:1], 0x40
	s_mul_i32 s3, s17, s26
	s_delay_alu instid0(SALU_CYCLE_1) | instskip(NEXT) | instid1(SALU_CYCLE_1)
	s_sub_i32 s3, s16, s3
	s_mul_hi_u32 s12, s3, s27
	s_delay_alu instid0(SALU_CYCLE_1) | instskip(NEXT) | instid1(SALU_CYCLE_1)
	s_add_i32 s12, s3, s12
	s_lshr_b32 s19, s12, s28
	s_delay_alu instid0(SALU_CYCLE_1) | instskip(NEXT) | instid1(SALU_CYCLE_1)
	s_mul_i32 s12, s19, s29
	s_sub_i32 s3, s3, s12
	s_delay_alu instid0(SALU_CYCLE_1) | instskip(NEXT) | instid1(SALU_CYCLE_1)
	s_mul_hi_u32 s12, s3, s30
	s_add_i32 s12, s3, s12
	s_delay_alu instid0(SALU_CYCLE_1)
	s_lshr_b32 s12, s12, s31
	s_waitcnt lgkmcnt(0)
	s_mul_i32 s2, s12, s2
	s_lshl_b32 s21, s12, 2
	s_sub_i32 s2, s3, s2
	s_mov_b32 s12, 0
	s_mul_hi_u32 s3, s2, s8
	s_delay_alu instid0(SALU_CYCLE_1) | instskip(NEXT) | instid1(SALU_CYCLE_1)
	s_add_i32 s2, s2, s3
	s_lshr_b32 s18, s2, s9
	s_delay_alu instid0(SALU_CYCLE_1) | instskip(NEXT) | instid1(SALU_CYCLE_1)
	s_lshl_b32 s2, s18, 3
	s_add_i32 s2, s2, s14
	s_delay_alu instid0(SALU_CYCLE_1) | instskip(SKIP_2) | instid1(SALU_CYCLE_1)
	s_cmp_lt_i32 s2, s4
	s_cselect_b32 s2, -1, 0
	s_add_i32 s21, s21, s15
	s_cmp_lt_i32 s21, s6
	s_cselect_b32 s3, -1, 0
	s_delay_alu instid0(SALU_CYCLE_1) | instskip(NEXT) | instid1(SALU_CYCLE_1)
	s_and_b32 s2, s2, s3
	s_and_not1_b32 vcc_lo, exec_lo, s2
	s_cbranch_vccnz .LBB17_24
; %bb.8:
	s_load_b128 s[0:3], s[0:1], 0x0
	s_lshl_b32 s22, s20, 7
	s_mov_b32 s23, s12
	s_lshl_b32 s24, s14, 2
	s_lshl_b64 s[22:23], s[22:23], 2
	s_mul_i32 s19, s19, s6
	s_mul_i32 s4, s17, s4
	s_add_i32 s6, s24, s15
	v_cvt_f32_ubyte0_e32 v3, 0
	v_cvt_f32_u32_e32 v4, s20
	s_waitcnt lgkmcnt(0)
	s_add_u32 s15, s2, s22
	s_addc_u32 s17, s3, s23
	s_add_i32 s4, s4, s14
	s_add_i32 s14, s21, s19
	s_mul_i32 s4, s4, s5
	s_mul_i32 s5, s5, s18
	s_add_i32 s4, s14, s4
	s_mulk_i32 s5, 0x300
	s_mulk_i32 s4, 0x60
	s_delay_alu instid0(SALU_CYCLE_1) | instskip(NEXT) | instid1(VALU_DEP_1)
	v_add3_u32 v1, s5, s4, v0
	v_ashrrev_i32_e32 v2, 31, v1
	s_delay_alu instid0(VALU_DEP_1) | instskip(NEXT) | instid1(VALU_DEP_1)
	v_lshlrev_b64 v[1:2], 2, v[1:2]
	v_add_co_u32 v1, vcc_lo, s0, v1
	s_delay_alu instid0(VALU_DEP_2) | instskip(SKIP_1) | instid1(SALU_CYCLE_1)
	v_add_co_ci_u32_e32 v2, vcc_lo, s1, v2, vcc_lo
	s_lshl_b32 s0, s13, 5
	s_add_i32 s0, s6, s0
	global_load_b32 v5, v[1:2], off
	s_ashr_i32 s1, s0, 31
	s_delay_alu instid0(SALU_CYCLE_1) | instskip(NEXT) | instid1(SALU_CYCLE_1)
	s_lshl_b64 s[0:1], s[0:1], 3
	s_add_u32 s0, s2, s0
	s_addc_u32 s1, s3, s1
	s_add_i32 s18, s13, -1
	s_load_b64 s[0:1], s[0:1], 0x0
	v_fmac_f32_e32 v4, 0x4f800000, v3
	s_sub_i32 s14, 0, s20
	s_delay_alu instid0(VALU_DEP_1)
	v_rcp_f32_e32 v3, v4
	s_waitcnt_depctr 0xfff
	v_mul_f32_e32 v6, 0x5f7ffffc, v3
	v_cvt_f32_u32_e32 v3, s20
	s_waitcnt lgkmcnt(0)
	v_mov_b32_e32 v8, s0
	s_delay_alu instid0(VALU_DEP_3) | instskip(NEXT) | instid1(VALU_DEP_3)
	v_mul_f32_e32 v4, 0x2f800000, v6
	v_rcp_iflag_f32_e32 v7, v3
	s_delay_alu instid0(VALU_DEP_1) | instskip(SKIP_1) | instid1(VALU_DEP_2)
	v_trunc_f32_e32 v9, v4
	v_mad_u64_u32 v[3:4], null, 0x60, s6, v[0:1]
	v_fmac_f32_e32 v6, 0xcf800000, v9
	s_waitcnt_depctr 0xfff
	v_dual_mul_f32 v10, 0x4f7ffffe, v7 :: v_dual_mov_b32 v7, s1
	v_cvt_u32_f32_e32 v4, v9
	v_cvt_u32_f32_e32 v0, v6
	s_delay_alu instid0(VALU_DEP_3)
	v_cvt_u32_f32_e32 v6, v10
.LBB17_9:                               ; =>This Inner Loop Header: Depth=1
	s_mul_hi_i32 s13, s18, s7
	s_mul_i32 s4, s18, s7
	s_cmp_lg_u64 s[12:13], 0
	s_mov_b32 s5, -1
                                        ; implicit-def: $sgpr0_sgpr1
	s_cbranch_scc0 .LBB17_11
; %bb.10:                               ;   in Loop: Header=BB17_9 Depth=1
	v_readfirstlane_b32 s0, v0
	v_readfirstlane_b32 s1, v4
	s_sub_u32 s5, 0, s20
	s_subb_u32 s19, 0, 0
	s_delay_alu instid0(VALU_DEP_2) | instskip(NEXT) | instid1(VALU_DEP_1)
	s_mul_hi_u32 s21, s5, s0
	s_mul_i32 s22, s5, s1
	s_mul_i32 s23, s19, s0
	s_add_i32 s21, s21, s22
	s_mul_i32 s22, s5, s0
	s_add_i32 s21, s21, s23
	s_mul_hi_u32 s23, s0, s22
	s_mul_i32 s24, s0, s21
	s_mul_hi_u32 s0, s0, s21
	s_add_u32 s23, s23, s24
	s_mul_i32 s25, s1, s22
	s_addc_u32 s0, 0, s0
	s_mul_hi_u32 s22, s1, s22
	s_mul_hi_u32 s24, s1, s21
	s_add_u32 s23, s23, s25
	s_addc_u32 s0, s0, s22
	s_mul_i32 s21, s1, s21
	s_addc_u32 s22, s24, 0
	s_add_u32 s0, s0, s21
	s_addc_u32 s21, 0, s22
	v_add_co_u32 v9, s0, v0, s0
	s_delay_alu instid0(VALU_DEP_1) | instskip(SKIP_1) | instid1(VALU_DEP_1)
	s_cmp_lg_u32 s0, 0
	s_addc_u32 s1, s1, s21
	v_readfirstlane_b32 s0, v9
	s_mul_i32 s21, s5, s1
	s_delay_alu instid0(VALU_DEP_1)
	s_mul_hi_u32 s22, s5, s0
	s_mul_i32 s19, s19, s0
	s_add_i32 s21, s22, s21
	s_mul_i32 s5, s5, s0
	s_add_i32 s21, s21, s19
	s_mul_hi_u32 s19, s1, s5
	s_mul_i32 s23, s1, s5
	s_mul_i32 s24, s0, s21
	s_mul_hi_u32 s5, s0, s5
	s_mul_hi_u32 s0, s0, s21
	s_add_u32 s5, s5, s24
	s_addc_u32 s0, 0, s0
	s_mul_hi_u32 s22, s1, s21
	s_add_u32 s5, s5, s23
	s_addc_u32 s0, s0, s19
	s_mul_i32 s5, s1, s21
	s_addc_u32 s19, s22, 0
	s_add_u32 s0, s0, s5
	s_addc_u32 s5, 0, s19
	v_add_co_u32 v9, s0, v9, s0
	s_delay_alu instid0(VALU_DEP_1) | instskip(SKIP_2) | instid1(SALU_CYCLE_1)
	s_cmp_lg_u32 s0, 0
	s_addc_u32 s5, s1, s5
	s_ashr_i32 s0, s13, 31
	s_add_u32 s22, s4, s0
	s_addc_u32 s23, s13, s0
	v_readfirstlane_b32 s13, v9
	s_mov_b32 s1, s0
	s_delay_alu instid0(SALU_CYCLE_1) | instskip(NEXT) | instid1(SALU_CYCLE_1)
	s_xor_b64 s[22:23], s[22:23], s[0:1]
	s_mul_i32 s19, s22, s5
	s_delay_alu instid0(VALU_DEP_1)
	s_mul_hi_u32 s21, s22, s13
	s_mul_hi_u32 s24, s22, s5
	s_add_u32 s19, s21, s19
	s_mul_i32 s25, s23, s13
	s_addc_u32 s21, 0, s24
	s_mul_hi_u32 s13, s23, s13
	s_mul_hi_u32 s24, s23, s5
	s_add_u32 s19, s19, s25
	s_addc_u32 s13, s21, s13
	s_mul_i32 s5, s23, s5
	s_addc_u32 s19, s24, 0
	s_add_u32 s5, s13, s5
	s_addc_u32 s13, 0, s19
	s_mul_i32 s21, s20, s5
	s_add_u32 s19, s5, 1
	v_sub_co_u32 v9, s21, s22, s21
	s_addc_u32 s22, s13, 0
	s_mul_i32 s25, s20, s13
	s_mul_hi_u32 s27, s20, s5
	s_delay_alu instid0(VALU_DEP_1)
	v_sub_co_u32 v10, s26, v9, s20
	s_add_u32 s24, s5, 2
	s_addc_u32 s28, s13, 0
	s_add_i32 s27, s27, s25
	s_cmp_lg_u32 s21, 0
	v_readfirstlane_b32 s21, v10
	s_subb_u32 s23, s23, s27
	s_cmp_lg_u32 s26, 0
	s_subb_u32 s25, s23, 0
	s_delay_alu instid0(VALU_DEP_1) | instskip(SKIP_4) | instid1(SALU_CYCLE_1)
	s_cmp_ge_u32 s21, s20
	s_cselect_b32 s21, -1, 0
	s_cmp_eq_u32 s25, 0
	v_readfirstlane_b32 s25, v9
	s_cselect_b32 s21, s21, -1
	s_cmp_lg_u32 s21, 0
	s_cselect_b32 s19, s24, s19
	s_cselect_b32 s21, s28, s22
	s_cmp_ge_u32 s25, s20
	s_cselect_b32 s22, -1, 0
	s_cmp_eq_u32 s23, 0
	s_cselect_b32 s22, s22, -1
	s_delay_alu instid0(SALU_CYCLE_1) | instskip(SKIP_4) | instid1(SALU_CYCLE_1)
	s_cmp_lg_u32 s22, 0
	s_cselect_b32 s23, s21, s13
	s_cselect_b32 s22, s19, s5
	s_mov_b32 s5, 0
	s_xor_b64 s[22:23], s[22:23], s[0:1]
	s_sub_u32 s0, s22, s0
.LBB17_11:                              ;   in Loop: Header=BB17_9 Depth=1
	s_and_not1_b32 vcc_lo, exec_lo, s5
	s_cbranch_vccnz .LBB17_13
; %bb.12:                               ;   in Loop: Header=BB17_9 Depth=1
	v_readfirstlane_b32 s0, v6
	s_delay_alu instid0(VALU_DEP_1) | instskip(NEXT) | instid1(SALU_CYCLE_1)
	s_mul_i32 s1, s14, s0
	s_mul_hi_u32 s1, s0, s1
	s_delay_alu instid0(SALU_CYCLE_1) | instskip(NEXT) | instid1(SALU_CYCLE_1)
	s_add_i32 s0, s0, s1
	s_mul_hi_u32 s0, s4, s0
	s_delay_alu instid0(SALU_CYCLE_1) | instskip(NEXT) | instid1(SALU_CYCLE_1)
	s_mul_i32 s1, s0, s20
	s_sub_i32 s1, s4, s1
	s_add_i32 s4, s0, 1
	s_sub_i32 s5, s1, s20
	s_cmp_ge_u32 s1, s20
	s_cselect_b32 s0, s4, s0
	s_cselect_b32 s1, s5, s1
	s_add_i32 s4, s0, 1
	s_cmp_ge_u32 s1, s20
	s_cselect_b32 s0, s4, s0
.LBB17_13:                              ;   in Loop: Header=BB17_9 Depth=1
	s_delay_alu instid0(SALU_CYCLE_1)
	s_cmp_lg_u32 s16, s0
	s_cbranch_scc0 .LBB17_17
; %bb.14:                               ;   in Loop: Header=BB17_9 Depth=1
	s_add_i32 s1, s18, s20
	s_mov_b32 s5, s12
	s_lshl_b32 s1, s1, 5
	s_mov_b32 s19, s16
	s_add_i32 s4, s1, s6
	s_mul_hi_u32 s1, s0, s8
	s_lshl_b64 s[4:5], s[4:5], 3
	s_delay_alu instid0(SALU_CYCLE_1) | instskip(SKIP_2) | instid1(SALU_CYCLE_1)
	s_add_u32 s4, s2, s4
	s_addc_u32 s5, s3, s5
	s_add_i32 s1, s1, s0
	s_lshr_b32 s1, s1, s9
	s_delay_alu instid0(SALU_CYCLE_1) | instskip(NEXT) | instid1(SALU_CYCLE_1)
	s_mul_i32 s13, s1, s10
	s_cmp_eq_u32 s13, s0
	s_cselect_b32 s13, -1, 0
	s_cmp_lt_u32 s1, s11
	s_cselect_b32 s1, -1, 0
	s_delay_alu instid0(SALU_CYCLE_1)
	s_or_b32 s1, s1, s13
	s_mov_b32 s13, -1
	s_and_b32 vcc_lo, exec_lo, s1
	s_mov_b32 s1, s18
	s_cbranch_vccnz .LBB17_16
; %bb.15:                               ;   in Loop: Header=BB17_9 Depth=1
	s_add_i32 s1, s18, -1
	s_mov_b32 s13, 0
	s_mov_b32 s19, s0
.LBB17_16:                              ;   in Loop: Header=BB17_9 Depth=1
	v_mad_u64_u32 v[9:10], null, 0xc00, s18, v[3:4]
	s_load_b64 s[4:5], s[4:5], 0x0
	s_delay_alu instid0(VALU_DEP_1) | instskip(NEXT) | instid1(VALU_DEP_1)
	v_ashrrev_i32_e32 v10, 31, v9
	v_lshlrev_b64 v[9:10], 2, v[9:10]
	s_delay_alu instid0(VALU_DEP_1) | instskip(NEXT) | instid1(VALU_DEP_2)
	v_add_co_u32 v9, vcc_lo, s15, v9
	v_add_co_ci_u32_e32 v10, vcc_lo, s17, v10, vcc_lo
	s_waitcnt lgkmcnt(0)
	v_max_f32_e64 v11, s4, s4
	global_load_b32 v10, v[9:10], off
	v_max_f32_e32 v9, v8, v8
	s_delay_alu instid0(VALU_DEP_1) | instskip(NEXT) | instid1(VALU_DEP_1)
	v_max_f32_e32 v9, v9, v11
	v_sub_f32_e32 v12, v8, v9
	s_delay_alu instid0(VALU_DEP_1) | instskip(NEXT) | instid1(VALU_DEP_1)
	v_dual_mul_f32 v14, 0x3fb8aa3b, v12 :: v_dual_sub_f32 v11, s4, v9
	v_rndne_f32_e32 v18, v14
	s_delay_alu instid0(VALU_DEP_2) | instskip(SKIP_2) | instid1(VALU_DEP_4)
	v_mul_f32_e32 v13, 0x3fb8aa3b, v11
	v_fma_f32 v17, 0x3fb8aa3b, v12, -v14
	v_cmp_ngt_f32_e32 vcc_lo, 0xc2ce8ed0, v11
	v_sub_f32_e32 v14, v14, v18
	s_delay_alu instid0(VALU_DEP_4) | instskip(SKIP_2) | instid1(VALU_DEP_3)
	v_fma_f32 v15, 0x3fb8aa3b, v11, -v13
	v_rndne_f32_e32 v16, v13
	v_fmac_f32_e32 v17, 0x32a5705f, v12
	v_fmac_f32_e32 v15, 0x32a5705f, v11
	s_delay_alu instid0(VALU_DEP_2) | instskip(NEXT) | instid1(VALU_DEP_1)
	v_dual_sub_f32 v13, v13, v16 :: v_dual_add_f32 v14, v14, v17
	v_add_f32_e32 v13, v13, v15
	s_delay_alu instid0(VALU_DEP_2) | instskip(SKIP_2) | instid1(VALU_DEP_3)
	v_exp_f32_e32 v14, v14
	v_cvt_i32_f32_e32 v15, v16
	v_cvt_i32_f32_e32 v16, v18
	v_exp_f32_e32 v13, v13
	s_waitcnt_depctr 0xfff
	v_ldexp_f32 v14, v14, v16
	v_ldexp_f32 v13, v13, v15
	s_delay_alu instid0(VALU_DEP_1) | instskip(SKIP_1) | instid1(VALU_DEP_4)
	v_cndmask_b32_e32 v13, 0, v13, vcc_lo
	v_cmp_ngt_f32_e32 vcc_lo, 0xc2ce8ed0, v12
	v_cndmask_b32_e32 v14, 0, v14, vcc_lo
	v_cmp_nlt_f32_e32 vcc_lo, 0x42b17218, v11
	s_delay_alu instid0(VALU_DEP_4) | instskip(SKIP_1) | instid1(VALU_DEP_4)
	v_cndmask_b32_e32 v13, 0x7f800000, v13, vcc_lo
	v_cmp_nlt_f32_e32 vcc_lo, 0x42b17218, v12
	v_cndmask_b32_e32 v14, 0x7f800000, v14, vcc_lo
	v_cmp_le_f32_e32 vcc_lo, 0xc1a00000, v11
	s_delay_alu instid0(VALU_DEP_4) | instskip(SKIP_1) | instid1(VALU_DEP_4)
	v_cndmask_b32_e32 v11, 0, v13, vcc_lo
	v_cmp_le_f32_e32 vcc_lo, 0xc1a00000, v12
	v_cndmask_b32_e32 v12, 0, v14, vcc_lo
	s_waitcnt vmcnt(0)
	s_delay_alu instid0(VALU_DEP_3) | instskip(NEXT) | instid1(VALU_DEP_1)
	v_mul_f32_e32 v10, v10, v11
	v_dual_mul_f32 v11, s5, v11 :: v_dual_fmac_f32 v10, v5, v12
	s_delay_alu instid0(VALU_DEP_1)
	v_fmac_f32_e32 v11, v7, v12
	s_cbranch_execz .LBB17_18
	s_branch .LBB17_19
.LBB17_17:                              ;   in Loop: Header=BB17_9 Depth=1
                                        ; implicit-def: $sgpr13
                                        ; implicit-def: $vgpr10
                                        ; implicit-def: $vgpr9
                                        ; implicit-def: $vgpr11
                                        ; implicit-def: $sgpr1
                                        ; implicit-def: $sgpr19
.LBB17_18:                              ;   in Loop: Header=BB17_9 Depth=1
	s_waitcnt vmcnt(0)
	v_dual_mov_b32 v11, v7 :: v_dual_mov_b32 v10, v5
	v_mov_b32_e32 v9, v8
	s_add_i32 s1, s18, -1
	s_mov_b32 s13, 0
	s_mov_b32 s19, s16
.LBB17_19:                              ;   in Loop: Header=BB17_9 Depth=1
	s_and_not1_b32 vcc_lo, exec_lo, s13
	s_cbranch_vccz .LBB17_23
; %bb.20:                               ;   in Loop: Header=BB17_9 Depth=1
	v_dual_mov_b32 v7, v11 :: v_dual_mov_b32 v8, v9
	s_waitcnt vmcnt(0)
	v_mov_b32_e32 v5, v10
	s_mov_b32 s16, s19
	s_mov_b32 s18, s1
	s_branch .LBB17_9
.LBB17_21:
                                        ; implicit-def: $sgpr16_sgpr17
	s_load_b128 s[8:11], s[0:1], 0x44
	s_branch .LBB17_2
.LBB17_22:
                                        ; implicit-def: $sgpr18_sgpr19
	s_branch .LBB17_5
.LBB17_23:
	v_div_scale_f32 v0, null, v11, v11, v10
	s_delay_alu instid0(VALU_DEP_1) | instskip(SKIP_2) | instid1(VALU_DEP_1)
	v_rcp_f32_e32 v3, v0
	s_waitcnt_depctr 0xfff
	v_fma_f32 v4, -v0, v3, 1.0
	v_fmac_f32_e32 v3, v4, v3
	v_div_scale_f32 v4, vcc_lo, v10, v11, v10
	s_waitcnt vmcnt(0)
	s_delay_alu instid0(VALU_DEP_1) | instskip(NEXT) | instid1(VALU_DEP_1)
	v_mul_f32_e32 v5, v4, v3
	v_fma_f32 v6, -v0, v5, v4
	s_delay_alu instid0(VALU_DEP_1) | instskip(NEXT) | instid1(VALU_DEP_1)
	v_fmac_f32_e32 v5, v6, v3
	v_fma_f32 v0, -v0, v5, v4
	s_delay_alu instid0(VALU_DEP_1) | instskip(NEXT) | instid1(VALU_DEP_1)
	v_div_fmas_f32 v0, v0, v3, v5
	v_div_fixup_f32 v0, v0, v11, v10
	global_store_b32 v[1:2], v0, off
.LBB17_24:
	s_nop 0
	s_sendmsg sendmsg(MSG_DEALLOC_VGPRS)
	s_endpgm
	.section	.rodata,"a",@progbits
	.p2align	6, 0x0
	.amdhsa_kernel _ZL33flash_attn_stream_k_fixup_generalILi96ELi8ELi4EEvPfPK15HIP_vector_typeIfLj2EEiiiiS1_IjLj3EES5_S5_S5_
		.amdhsa_group_segment_fixed_size 0
		.amdhsa_private_segment_fixed_size 0
		.amdhsa_kernarg_size 336
		.amdhsa_user_sgpr_count 13
		.amdhsa_user_sgpr_dispatch_ptr 0
		.amdhsa_user_sgpr_queue_ptr 0
		.amdhsa_user_sgpr_kernarg_segment_ptr 1
		.amdhsa_user_sgpr_dispatch_id 0
		.amdhsa_user_sgpr_private_segment_size 0
		.amdhsa_wavefront_size32 1
		.amdhsa_uses_dynamic_stack 0
		.amdhsa_enable_private_segment 0
		.amdhsa_system_sgpr_workgroup_id_x 1
		.amdhsa_system_sgpr_workgroup_id_y 1
		.amdhsa_system_sgpr_workgroup_id_z 1
		.amdhsa_system_sgpr_workgroup_info 0
		.amdhsa_system_vgpr_workitem_id 0
		.amdhsa_next_free_vgpr 19
		.amdhsa_next_free_sgpr 32
		.amdhsa_reserve_vcc 1
		.amdhsa_float_round_mode_32 0
		.amdhsa_float_round_mode_16_64 0
		.amdhsa_float_denorm_mode_32 3
		.amdhsa_float_denorm_mode_16_64 3
		.amdhsa_dx10_clamp 1
		.amdhsa_ieee_mode 1
		.amdhsa_fp16_overflow 0
		.amdhsa_workgroup_processor_mode 1
		.amdhsa_memory_ordered 1
		.amdhsa_forward_progress 0
		.amdhsa_shared_vgpr_count 0
		.amdhsa_exception_fp_ieee_invalid_op 0
		.amdhsa_exception_fp_denorm_src 0
		.amdhsa_exception_fp_ieee_div_zero 0
		.amdhsa_exception_fp_ieee_overflow 0
		.amdhsa_exception_fp_ieee_underflow 0
		.amdhsa_exception_fp_ieee_inexact 0
		.amdhsa_exception_int_div_zero 0
	.end_amdhsa_kernel
	.section	.text._ZL33flash_attn_stream_k_fixup_generalILi96ELi8ELi4EEvPfPK15HIP_vector_typeIfLj2EEiiiiS1_IjLj3EES5_S5_S5_,"axG",@progbits,_ZL33flash_attn_stream_k_fixup_generalILi96ELi8ELi4EEvPfPK15HIP_vector_typeIfLj2EEiiiiS1_IjLj3EES5_S5_S5_,comdat
.Lfunc_end17:
	.size	_ZL33flash_attn_stream_k_fixup_generalILi96ELi8ELi4EEvPfPK15HIP_vector_typeIfLj2EEiiiiS1_IjLj3EES5_S5_S5_, .Lfunc_end17-_ZL33flash_attn_stream_k_fixup_generalILi96ELi8ELi4EEvPfPK15HIP_vector_typeIfLj2EEiiiiS1_IjLj3EES5_S5_S5_
                                        ; -- End function
	.section	.AMDGPU.csdata,"",@progbits
; Kernel info:
; codeLenInByte = 3224
; NumSgprs: 34
; NumVgprs: 19
; ScratchSize: 0
; MemoryBound: 0
; FloatMode: 240
; IeeeMode: 1
; LDSByteSize: 0 bytes/workgroup (compile time only)
; SGPRBlocks: 4
; VGPRBlocks: 2
; NumSGPRsForWavesPerEU: 34
; NumVGPRsForWavesPerEU: 19
; Occupancy: 16
; WaveLimiterHint : 0
; COMPUTE_PGM_RSRC2:SCRATCH_EN: 0
; COMPUTE_PGM_RSRC2:USER_SGPR: 13
; COMPUTE_PGM_RSRC2:TRAP_HANDLER: 0
; COMPUTE_PGM_RSRC2:TGID_X_EN: 1
; COMPUTE_PGM_RSRC2:TGID_Y_EN: 1
; COMPUTE_PGM_RSRC2:TGID_Z_EN: 1
; COMPUTE_PGM_RSRC2:TIDIG_COMP_CNT: 0
	.section	.text._ZL26flash_attn_combine_resultsILi96EEvPKfPK15HIP_vector_typeIfLj2EEPfi,"axG",@progbits,_ZL26flash_attn_combine_resultsILi96EEvPKfPK15HIP_vector_typeIfLj2EEPfi,comdat
	.globl	_ZL26flash_attn_combine_resultsILi96EEvPKfPK15HIP_vector_typeIfLj2EEPfi ; -- Begin function _ZL26flash_attn_combine_resultsILi96EEvPKfPK15HIP_vector_typeIfLj2EEPfi
	.p2align	8
	.type	_ZL26flash_attn_combine_resultsILi96EEvPKfPK15HIP_vector_typeIfLj2EEPfi,@function
_ZL26flash_attn_combine_resultsILi96EEvPKfPK15HIP_vector_typeIfLj2EEPfi: ; @_ZL26flash_attn_combine_resultsILi96EEvPKfPK15HIP_vector_typeIfLj2EEPfi
; %bb.0:
	s_clause 0x3
	s_load_b64 s[2:3], s[0:1], 0x20
	s_load_b32 s12, s[0:1], 0x18
	s_load_b128 s[8:11], s[0:1], 0x0
	s_load_b64 s[16:17], s[0:1], 0x10
	v_lshlrev_b32_e32 v7, 2, v0
	s_mov_b32 s4, exec_lo
	s_waitcnt lgkmcnt(0)
	s_mul_i32 s0, s2, s15
	s_lshl_b32 s1, s12, 1
	s_add_i32 s0, s0, s13
	s_delay_alu instid0(SALU_CYCLE_1) | instskip(NEXT) | instid1(SALU_CYCLE_1)
	s_mul_i32 s7, s0, s3
	s_add_i32 s7, s7, s14
	s_delay_alu instid0(SALU_CYCLE_1)
	s_mul_i32 s2, s7, s12
	v_cmpx_gt_i32_e64 s1, v0
	s_cbranch_execz .LBB18_3
; %bb.1:
	s_ashr_i32 s3, s2, 31
	v_dual_mov_b32 v4, v0 :: v_dual_add_nc_u32 v3, 0, v7
	s_lshl_b64 s[14:15], s[2:3], 3
	s_delay_alu instid0(SALU_CYCLE_1) | instskip(SKIP_2) | instid1(VALU_DEP_1)
	s_add_u32 s0, s10, s14
	s_addc_u32 s3, s11, s15
	v_add_co_u32 v1, s0, s0, v7
	v_add_co_ci_u32_e64 v2, null, s3, 0, s0
	s_mov_b32 s3, 0
	.p2align	6
.LBB18_2:                               ; =>This Inner Loop Header: Depth=1
	global_load_b32 v5, v[1:2], off
	v_add_nc_u32_e32 v4, 0x60, v4
	v_add_co_u32 v1, vcc_lo, 0x180, v1
	v_add_co_ci_u32_e32 v2, vcc_lo, 0, v2, vcc_lo
	s_delay_alu instid0(VALU_DEP_3) | instskip(NEXT) | instid1(VALU_DEP_1)
	v_cmp_le_i32_e64 s0, s1, v4
	s_or_b32 s3, s0, s3
	s_waitcnt vmcnt(0)
	ds_store_b32 v3, v5
	v_add_nc_u32_e32 v3, 0x180, v3
	s_and_not1_b32 exec_lo, exec_lo, s3
	s_cbranch_execnz .LBB18_2
.LBB18_3:
	s_or_b32 exec_lo, exec_lo, s4
	v_mov_b32_e32 v1, 0
	s_waitcnt lgkmcnt(0)
	s_barrier
	buffer_gl0_inv
	s_cmp_lt_i32 s12, 2
	ds_load_b32 v8, v1
	s_cbranch_scc1 .LBB18_11
; %bb.4:
	s_add_i32 s1, s12, -2
	s_add_i32 s0, s12, -1
	s_cmp_lt_u32 s1, 7
	s_cbranch_scc1 .LBB18_8
; %bb.5:
	s_mov_b32 s3, 0
	s_add_i32 s1, 0, 8
	s_and_b32 s4, s0, -8
	.p2align	6
.LBB18_6:                               ; =>This Inner Loop Header: Depth=1
	v_mov_b32_e32 v9, s1
	s_mov_b32 s5, s3
	s_add_i32 s3, s3, 8
	s_add_i32 s1, s1, 64
	s_cmp_eq_u32 s4, s3
	ds_load_2addr_b32 v[1:2], v9 offset1:2
	ds_load_2addr_b32 v[3:4], v9 offset0:4 offset1:6
	ds_load_2addr_b32 v[5:6], v9 offset0:8 offset1:10
	ds_load_2addr_b32 v[9:10], v9 offset0:12 offset1:14
	s_waitcnt lgkmcnt(3)
	v_max3_f32 v1, v8, v1, v2
	s_waitcnt lgkmcnt(2)
	s_delay_alu instid0(VALU_DEP_1) | instskip(SKIP_1) | instid1(VALU_DEP_1)
	v_max3_f32 v1, v1, v3, v4
	s_waitcnt lgkmcnt(1)
	v_max3_f32 v1, v1, v5, v6
	s_waitcnt lgkmcnt(0)
	s_delay_alu instid0(VALU_DEP_1)
	v_max3_f32 v8, v1, v9, v10
	s_cbranch_scc0 .LBB18_6
; %bb.7:
	s_add_i32 s1, s5, 9
	s_and_b32 s0, s0, 7
	s_delay_alu instid0(SALU_CYCLE_1)
	s_cmp_eq_u32 s0, 0
	s_cbranch_scc0 .LBB18_9
	s_branch .LBB18_11
.LBB18_8:
	s_mov_b32 s1, 1
	s_and_b32 s0, s0, 7
	s_delay_alu instid0(SALU_CYCLE_1)
	s_cmp_eq_u32 s0, 0
	s_cbranch_scc1 .LBB18_11
.LBB18_9:
	s_lshl_b32 s1, s1, 3
	s_delay_alu instid0(SALU_CYCLE_1)
	s_add_i32 s1, s1, 0
.LBB18_10:                              ; =>This Inner Loop Header: Depth=1
	s_waitcnt lgkmcnt(0)
	s_delay_alu instid0(VALU_DEP_1)
	v_dual_mov_b32 v1, s1 :: v_dual_max_f32 v2, v8, v8
	s_add_i32 s0, s0, -1
	s_add_i32 s1, s1, 8
	s_cmp_lg_u32 s0, 0
	ds_load_b32 v1, v1
	s_waitcnt lgkmcnt(0)
	v_max_f32_e32 v1, v1, v1
	s_delay_alu instid0(VALU_DEP_1)
	v_max_f32_e32 v8, v2, v1
	s_cbranch_scc1 .LBB18_10
.LBB18_11:
	s_cmp_lt_i32 s12, 1
	s_cbranch_scc1 .LBB18_16
; %bb.12:
	s_mul_i32 s10, s2, 0x60
	v_mov_b32_e32 v9, 0
	s_ashr_i32 s11, s10, 31
	s_cmp_lt_u32 s12, 8
	s_mov_b32 s14, 0
	s_cbranch_scc1 .LBB18_17
; %bb.13:
	s_lshl_b64 s[0:1], s[10:11], 2
	v_or_b32_e32 v3, 0x180, v0
	s_add_u32 s15, s8, s0
	s_addc_u32 s18, s9, s1
	v_add_co_u32 v1, s0, s15, v7
	s_delay_alu instid0(VALU_DEP_1) | instskip(SKIP_1) | instid1(VALU_DEP_3)
	v_add_co_ci_u32_e64 v2, null, s18, 0, s0
	v_dual_mov_b32 v6, 0 :: v_dual_mov_b32 v9, 0
	v_add_co_u32 v1, vcc_lo, 0x180, v1
	s_delay_alu instid0(VALU_DEP_3)
	v_add_co_ci_u32_e32 v2, vcc_lo, 0, v2, vcc_lo
	v_mov_b32_e32 v10, 0
	s_and_b32 s13, s12, 0x7ffffff8
	s_mov_b32 s19, 0
.LBB18_14:                              ; =>This Inner Loop Header: Depth=1
	v_dual_mov_b32 v4, v6 :: v_dual_add_nc_u32 v5, 0xfffffe80, v3
	global_load_b32 v27, v[1:2], off
	s_add_i32 s19, s19, 8
	v_lshlrev_b64 v[11:12], 2, v[5:6]
	v_lshlrev_b64 v[13:14], 2, v[3:4]
	v_add_nc_u32_e32 v5, 0xffffff40, v3
	s_delay_alu instid0(VALU_DEP_3) | instskip(NEXT) | instid1(VALU_DEP_4)
	v_add_co_u32 v11, vcc_lo, s15, v11
	v_add_co_ci_u32_e32 v12, vcc_lo, s18, v12, vcc_lo
	s_delay_alu instid0(VALU_DEP_4) | instskip(NEXT) | instid1(VALU_DEP_4)
	v_add_co_u32 v13, vcc_lo, s15, v13
	v_lshlrev_b64 v[15:16], 2, v[5:6]
	global_load_b32 v28, v[11:12], off
	v_add_co_ci_u32_e32 v14, vcc_lo, s18, v14, vcc_lo
	v_add_nc_u32_e32 v5, 0xffffffa0, v3
	global_load_b32 v31, v[13:14], off
	v_add_co_u32 v11, vcc_lo, s15, v15
	v_add_co_ci_u32_e32 v12, vcc_lo, s18, v16, vcc_lo
	v_lshlrev_b64 v[17:18], 2, v[5:6]
	v_add_nc_u32_e32 v5, 0x60, v3
	global_load_b32 v29, v[11:12], off
	v_lshlrev_b64 v[15:16], 2, v[5:6]
	v_add_co_u32 v17, vcc_lo, s15, v17
	v_add_co_ci_u32_e32 v18, vcc_lo, s18, v18, vcc_lo
	v_add_nc_u32_e32 v5, 0xc0, v3
	s_delay_alu instid0(VALU_DEP_4)
	v_add_co_u32 v15, vcc_lo, s15, v15
	v_add_co_ci_u32_e32 v16, vcc_lo, s18, v16, vcc_lo
	s_clause 0x1
	global_load_b32 v30, v[17:18], off
	global_load_b32 v32, v[15:16], off
	v_lshlrev_b64 v[11:12], 2, v[5:6]
	v_add_nc_u32_e32 v5, 0x120, v3
	v_add_nc_u32_e32 v3, 0x300, v3
	s_delay_alu instid0(VALU_DEP_2) | instskip(NEXT) | instid1(VALU_DEP_4)
	v_lshlrev_b64 v[4:5], 2, v[5:6]
	v_add_co_u32 v11, vcc_lo, s15, v11
	v_add_co_ci_u32_e32 v12, vcc_lo, s18, v12, vcc_lo
	s_delay_alu instid0(VALU_DEP_3) | instskip(NEXT) | instid1(VALU_DEP_4)
	v_add_co_u32 v4, vcc_lo, s15, v4
	v_add_co_ci_u32_e32 v5, vcc_lo, s18, v5, vcc_lo
	s_clause 0x1
	global_load_b32 v33, v[11:12], off
	global_load_b32 v4, v[4:5], off
	v_mov_b32_e32 v5, s14
	ds_load_2addr_b64 v[11:14], v5 offset1:1
	ds_load_2addr_b64 v[15:18], v5 offset0:2 offset1:3
	ds_load_2addr_b64 v[19:22], v5 offset0:4 offset1:5
	;; [unrolled: 1-line block ×3, first 2 shown]
	s_add_i32 s14, s14, 64
	s_cmp_eq_u32 s13, s19
	s_waitcnt lgkmcnt(3)
	v_sub_f32_e32 v5, v11, v8
	v_sub_f32_e32 v11, v13, v8
	s_waitcnt lgkmcnt(2)
	v_sub_f32_e32 v13, v15, v8
	v_sub_f32_e32 v15, v17, v8
	s_waitcnt lgkmcnt(1)
	v_sub_f32_e32 v17, v19, v8
	v_sub_f32_e32 v19, v21, v8
	s_waitcnt lgkmcnt(0)
	v_sub_f32_e32 v21, v23, v8
	s_delay_alu instid0(VALU_DEP_2) | instskip(SKIP_2) | instid1(VALU_DEP_3)
	v_dual_sub_f32 v23, v25, v8 :: v_dual_mul_f32 v38, 0x3fb8aa3b, v19
	v_mul_f32_e32 v34, 0x3fb8aa3b, v11
	v_cmp_ngt_f32_e32 vcc_lo, 0xc2ce8ed0, v11
	v_fma_f32 v51, 0x3fb8aa3b, v19, -v38
	s_delay_alu instid0(VALU_DEP_3) | instskip(SKIP_2) | instid1(VALU_DEP_4)
	v_fma_f32 v43, 0x3fb8aa3b, v11, -v34
	v_rndne_f32_e32 v44, v34
	v_rndne_f32_e32 v52, v38
	v_fmac_f32_e32 v51, 0x32a5705f, v19
	s_delay_alu instid0(VALU_DEP_3) | instskip(SKIP_1) | instid1(VALU_DEP_4)
	v_dual_fmac_f32 v43, 0x32a5705f, v11 :: v_dual_sub_f32 v34, v34, v44
	v_cvt_i32_f32_e32 v44, v44
	v_sub_f32_e32 v38, v38, v52
	v_cvt_i32_f32_e32 v52, v52
	s_delay_alu instid0(VALU_DEP_4) | instskip(SKIP_3) | instid1(VALU_DEP_4)
	v_add_f32_e32 v34, v34, v43
	v_dual_mul_f32 v36, 0x3fb8aa3b, v15 :: v_dual_mul_f32 v25, 0x3fb8aa3b, v5
	v_cmp_ngt_f32_e64 s6, 0xc2ce8ed0, v5
	v_cmp_ngt_f32_e64 s1, 0xc2ce8ed0, v15
	v_exp_f32_e32 v34, v34
	s_delay_alu instid0(VALU_DEP_3)
	v_fma_f32 v47, 0x3fb8aa3b, v15, -v36
	v_fma_f32 v41, 0x3fb8aa3b, v5, -v25
	v_rndne_f32_e32 v42, v25
	v_rndne_f32_e32 v48, v36
	v_add_f32_e32 v38, v38, v51
	v_fmac_f32_e32 v47, 0x32a5705f, v15
	v_fmac_f32_e32 v41, 0x32a5705f, v5
	v_sub_f32_e32 v25, v25, v42
	v_cvt_i32_f32_e32 v42, v42
	v_ldexp_f32 v34, v34, v44
	v_sub_f32_e32 v36, v36, v48
	v_cvt_i32_f32_e32 v48, v48
	v_add_f32_e32 v25, v25, v41
	v_exp_f32_e32 v38, v38
	v_cndmask_b32_e32 v34, 0, v34, vcc_lo
	v_cmp_nlt_f32_e32 vcc_lo, 0x42b17218, v5
	v_add_f32_e32 v36, v36, v47
	v_exp_f32_e32 v25, v25
	v_cmp_ngt_f32_e64 s2, 0xc2ce8ed0, v17
	v_cmp_ngt_f32_e64 s3, 0xc2ce8ed0, v19
	s_delay_alu instid0(VALU_DEP_3) | instskip(NEXT) | instid1(TRANS32_DEP_3)
	v_exp_f32_e32 v36, v36
	v_ldexp_f32 v38, v38, v52
	s_waitcnt_depctr 0xfff
	v_ldexp_f32 v25, v25, v42
	v_cndmask_b32_e64 v38, 0, v38, s3
	v_ldexp_f32 v36, v36, v48
	s_delay_alu instid0(VALU_DEP_3) | instskip(NEXT) | instid1(VALU_DEP_2)
	v_cndmask_b32_e64 v25, 0, v25, s6
	v_cndmask_b32_e64 v36, 0, v36, s1
	s_delay_alu instid0(VALU_DEP_2) | instskip(SKIP_1) | instid1(VALU_DEP_2)
	v_cndmask_b32_e32 v5, 0x7f800000, v25, vcc_lo
	v_cmp_nlt_f32_e32 vcc_lo, 0x42b17218, v11
	v_dual_fmac_f32 v10, v5, v12 :: v_dual_cndmask_b32 v11, 0x7f800000, v34
	s_delay_alu instid0(VALU_DEP_1) | instskip(SKIP_4) | instid1(VALU_DEP_4)
	v_fmac_f32_e32 v10, v11, v14
	v_dual_mul_f32 v40, 0x3fb8aa3b, v23 :: v_dual_mul_f32 v35, 0x3fb8aa3b, v13
	v_cmp_ngt_f32_e64 s0, 0xc2ce8ed0, v13
	v_cmp_nlt_f32_e32 vcc_lo, 0x42b17218, v13
	v_cmp_ngt_f32_e64 s5, 0xc2ce8ed0, v23
	v_fma_f32 v55, 0x3fb8aa3b, v23, -v40
	v_fma_f32 v45, 0x3fb8aa3b, v13, -v35
	v_rndne_f32_e32 v46, v35
	v_rndne_f32_e32 v56, v40
	s_delay_alu instid0(VALU_DEP_4) | instskip(NEXT) | instid1(VALU_DEP_4)
	v_fmac_f32_e32 v55, 0x32a5705f, v23
	v_fmac_f32_e32 v45, 0x32a5705f, v13
	s_delay_alu instid0(VALU_DEP_4) | instskip(SKIP_3) | instid1(VALU_DEP_2)
	v_sub_f32_e32 v35, v35, v46
	v_cvt_i32_f32_e32 v46, v46
	v_sub_f32_e32 v40, v40, v56
	v_cvt_i32_f32_e32 v56, v56
	v_dual_add_f32 v35, v35, v45 :: v_dual_add_f32 v40, v40, v55
	v_cmp_ngt_f32_e64 s4, 0xc2ce8ed0, v21
	s_delay_alu instid0(VALU_DEP_2) | instskip(NEXT) | instid1(VALU_DEP_2)
	v_exp_f32_e32 v35, v35
	v_exp_f32_e32 v40, v40
	s_waitcnt_depctr 0xfff
	v_ldexp_f32 v35, v35, v46
	v_ldexp_f32 v40, v40, v56
	s_delay_alu instid0(VALU_DEP_2) | instskip(SKIP_1) | instid1(VALU_DEP_3)
	v_cndmask_b32_e64 v35, 0, v35, s0
	v_cmp_nlt_f32_e64 s0, 0x42b17218, v23
	v_cndmask_b32_e64 v40, 0, v40, s5
	s_waitcnt vmcnt(6)
	v_fmac_f32_e32 v9, v28, v5
	v_cndmask_b32_e32 v5, 0x7f800000, v35, vcc_lo
	v_cmp_nlt_f32_e32 vcc_lo, 0x42b17218, v15
	s_delay_alu instid0(VALU_DEP_2) | instskip(SKIP_3) | instid1(VALU_DEP_3)
	v_dual_fmac_f32 v9, v27, v11 :: v_dual_fmac_f32 v10, v5, v16
	v_cndmask_b32_e32 v11, 0x7f800000, v36, vcc_lo
	v_mul_f32_e32 v37, 0x3fb8aa3b, v17
	v_cmp_nlt_f32_e32 vcc_lo, 0x42b17218, v17
	v_fmac_f32_e32 v10, v11, v18
	s_delay_alu instid0(VALU_DEP_3) | instskip(SKIP_3) | instid1(VALU_DEP_3)
	v_fma_f32 v49, 0x3fb8aa3b, v17, -v37
	v_rndne_f32_e32 v50, v37
	s_waitcnt vmcnt(4)
	v_fmac_f32_e32 v9, v29, v5
	v_fmac_f32_e32 v49, 0x32a5705f, v17
	s_delay_alu instid0(VALU_DEP_3) | instskip(SKIP_1) | instid1(VALU_DEP_2)
	v_sub_f32_e32 v37, v37, v50
	v_cvt_i32_f32_e32 v50, v50
	v_add_f32_e32 v37, v37, v49
	s_waitcnt vmcnt(3)
	v_fmac_f32_e32 v9, v30, v11
	s_delay_alu instid0(VALU_DEP_2) | instskip(SKIP_2) | instid1(VALU_DEP_1)
	v_exp_f32_e32 v37, v37
	s_waitcnt_depctr 0xfff
	v_ldexp_f32 v37, v37, v50
	v_cndmask_b32_e64 v37, 0, v37, s2
	s_delay_alu instid0(VALU_DEP_1) | instskip(SKIP_2) | instid1(VALU_DEP_3)
	v_cndmask_b32_e32 v5, 0x7f800000, v37, vcc_lo
	v_mul_f32_e32 v39, 0x3fb8aa3b, v21
	v_cmp_nlt_f32_e32 vcc_lo, 0x42b17218, v19
	v_fmac_f32_e32 v10, v5, v20
	s_delay_alu instid0(VALU_DEP_3)
	v_fma_f32 v53, 0x3fb8aa3b, v21, -v39
	v_rndne_f32_e32 v54, v39
	v_cndmask_b32_e32 v11, 0x7f800000, v38, vcc_lo
	v_fmac_f32_e32 v9, v31, v5
	v_cmp_nlt_f32_e32 vcc_lo, 0x42b17218, v21
	v_fmac_f32_e32 v53, 0x32a5705f, v21
	v_sub_f32_e32 v39, v39, v54
	v_cvt_i32_f32_e32 v54, v54
	s_waitcnt vmcnt(2)
	v_dual_fmac_f32 v10, v11, v22 :: v_dual_fmac_f32 v9, v32, v11
	v_cndmask_b32_e64 v11, 0x7f800000, v40, s0
	v_add_f32_e32 v39, v39, v53
	s_delay_alu instid0(VALU_DEP_1) | instskip(SKIP_2) | instid1(VALU_DEP_1)
	v_exp_f32_e32 v39, v39
	s_waitcnt_depctr 0xfff
	v_ldexp_f32 v39, v39, v54
	v_cndmask_b32_e64 v39, 0, v39, s4
	s_delay_alu instid0(VALU_DEP_1) | instskip(SKIP_2) | instid1(VALU_DEP_3)
	v_cndmask_b32_e32 v5, 0x7f800000, v39, vcc_lo
	v_add_co_u32 v1, vcc_lo, 0xc00, v1
	v_add_co_ci_u32_e32 v2, vcc_lo, 0, v2, vcc_lo
	v_fmac_f32_e32 v10, v5, v24
	s_waitcnt vmcnt(1)
	s_delay_alu instid0(VALU_DEP_1) | instskip(SKIP_1) | instid1(VALU_DEP_1)
	v_dual_fmac_f32 v9, v33, v5 :: v_dual_fmac_f32 v10, v11, v26
	s_waitcnt vmcnt(0)
	v_fmac_f32_e32 v9, v4, v11
	s_cbranch_scc0 .LBB18_14
; %bb.15:
	s_and_b32 s1, s12, 7
	s_delay_alu instid0(SALU_CYCLE_1)
	s_cmp_eq_u32 s1, 0
	s_cbranch_scc0 .LBB18_18
	s_branch .LBB18_20
.LBB18_16:
	v_mov_b32_e32 v0, 0x7fc00000
	s_branch .LBB18_21
.LBB18_17:
	v_mov_b32_e32 v10, 0
	s_mov_b32 s13, 0
	s_and_b32 s1, s12, 7
	s_delay_alu instid0(SALU_CYCLE_1)
	s_cmp_eq_u32 s1, 0
	s_cbranch_scc1 .LBB18_20
.LBB18_18:
	v_mad_u64_u32 v[1:2], null, 0x60, s13, v[0:1]
	v_mov_b32_e32 v2, 0
	s_lshl_b64 s[2:3], s[10:11], 2
	s_delay_alu instid0(SALU_CYCLE_1) | instskip(SKIP_1) | instid1(VALU_DEP_1)
	s_add_u32 s0, s8, s2
	s_addc_u32 s2, s9, s3
	v_lshlrev_b64 v[0:1], 2, v[1:2]
	s_delay_alu instid0(VALU_DEP_1) | instskip(NEXT) | instid1(VALU_DEP_2)
	v_add_co_u32 v0, vcc_lo, s0, v0
	v_add_co_ci_u32_e32 v1, vcc_lo, s2, v1, vcc_lo
	s_lshl_b32 s0, s13, 3
	s_delay_alu instid0(SALU_CYCLE_1)
	s_add_i32 s2, s0, 0
	s_set_inst_prefetch_distance 0x1
	.p2align	6
.LBB18_19:                              ; =>This Inner Loop Header: Depth=1
	global_load_b32 v4, v[0:1], off
	v_mov_b32_e32 v2, s2
	s_add_i32 s1, s1, -1
	s_add_i32 s2, s2, 8
	s_cmp_lg_u32 s1, 0
	ds_load_b64 v[2:3], v2
	s_waitcnt lgkmcnt(0)
	v_sub_f32_e32 v2, v2, v8
	s_delay_alu instid0(VALU_DEP_1) | instskip(NEXT) | instid1(VALU_DEP_1)
	v_mul_f32_e32 v5, 0x3fb8aa3b, v2
	v_fma_f32 v6, 0x3fb8aa3b, v2, -v5
	v_rndne_f32_e32 v11, v5
	s_delay_alu instid0(VALU_DEP_1) | instskip(NEXT) | instid1(VALU_DEP_1)
	v_dual_fmac_f32 v6, 0x32a5705f, v2 :: v_dual_sub_f32 v5, v5, v11
	v_add_f32_e32 v5, v5, v6
	v_cvt_i32_f32_e32 v6, v11
	v_cmp_ngt_f32_e32 vcc_lo, 0xc2ce8ed0, v2
	v_cmp_nlt_f32_e64 s0, 0x42b17218, v2
	s_delay_alu instid0(VALU_DEP_4) | instskip(SKIP_2) | instid1(VALU_DEP_1)
	v_exp_f32_e32 v5, v5
	s_waitcnt_depctr 0xfff
	v_ldexp_f32 v5, v5, v6
	v_cndmask_b32_e32 v5, 0, v5, vcc_lo
	v_add_co_u32 v0, vcc_lo, 0x180, v0
	v_add_co_ci_u32_e32 v1, vcc_lo, 0, v1, vcc_lo
	s_delay_alu instid0(VALU_DEP_3) | instskip(SKIP_1) | instid1(VALU_DEP_1)
	v_cndmask_b32_e64 v2, 0x7f800000, v5, s0
	s_waitcnt vmcnt(0)
	v_dual_fmac_f32 v10, v2, v3 :: v_dual_fmac_f32 v9, v4, v2
	s_cbranch_scc1 .LBB18_19
.LBB18_20:
	s_set_inst_prefetch_distance 0x2
	s_delay_alu instid0(VALU_DEP_1) | instskip(NEXT) | instid1(VALU_DEP_1)
	v_div_scale_f32 v0, null, v10, v10, v9
	v_rcp_f32_e32 v1, v0
	s_waitcnt_depctr 0xfff
	v_fma_f32 v2, -v0, v1, 1.0
	s_delay_alu instid0(VALU_DEP_1) | instskip(SKIP_1) | instid1(VALU_DEP_1)
	v_fmac_f32_e32 v1, v2, v1
	v_div_scale_f32 v2, vcc_lo, v9, v10, v9
	v_mul_f32_e32 v3, v2, v1
	s_delay_alu instid0(VALU_DEP_1) | instskip(NEXT) | instid1(VALU_DEP_1)
	v_fma_f32 v4, -v0, v3, v2
	v_fmac_f32_e32 v3, v4, v1
	s_delay_alu instid0(VALU_DEP_1) | instskip(NEXT) | instid1(VALU_DEP_1)
	v_fma_f32 v0, -v0, v3, v2
	v_div_fmas_f32 v0, v0, v1, v3
	s_delay_alu instid0(VALU_DEP_1)
	v_div_fixup_f32 v0, v0, v10, v9
.LBB18_21:
	s_mul_i32 s0, s7, 0x60
	s_delay_alu instid0(SALU_CYCLE_1) | instskip(NEXT) | instid1(SALU_CYCLE_1)
	s_ashr_i32 s1, s0, 31
	s_lshl_b64 s[0:1], s[0:1], 2
	s_delay_alu instid0(SALU_CYCLE_1)
	s_add_u32 s0, s16, s0
	s_addc_u32 s1, s17, s1
	global_store_b32 v7, v0, s[0:1]
	s_nop 0
	s_sendmsg sendmsg(MSG_DEALLOC_VGPRS)
	s_endpgm
	.section	.rodata,"a",@progbits
	.p2align	6, 0x0
	.amdhsa_kernel _ZL26flash_attn_combine_resultsILi96EEvPKfPK15HIP_vector_typeIfLj2EEPfi
		.amdhsa_group_segment_fixed_size 0
		.amdhsa_private_segment_fixed_size 0
		.amdhsa_kernarg_size 288
		.amdhsa_user_sgpr_count 13
		.amdhsa_user_sgpr_dispatch_ptr 0
		.amdhsa_user_sgpr_queue_ptr 0
		.amdhsa_user_sgpr_kernarg_segment_ptr 1
		.amdhsa_user_sgpr_dispatch_id 0
		.amdhsa_user_sgpr_private_segment_size 0
		.amdhsa_wavefront_size32 1
		.amdhsa_uses_dynamic_stack 0
		.amdhsa_enable_private_segment 0
		.amdhsa_system_sgpr_workgroup_id_x 1
		.amdhsa_system_sgpr_workgroup_id_y 1
		.amdhsa_system_sgpr_workgroup_id_z 1
		.amdhsa_system_sgpr_workgroup_info 0
		.amdhsa_system_vgpr_workitem_id 0
		.amdhsa_next_free_vgpr 57
		.amdhsa_next_free_sgpr 20
		.amdhsa_reserve_vcc 1
		.amdhsa_float_round_mode_32 0
		.amdhsa_float_round_mode_16_64 0
		.amdhsa_float_denorm_mode_32 3
		.amdhsa_float_denorm_mode_16_64 3
		.amdhsa_dx10_clamp 1
		.amdhsa_ieee_mode 1
		.amdhsa_fp16_overflow 0
		.amdhsa_workgroup_processor_mode 1
		.amdhsa_memory_ordered 1
		.amdhsa_forward_progress 0
		.amdhsa_shared_vgpr_count 0
		.amdhsa_exception_fp_ieee_invalid_op 0
		.amdhsa_exception_fp_denorm_src 0
		.amdhsa_exception_fp_ieee_div_zero 0
		.amdhsa_exception_fp_ieee_overflow 0
		.amdhsa_exception_fp_ieee_underflow 0
		.amdhsa_exception_fp_ieee_inexact 0
		.amdhsa_exception_int_div_zero 0
	.end_amdhsa_kernel
	.section	.text._ZL26flash_attn_combine_resultsILi96EEvPKfPK15HIP_vector_typeIfLj2EEPfi,"axG",@progbits,_ZL26flash_attn_combine_resultsILi96EEvPKfPK15HIP_vector_typeIfLj2EEPfi,comdat
.Lfunc_end18:
	.size	_ZL26flash_attn_combine_resultsILi96EEvPKfPK15HIP_vector_typeIfLj2EEPfi, .Lfunc_end18-_ZL26flash_attn_combine_resultsILi96EEvPKfPK15HIP_vector_typeIfLj2EEPfi
                                        ; -- End function
	.section	.AMDGPU.csdata,"",@progbits
; Kernel info:
; codeLenInByte = 2420
; NumSgprs: 22
; NumVgprs: 57
; ScratchSize: 0
; MemoryBound: 0
; FloatMode: 240
; IeeeMode: 1
; LDSByteSize: 0 bytes/workgroup (compile time only)
; SGPRBlocks: 2
; VGPRBlocks: 7
; NumSGPRsForWavesPerEU: 22
; NumVGPRsForWavesPerEU: 57
; Occupancy: 16
; WaveLimiterHint : 0
; COMPUTE_PGM_RSRC2:SCRATCH_EN: 0
; COMPUTE_PGM_RSRC2:USER_SGPR: 13
; COMPUTE_PGM_RSRC2:TRAP_HANDLER: 0
; COMPUTE_PGM_RSRC2:TGID_X_EN: 1
; COMPUTE_PGM_RSRC2:TGID_Y_EN: 1
; COMPUTE_PGM_RSRC2:TGID_Z_EN: 1
; COMPUTE_PGM_RSRC2:TIDIG_COMP_CNT: 0
	.section	.text._ZL18flash_attn_ext_f16ILi112ELi112ELi8ELi4ELb0ELb0EEvPKcS1_S1_S1_S1_PKiPfP15HIP_vector_typeIfLj2EEffffjfiS5_IjLj3EEiiiiiiiiiiiliiliiiiil,"axG",@progbits,_ZL18flash_attn_ext_f16ILi112ELi112ELi8ELi4ELb0ELb0EEvPKcS1_S1_S1_S1_PKiPfP15HIP_vector_typeIfLj2EEffffjfiS5_IjLj3EEiiiiiiiiiiiliiliiiiil,comdat
	.globl	_ZL18flash_attn_ext_f16ILi112ELi112ELi8ELi4ELb0ELb0EEvPKcS1_S1_S1_S1_PKiPfP15HIP_vector_typeIfLj2EEffffjfiS5_IjLj3EEiiiiiiiiiiiliiliiiiil ; -- Begin function _ZL18flash_attn_ext_f16ILi112ELi112ELi8ELi4ELb0ELb0EEvPKcS1_S1_S1_S1_PKiPfP15HIP_vector_typeIfLj2EEffffjfiS5_IjLj3EEiiiiiiiiiiiliiliiiiil
	.p2align	8
	.type	_ZL18flash_attn_ext_f16ILi112ELi112ELi8ELi4ELb0ELb0EEvPKcS1_S1_S1_S1_PKiPfP15HIP_vector_typeIfLj2EEffffjfiS5_IjLj3EEiiiiiiiiiiiliiliiiiil,@function
_ZL18flash_attn_ext_f16ILi112ELi112ELi8ELi4ELb0ELb0EEvPKcS1_S1_S1_S1_PKiPfP15HIP_vector_typeIfLj2EEffffjfiS5_IjLj3EEiiiiiiiiiiiliiliiiiil: ; @_ZL18flash_attn_ext_f16ILi112ELi112ELi8ELi4ELb0ELb0EEvPKcS1_S1_S1_S1_PKiPfP15HIP_vector_typeIfLj2EEffffjfiS5_IjLj3EEiiiiiiiiiiiliiliiiiil
; %bb.0:
	s_clause 0x2
	s_load_b64 s[2:3], s[0:1], 0x80
	s_load_b128 s[28:31], s[0:1], 0x64
	s_load_b32 s24, s[0:1], 0xd0
                                        ; implicit-def: $vgpr255 : SGPR spill to VGPR lane
	s_waitcnt lgkmcnt(0)
	s_abs_i32 s4, s3
	s_abs_i32 s7, s29
	v_cvt_f32_u32_e32 v1, s4
	s_sub_i32 s6, 0, s4
	v_cvt_f32_u32_e32 v3, s24
	s_delay_alu instid0(VALU_DEP_2) | instskip(SKIP_2) | instid1(VALU_DEP_1)
	v_rcp_iflag_f32_e32 v1, v1
	s_waitcnt_depctr 0xfff
	v_mul_f32_e32 v1, 0x4f7ffffe, v1
	v_cvt_u32_f32_e32 v1, v1
	s_delay_alu instid0(VALU_DEP_1) | instskip(SKIP_1) | instid1(VALU_DEP_2)
	v_readfirstlane_b32 s5, v1
	v_cvt_f32_ubyte0_e32 v1, 0
	s_mul_i32 s6, s6, s5
	s_delay_alu instid0(SALU_CYCLE_1) | instskip(NEXT) | instid1(SALU_CYCLE_1)
	s_mul_hi_u32 s6, s5, s6
	s_add_i32 s5, s5, s6
	s_xor_b32 s6, s29, s3
	s_mul_hi_u32 s5, s7, s5
	s_ashr_i32 s6, s6, 31
	s_mul_i32 s8, s5, s4
	s_delay_alu instid0(SALU_CYCLE_1)
	s_sub_i32 s7, s7, s8
	s_add_i32 s8, s5, 1
	s_sub_i32 s9, s7, s4
	s_cmp_ge_u32 s7, s4
	s_cselect_b32 s5, s8, s5
	s_cselect_b32 s7, s9, s7
	s_add_i32 s8, s5, 1
	s_cmp_ge_u32 s7, s4
	s_cselect_b32 s4, s8, s5
	s_add_i32 s2, s2, 63
	s_xor_b32 s4, s4, s6
	s_add_i32 s5, s28, 7
	s_sub_i32 s84, s4, s6
	s_ashr_i32 s7, s2, 31
	s_add_i32 s4, s84, 3
	s_lshr_b32 s85, s5, 3
	s_lshr_b32 s5, s7, 26
	s_ashr_i32 s6, s4, 31
	s_add_i32 s2, s2, s5
	s_lshr_b32 s5, s6, 30
	s_ashr_i32 s89, s2, 6
	s_add_i32 s4, s4, s5
	s_mul_i32 s5, s85, s89
	s_ashr_i32 s2, s4, 2
	v_writelane_b32 v255, s5, 0
	s_mul_i32 s87, s5, s2
	s_mov_b32 s2, 0
	s_mul_i32 s88, s87, s3
	s_delay_alu instid0(SALU_CYCLE_1) | instskip(NEXT) | instid1(SALU_CYCLE_1)
	s_mul_i32 s4, s88, s30
	s_ashr_i32 s5, s4, 31
	s_mul_hi_u32 s3, s4, s15
	s_mul_i32 s6, s5, s15
	s_delay_alu instid0(SALU_CYCLE_1)
	s_add_i32 s3, s3, s6
	s_mul_i32 s6, s4, s15
	s_cmp_lg_u64 s[2:3], 0
	s_cbranch_scc0 .LBB19_486
; %bb.1:
	v_fmamk_f32 v2, v1, 0x4f800000, v3
	s_sub_u32 s9, 0, s24
	s_subb_u32 s10, 0, 0
	s_delay_alu instid0(VALU_DEP_1) | instskip(SKIP_2) | instid1(VALU_DEP_1)
	v_rcp_f32_e32 v2, v2
	s_waitcnt_depctr 0xfff
	v_mul_f32_e32 v2, 0x5f7ffffc, v2
	v_mul_f32_e32 v4, 0x2f800000, v2
	s_delay_alu instid0(VALU_DEP_1) | instskip(NEXT) | instid1(VALU_DEP_1)
	v_trunc_f32_e32 v4, v4
	v_fmamk_f32 v2, v4, 0xcf800000, v2
	v_cvt_u32_f32_e32 v4, v4
	s_delay_alu instid0(VALU_DEP_2) | instskip(NEXT) | instid1(VALU_DEP_2)
	v_cvt_u32_f32_e32 v2, v2
	v_readfirstlane_b32 s7, v4
	s_delay_alu instid0(VALU_DEP_2) | instskip(NEXT) | instid1(VALU_DEP_2)
	v_readfirstlane_b32 s8, v2
	s_mul_i32 s11, s9, s7
	s_delay_alu instid0(VALU_DEP_1)
	s_mul_hi_u32 s13, s9, s8
	s_mul_i32 s12, s10, s8
	s_add_i32 s11, s13, s11
	s_mul_i32 s14, s9, s8
	s_add_i32 s11, s11, s12
	s_mul_hi_u32 s13, s8, s14
	s_mul_hi_u32 s17, s7, s14
	s_mul_i32 s12, s7, s14
	s_mul_hi_u32 s14, s8, s11
	s_mul_i32 s8, s8, s11
	s_mul_hi_u32 s16, s7, s11
	s_add_u32 s8, s13, s8
	s_addc_u32 s13, 0, s14
	s_add_u32 s8, s8, s12
	s_mul_i32 s11, s7, s11
	s_addc_u32 s8, s13, s17
	s_addc_u32 s12, s16, 0
	s_add_u32 s8, s8, s11
	s_addc_u32 s11, 0, s12
	v_add_co_u32 v2, s8, v2, s8
	s_delay_alu instid0(VALU_DEP_1) | instskip(SKIP_1) | instid1(VALU_DEP_1)
	s_cmp_lg_u32 s8, 0
	s_addc_u32 s7, s7, s11
	v_readfirstlane_b32 s8, v2
	s_mul_i32 s11, s9, s7
	s_delay_alu instid0(VALU_DEP_1)
	s_mul_hi_u32 s12, s9, s8
	s_mul_i32 s10, s10, s8
	s_add_i32 s11, s12, s11
	s_mul_i32 s9, s9, s8
	s_add_i32 s11, s11, s10
	s_mul_hi_u32 s12, s7, s9
	s_mul_i32 s13, s7, s9
	s_mul_hi_u32 s9, s8, s9
	s_mul_hi_u32 s14, s8, s11
	s_mul_i32 s8, s8, s11
	s_mul_hi_u32 s10, s7, s11
	s_add_u32 s8, s9, s8
	s_addc_u32 s9, 0, s14
	s_add_u32 s8, s8, s13
	s_mul_i32 s11, s7, s11
	s_addc_u32 s8, s9, s12
	s_addc_u32 s9, s10, 0
	s_add_u32 s8, s8, s11
	s_addc_u32 s9, 0, s9
	v_add_co_u32 v2, s8, v2, s8
	s_delay_alu instid0(VALU_DEP_1) | instskip(SKIP_2) | instid1(SALU_CYCLE_1)
	s_cmp_lg_u32 s8, 0
	s_addc_u32 s7, s7, s9
	s_ashr_i32 s8, s3, 31
	s_add_u32 s10, s6, s8
	s_addc_u32 s11, s3, s8
	v_readfirstlane_b32 s3, v2
	s_mov_b32 s9, s8
	s_delay_alu instid0(SALU_CYCLE_1) | instskip(NEXT) | instid1(SALU_CYCLE_1)
	s_xor_b64 s[10:11], s[10:11], s[8:9]
	s_mul_i32 s13, s10, s7
	s_delay_alu instid0(VALU_DEP_1)
	s_mul_hi_u32 s14, s10, s3
	s_mul_hi_u32 s12, s10, s7
	;; [unrolled: 1-line block ×3, first 2 shown]
	s_mul_i32 s3, s11, s3
	s_add_u32 s13, s14, s13
	s_addc_u32 s12, 0, s12
	s_mul_hi_u32 s17, s11, s7
	s_add_u32 s3, s13, s3
	s_mul_i32 s7, s11, s7
	s_addc_u32 s3, s12, s16
	s_addc_u32 s12, s17, 0
	s_add_u32 s3, s3, s7
	s_addc_u32 s7, 0, s12
	s_mul_i32 s13, s24, s3
	s_add_u32 s12, s3, 1
	v_sub_co_u32 v2, s10, s10, s13
	s_mul_hi_u32 s13, s24, s3
	s_addc_u32 s14, s7, 0
	s_mul_i32 s19, s24, s7
	s_delay_alu instid0(VALU_DEP_1)
	v_sub_co_u32 v4, s16, v2, s24
	s_add_u32 s17, s3, 2
	s_addc_u32 s18, s7, 0
	s_add_i32 s13, s13, s19
	s_cmp_lg_u32 s10, 0
	v_readfirstlane_b32 s10, v4
	s_subb_u32 s11, s11, s13
	s_cmp_lg_u32 s16, 0
	s_subb_u32 s13, s11, 0
	s_delay_alu instid0(VALU_DEP_1) | instskip(SKIP_4) | instid1(SALU_CYCLE_1)
	s_cmp_ge_u32 s10, s24
	s_cselect_b32 s10, -1, 0
	s_cmp_eq_u32 s13, 0
	v_readfirstlane_b32 s13, v2
	s_cselect_b32 s10, s10, -1
	s_cmp_lg_u32 s10, 0
	s_cselect_b32 s10, s17, s12
	s_cselect_b32 s12, s18, s14
	s_cmp_ge_u32 s13, s24
	s_cselect_b32 s13, -1, 0
	s_cmp_eq_u32 s11, 0
	s_cselect_b32 s11, s13, -1
	s_delay_alu instid0(SALU_CYCLE_1) | instskip(SKIP_2) | instid1(SALU_CYCLE_1)
	s_cmp_lg_u32 s11, 0
	s_cselect_b32 s11, s12, s7
	s_cselect_b32 s10, s10, s3
	s_xor_b64 s[10:11], s[10:11], s[8:9]
	s_delay_alu instid0(SALU_CYCLE_1)
	s_sub_u32 s68, s10, s8
	s_load_b64 s[66:67], s[0:1], 0x74
	v_cvt_f32_u32_e32 v2, s24
	s_and_not1_b32 vcc_lo, exec_lo, s2
	s_cbranch_vccnz .LBB19_3
.LBB19_2:
	s_delay_alu instid0(VALU_DEP_1) | instskip(SKIP_3) | instid1(VALU_DEP_1)
	v_rcp_iflag_f32_e32 v4, v2
	s_sub_i32 s3, 0, s24
	s_waitcnt_depctr 0xfff
	v_mul_f32_e32 v4, 0x4f7ffffe, v4
	v_cvt_u32_f32_e32 v4, v4
	s_delay_alu instid0(VALU_DEP_1) | instskip(NEXT) | instid1(VALU_DEP_1)
	v_readfirstlane_b32 s2, v4
	s_mul_i32 s3, s3, s2
	s_delay_alu instid0(SALU_CYCLE_1) | instskip(NEXT) | instid1(SALU_CYCLE_1)
	s_mul_hi_u32 s3, s2, s3
	s_add_i32 s2, s2, s3
	s_delay_alu instid0(SALU_CYCLE_1) | instskip(NEXT) | instid1(SALU_CYCLE_1)
	s_mul_hi_u32 s2, s6, s2
	s_mul_i32 s3, s2, s24
	s_delay_alu instid0(SALU_CYCLE_1)
	s_sub_i32 s3, s6, s3
	s_add_i32 s6, s2, 1
	s_sub_i32 s7, s3, s24
	s_cmp_ge_u32 s3, s24
	s_cselect_b32 s2, s6, s2
	s_cselect_b32 s3, s7, s3
	s_add_i32 s6, s2, 1
	s_cmp_ge_u32 s3, s24
	s_cselect_b32 s68, s6, s2
.LBB19_3:
	s_add_i32 s6, s15, 1
	s_delay_alu instid0(SALU_CYCLE_1) | instskip(SKIP_4) | instid1(SALU_CYCLE_1)
	s_mul_i32 s2, s5, s6
	s_mul_hi_u32 s3, s4, s6
	s_mul_i32 s4, s4, s6
	s_add_i32 s3, s3, s2
	s_mov_b32 s2, 0
	s_cmp_lg_u64 s[2:3], 0
	s_cbranch_scc0 .LBB19_487
; %bb.4:
	v_fmamk_f32 v1, v1, 0x4f800000, v3
	s_sub_u32 s7, 0, s24
	s_subb_u32 s8, 0, 0
	s_delay_alu instid0(VALU_DEP_1) | instskip(SKIP_2) | instid1(VALU_DEP_1)
	v_rcp_f32_e32 v1, v1
	s_waitcnt_depctr 0xfff
	v_mul_f32_e32 v1, 0x5f7ffffc, v1
	v_mul_f32_e32 v3, 0x2f800000, v1
	s_delay_alu instid0(VALU_DEP_1) | instskip(NEXT) | instid1(VALU_DEP_1)
	v_trunc_f32_e32 v3, v3
	v_fmamk_f32 v1, v3, 0xcf800000, v1
	v_cvt_u32_f32_e32 v3, v3
	s_delay_alu instid0(VALU_DEP_2) | instskip(NEXT) | instid1(VALU_DEP_2)
	v_cvt_u32_f32_e32 v1, v1
	v_readfirstlane_b32 s5, v3
	s_delay_alu instid0(VALU_DEP_2) | instskip(NEXT) | instid1(VALU_DEP_2)
	v_readfirstlane_b32 s6, v1
	s_mul_i32 s9, s7, s5
	s_delay_alu instid0(VALU_DEP_1)
	s_mul_hi_u32 s11, s7, s6
	s_mul_i32 s10, s8, s6
	s_add_i32 s9, s11, s9
	s_mul_i32 s12, s7, s6
	s_add_i32 s9, s9, s10
	s_mul_hi_u32 s11, s6, s12
	s_mul_hi_u32 s13, s5, s12
	s_mul_i32 s10, s5, s12
	s_mul_hi_u32 s12, s6, s9
	s_mul_i32 s6, s6, s9
	s_mul_hi_u32 s14, s5, s9
	s_add_u32 s6, s11, s6
	s_addc_u32 s11, 0, s12
	s_add_u32 s6, s6, s10
	s_mul_i32 s9, s5, s9
	s_addc_u32 s6, s11, s13
	s_addc_u32 s10, s14, 0
	s_add_u32 s6, s6, s9
	s_addc_u32 s9, 0, s10
	v_add_co_u32 v1, s6, v1, s6
	s_delay_alu instid0(VALU_DEP_1) | instskip(SKIP_1) | instid1(VALU_DEP_1)
	s_cmp_lg_u32 s6, 0
	s_addc_u32 s5, s5, s9
	v_readfirstlane_b32 s6, v1
	s_mul_i32 s9, s7, s5
	s_delay_alu instid0(VALU_DEP_1)
	s_mul_hi_u32 s10, s7, s6
	s_mul_i32 s8, s8, s6
	s_add_i32 s9, s10, s9
	s_mul_i32 s7, s7, s6
	s_add_i32 s9, s9, s8
	s_mul_hi_u32 s10, s5, s7
	s_mul_i32 s11, s5, s7
	s_mul_hi_u32 s7, s6, s7
	s_mul_hi_u32 s12, s6, s9
	s_mul_i32 s6, s6, s9
	s_mul_hi_u32 s8, s5, s9
	s_add_u32 s6, s7, s6
	s_addc_u32 s7, 0, s12
	s_add_u32 s6, s6, s11
	s_mul_i32 s9, s5, s9
	s_addc_u32 s6, s7, s10
	s_addc_u32 s7, s8, 0
	s_add_u32 s6, s6, s9
	s_addc_u32 s7, 0, s7
	v_add_co_u32 v1, s6, v1, s6
	s_delay_alu instid0(VALU_DEP_1) | instskip(SKIP_2) | instid1(SALU_CYCLE_1)
	s_cmp_lg_u32 s6, 0
	s_addc_u32 s5, s5, s7
	s_ashr_i32 s6, s3, 31
	s_add_u32 s8, s4, s6
	s_addc_u32 s9, s3, s6
	v_readfirstlane_b32 s3, v1
	s_mov_b32 s7, s6
	s_delay_alu instid0(SALU_CYCLE_1) | instskip(NEXT) | instid1(SALU_CYCLE_1)
	s_xor_b64 s[8:9], s[8:9], s[6:7]
	s_mul_i32 s11, s8, s5
	s_delay_alu instid0(VALU_DEP_1)
	s_mul_hi_u32 s12, s8, s3
	s_mul_hi_u32 s10, s8, s5
	;; [unrolled: 1-line block ×3, first 2 shown]
	s_mul_i32 s3, s9, s3
	s_add_u32 s11, s12, s11
	s_addc_u32 s10, 0, s10
	s_mul_hi_u32 s13, s9, s5
	s_add_u32 s3, s11, s3
	s_mul_i32 s5, s9, s5
	s_addc_u32 s3, s10, s14
	s_addc_u32 s10, s13, 0
	s_add_u32 s3, s3, s5
	s_addc_u32 s5, 0, s10
	s_mul_i32 s11, s24, s3
	s_add_u32 s10, s3, 1
	v_sub_co_u32 v1, s8, s8, s11
	s_mul_hi_u32 s11, s24, s3
	s_addc_u32 s12, s5, 0
	s_mul_i32 s13, s24, s5
	s_delay_alu instid0(VALU_DEP_1)
	v_sub_co_u32 v3, s14, v1, s24
	s_add_u32 s17, s3, 2
	s_addc_u32 s16, s5, 0
	s_add_i32 s11, s11, s13
	s_cmp_lg_u32 s8, 0
	v_readfirstlane_b32 s8, v3
	s_subb_u32 s9, s9, s11
	s_cmp_lg_u32 s14, 0
	s_subb_u32 s11, s9, 0
	s_delay_alu instid0(VALU_DEP_1) | instskip(SKIP_4) | instid1(SALU_CYCLE_1)
	s_cmp_ge_u32 s8, s24
	s_cselect_b32 s8, -1, 0
	s_cmp_eq_u32 s11, 0
	v_readfirstlane_b32 s11, v1
	s_cselect_b32 s8, s8, -1
	s_cmp_lg_u32 s8, 0
	s_cselect_b32 s8, s17, s10
	s_cselect_b32 s10, s16, s12
	s_cmp_ge_u32 s11, s24
	s_cselect_b32 s11, -1, 0
	s_cmp_eq_u32 s9, 0
	s_cselect_b32 s9, s11, -1
	s_delay_alu instid0(SALU_CYCLE_1) | instskip(SKIP_2) | instid1(SALU_CYCLE_1)
	s_cmp_lg_u32 s9, 0
	s_cselect_b32 s9, s10, s5
	s_cselect_b32 s8, s8, s3
	s_xor_b64 s[8:9], s[8:9], s[6:7]
	s_delay_alu instid0(SALU_CYCLE_1)
	s_sub_u32 s72, s8, s6
	s_load_b64 s[56:57], s[0:1], 0x5c
	s_and_not1_b32 vcc_lo, exec_lo, s2
	s_cbranch_vccnz .LBB19_6
.LBB19_5:
	v_rcp_iflag_f32_e32 v1, v2
	s_sub_i32 s3, 0, s24
	s_waitcnt_depctr 0xfff
	v_mul_f32_e32 v1, 0x4f7ffffe, v1
	s_delay_alu instid0(VALU_DEP_1) | instskip(NEXT) | instid1(VALU_DEP_1)
	v_cvt_u32_f32_e32 v1, v1
	v_readfirstlane_b32 s2, v1
	s_delay_alu instid0(VALU_DEP_1) | instskip(NEXT) | instid1(SALU_CYCLE_1)
	s_mul_i32 s3, s3, s2
	s_mul_hi_u32 s3, s2, s3
	s_delay_alu instid0(SALU_CYCLE_1) | instskip(NEXT) | instid1(SALU_CYCLE_1)
	s_add_i32 s2, s2, s3
	s_mul_hi_u32 s2, s4, s2
	s_delay_alu instid0(SALU_CYCLE_1) | instskip(NEXT) | instid1(SALU_CYCLE_1)
	s_mul_i32 s3, s2, s24
	s_sub_i32 s3, s4, s3
	s_add_i32 s4, s2, 1
	s_sub_i32 s5, s3, s24
	s_cmp_ge_u32 s3, s24
	s_cselect_b32 s2, s4, s2
	s_cselect_b32 s3, s5, s3
	s_add_i32 s4, s2, 1
	s_cmp_ge_u32 s3, s24
	s_cselect_b32 s72, s4, s2
.LBB19_6:
	s_abs_i32 s90, s89
	v_bfe_u32 v214, v0, 10, 10
	v_cvt_f32_u32_e32 v1, s90
	s_clause 0x6
	s_load_b32 s2, s[0:1], 0x40
	s_load_b64 s[4:5], s[0:1], 0x8c
	s_load_b128 s[52:55], s[0:1], 0x98
	s_load_b64 s[60:61], s[0:1], 0xa8
	s_load_b64 s[16:17], s[0:1], 0xb8
	s_load_b512 s[36:51], s[0:1], 0x0
	s_load_b64 s[62:63], s[0:1], 0xc8
	s_sub_i32 s1, 0, s90
	v_rcp_iflag_f32_e32 v1, v1
	s_abs_i32 s3, s68
	s_ashr_i32 s69, s31, 3
	s_waitcnt lgkmcnt(0)
	s_ashr_i32 s12, s66, 3
	s_ashr_i32 s0, s68, 31
	s_ashr_i32 s91, s89, 31
	v_and_b32_e32 v232, 0x3ff, v0
	v_lshrrev_b32_e32 v0, 2, v214
	v_lshlrev_b32_e32 v189, 3, v214
	s_waitcnt_depctr 0xfff
	v_dual_mul_f32 v1, 0x4f7ffffe, v1 :: v_dual_add_nc_u32 v116, 4, v214
	v_lshlrev_b32_e32 v192, 1, v214
	s_clause 0x1
	scratch_store_b32 off, v0, off offset:364
	scratch_store_b32 off, v214, off offset:568
	v_writelane_b32 v255, s4, 1
	v_cvt_u32_f32_e32 v1, v1
	s_ashr_i32 s34, s4, 2
	s_ashr_i32 s58, s17, 1
	;; [unrolled: 1-line block ×3, first 2 shown]
	v_cvt_f16_f32_e32 v0, s2
	v_readfirstlane_b32 s92, v1
	v_writelane_b32 v255, s5, 2
	v_and_b32_e32 v191, 1, v214
	v_and_b32_e32 v238, 3, v214
	v_add_nc_u32_e32 v97, 8, v214
	s_mul_i32 s1, s1, s92
	v_add_nc_u32_e32 v96, 12, v214
	s_mul_hi_u32 s1, s92, s1
	v_add_nc_u32_e32 v95, 16, v214
	s_add_i32 s92, s92, s1
	v_add_nc_u32_e32 v94, 20, v214
	s_mul_hi_u32 s1, s3, s92
	v_add_nc_u32_e32 v93, 24, v214
	s_mul_i32 s1, s1, s90
	v_pack_b32_f16 v216, v0, v0
	s_sub_i32 s1, s3, s1
	v_add_nc_u32_e32 v92, 28, v214
	s_sub_i32 s3, s1, s90
	s_cmp_ge_u32 s1, s90
	v_mov_b32_e32 v0, v232
	s_cselect_b32 s1, s3, s1
	s_mov_b32 s75, 0
	s_sub_i32 s3, s1, s90
	s_cmp_ge_u32 s1, s90
	scratch_store_b64 off, v[0:1], off offset:468 ; 8-byte Folded Spill
	s_cselect_b32 s1, s3, s1
	s_sub_i32 s3, s72, s68
	s_xor_b32 s1, s1, s0
	s_delay_alu instid0(SALU_CYCLE_1) | instskip(NEXT) | instid1(SALU_CYCLE_1)
	s_sub_i32 s33, s1, s0
	s_add_i32 s0, s3, s33
	s_delay_alu instid0(SALU_CYCLE_1)
	s_min_i32 s9, s89, s0
	s_cmp_gt_i32 s72, s68
	s_cselect_b32 s3, -1, 0
	s_cmp_le_i32 s72, s68
	s_cselect_b32 s1, -1, 0
	s_cmp_gt_i32 s89, s0
	s_cselect_b32 s0, -1, 0
	s_delay_alu instid0(SALU_CYCLE_1) | instskip(NEXT) | instid1(SALU_CYCLE_1)
	s_or_b32 s0, s0, s1
	s_and_b32 vcc_lo, exec_lo, s0
	s_cbranch_vccz .LBB19_9
; %bb.7:
	s_and_not1_b32 vcc_lo, exec_lo, s3
	s_cbranch_vccz .LBB19_426
.LBB19_8:
	s_endpgm
.LBB19_9:
	v_and_b32_e32 v14, 0x3f0, v189
	v_lshrrev_b32_e32 v1, 2, v232
	v_lshlrev_b32_e32 v12, 4, v214
	v_lshrrev_b32_e32 v2, 1, v232
	v_lshlrev_b32_e32 v0, 2, v232
	v_and_or_b32 v3, v232, 12, v14
	v_lshrrev_b32_e32 v234, 4, v232
	v_and_b32_e32 v98, 15, v232
	v_add_nc_u32_e32 v15, v1, v189
	v_add_nc_u32_e32 v17, v12, v2
	v_dual_mov_b32 v174, 0 :: v_dual_and_b32 v1, 4, v0
	v_lshrrev_b32_e32 v3, 2, v3
	v_and_b32_e32 v2, 12, v0
	v_and_b32_e32 v5, 8, v189
	;; [unrolled: 1-line block ×3, first 2 shown]
	v_mul_u32_u24_e32 v4, 0xf0, v15
	v_mul_u32_u24_e32 v6, 0x90, v3
	v_mad_u32_u24 v7, 0xf0, v17, 0
	v_mul_u32_u24_e32 v5, 0x1e0, v5
	v_lshlrev_b32_e32 v8, 2, v1
	v_lshlrev_b32_e32 v9, 2, v2
	v_mad_u32_u24 v3, 0x90, v3, 0
	v_lshlrev_b32_e32 v10, 1, v234
	v_lshlrev_b32_e32 v11, 1, v18
	v_lshlrev_b32_e32 v13, 1, v98
	v_add3_u32 v20, 0, 32, v5
	v_add3_u32 v233, v7, v8, 0xc0
	;; [unrolled: 1-line block ×10, first 2 shown]
	v_lshrrev_b32_e32 v44, 1, v214
	v_add3_u32 v188, v4, v13, 0x1e00
	v_add3_u32 v185, v7, v13, 0x1e00
	v_or_b32_e32 v7, v12, v98
	v_add3_u32 v221, v5, v13, 0x1e00
	v_add_nc_u32_e32 v5, 0, v10
	v_add_nc_u32_e32 v4, 2, v44
	;; [unrolled: 1-line block ×3, first 2 shown]
	v_add3_u32 v220, v8, v13, 0x1e00
	v_add_nc_u32_e32 v47, 8, v44
	v_add3_u32 v236, v5, v6, v11
	v_mad_u32_u24 v245, 0xf0, v7, v5
	v_add_nc_u32_e32 v5, 6, v44
	v_lshlrev_b32_e32 v6, 1, v4
	v_and_b32_e32 v7, 15, v4
	v_lshlrev_b32_e32 v8, 1, v45
	v_and_b32_e32 v9, 15, v45
	;; [unrolled: 2-line block ×3, first 2 shown]
	v_and_or_b32 v46, 0xe0, v6, v7
	v_add_nc_u32_e32 v6, 10, v44
	v_and_or_b32 v48, 0xe0, v8, v9
	v_lshlrev_b32_e32 v7, 1, v47
	v_and_b32_e32 v8, 15, v47
	v_and_or_b32 v49, 0xe0, v10, v11
	v_add_nc_u32_e32 v50, 12, v44
	v_lshlrev_b32_e32 v9, 1, v6
	v_and_b32_e32 v10, 15, v6
	v_and_or_b32 v51, 0xe0, v7, v8
	v_add_nc_u32_e32 v7, 14, v44
	v_add3_u32 v187, v20, v13, 0x1e00
	v_lshlrev_b32_e32 v11, 1, v50
	v_and_b32_e32 v20, 15, v50
	v_and_or_b32 v52, 0xe0, v9, v10
	v_add_nc_u32_e32 v8, 18, v44
	v_lshlrev_b32_e32 v9, 1, v7
	v_and_b32_e32 v10, 15, v7
	v_and_or_b32 v53, 0xe0, v11, v20
	v_add_nc_u32_e32 v54, 20, v44
	;; [unrolled: 4-line block ×4, first 2 shown]
	v_add_nc_u32_e32 v10, 26, v44
	v_lshlrev_b32_e32 v11, 1, v9
	v_and_b32_e32 v20, 15, v9
	v_add3_u32 v190, v3, v13, 0x1e00
	v_add_nc_u32_e32 v3, v234, v214
	v_and_or_b32 v58, 0xe0, v21, v22
	v_lshlrev_b32_e32 v21, 1, v57
	v_and_b32_e32 v22, 15, v57
	v_lshlrev_b32_e32 v23, 1, v10
	v_and_b32_e32 v24, 15, v10
	v_add_nc_u32_e32 v59, 28, v44
	v_and_or_b32 v60, 0xe0, v11, v20
	v_add_nc_u32_e32 v11, 30, v44
	v_and_or_b32 v61, 0xe0, v21, v22
	v_and_or_b32 v62, 0xe0, v23, v24
	v_lshlrev_b32_e32 v20, 1, v59
	v_and_b32_e32 v21, 15, v59
	v_lshlrev_b32_e32 v22, 1, v11
	v_and_b32_e32 v23, 15, v11
	v_add_nc_u32_e32 v64, 4, v3
	v_add_nc_u32_e32 v66, 8, v3
	s_cmp_eq_u64 s[44:45], 0
	v_lshlrev_b32_e32 v24, 1, v3
	v_and_b32_e32 v25, 15, v3
	v_and_or_b32 v63, 0xe0, v20, v21
	v_and_or_b32 v65, 0xe0, v22, v23
	v_add_nc_u32_e32 v68, 12, v3
	v_lshlrev_b32_e32 v20, 1, v64
	v_and_b32_e32 v21, 15, v64
	v_lshlrev_b32_e32 v22, 1, v66
	v_and_b32_e32 v23, 15, v66
	v_add_nc_u32_e32 v72, 20, v3
	s_cselect_b32 s54, -1, 0
	s_cmp_lg_u64 s[46:47], 0
	v_and_or_b32 v67, 0x1e0, v24, v25
	s_cselect_b32 s64, -1, 0
	s_lshl_b32 s74, s15, 5
	v_lshlrev_b32_e32 v24, 1, v68
	s_lshl_b64 s[0:1], s[74:75], 3
	v_and_b32_e32 v26, 15, v68
	v_and_or_b32 v69, 0x3e0, v20, v21
	v_and_or_b32 v71, 0x3e0, v22, v23
	v_add_nc_u32_e32 v74, 24, v3
	v_lshlrev_b32_e32 v21, 1, v72
	v_and_b32_e32 v22, 15, v72
	s_ashr_i32 s59, s58, 31
	s_ashr_i32 s35, s34, 31
	s_lshl_b32 s2, s34, 4
	s_ashr_i32 s31, s30, 31
	s_lshl_b32 s3, s30, 4
	s_add_u32 s7, s50, s0
	s_addc_u32 s8, s51, s1
	s_abs_i32 s71, s16
	v_and_or_b32 v73, 0x3e0, v24, v26
	v_lshlrev_b32_e32 v23, 1, v74
	v_and_b32_e32 v24, 15, v74
	v_and_or_b32 v78, 0x3e0, v21, v22
	v_cvt_f32_u32_e32 v22, s71
	v_lshrrev_b32_e32 v16, 3, v232
	s_abs_i32 s93, s88
	v_add_nc_u32_e32 v70, 16, v3
	v_and_or_b32 v79, 0x3e0, v23, v24
	v_cvt_f32_u32_e32 v24, s93
	v_rcp_iflag_f32_e32 v22, v22
	v_add_nc_u32_e32 v13, v16, v192
	v_add_nc_u32_e32 v75, 28, v3
	v_writelane_b32 v255, s24, 3
	v_lshlrev_b32_e32 v20, 1, v70
	v_rcp_iflag_f32_e32 v24, v24
	v_add_nc_u32_e32 v76, 8, v13
	v_lshlrev_b32_e32 v26, 1, v75
	v_and_b32_e32 v27, 15, v75
	v_writelane_b32 v255, s15, 4
	s_abs_i32 s94, s87
	v_and_or_b32 v77, 0x3e0, v20, v25
	v_lshlrev_b32_e32 v23, 1, v13
	v_dual_mul_f32 v22, 0x4f7ffffe, v22 :: v_dual_and_b32 v25, 15, v13
	v_and_or_b32 v80, 0x3e0, v26, v27
	v_lshlrev_b32_e32 v20, 1, v76
	v_and_b32_e32 v21, 15, v76
	s_mov_b32 s0, s16
	v_cvt_f32_u32_e32 v26, s94
	v_writelane_b32 v255, s0, 5
	v_and_or_b32 v84, 0x3e0, v23, v25
	v_mul_f32_e32 v23, 0x4f7ffffe, v24
	v_cvt_u32_f32_e32 v29, v22
	v_and_or_b32 v83, 0x7e0, v20, v21
	v_rcp_iflag_f32_e32 v21, v26
	v_writelane_b32 v255, s1, 6
	s_sub_i32 s0, 0, s71
	v_cvt_u32_f32_e32 v22, v23
	v_mul_lo_u32 v23, s0, v29
	v_add_nc_u32_e32 v242, 0x80, v19
	v_add_nc_u32_e32 v208, 0x1e80, v19
	;; [unrolled: 1-line block ×3, first 2 shown]
	v_mul_u32_u24_e32 v19, 60, v214
	s_delay_alu instid0(TRANS32_DEP_1) | instskip(SKIP_2) | instid1(VALU_DEP_4)
	v_dual_mul_f32 v21, 0x4f7ffffe, v21 :: v_dual_add_nc_u32 v88, v234, v192
	v_lshl_add_u32 v86, v214, 2, v16
	v_mul_hi_u32 v23, v29, v23
	v_lshl_add_u32 v175, v19, 2, v209
	s_delay_alu instid0(VALU_DEP_4)
	v_add_nc_u32_e32 v19, 8, v88
	v_cvt_u32_f32_e32 v16, v21
	s_mul_i32 s10, s85, s89
	v_mul_u32_u24_e32 v207, 0xf0, v18
	s_abs_i32 s95, s10
	v_lshrrev_b32_e32 v217, 2, v19
	v_readfirstlane_b32 s5, v16
	v_add_nc_u32_e32 v16, v29, v23
	v_add_nc_u32_e32 v19, 16, v86
	v_or_b32_e32 v18, v189, v232
	v_cvt_f32_u32_e32 v20, s95
	v_lshrrev_b32_e32 v218, 2, v88
	v_and_b32_e32 v179, 3, v88
	v_lshrrev_b32_e32 v19, 2, v19
	scratch_store_b32 off, v16, off offset:456 ; 4-byte Folded Spill
	v_mul_lo_u32 v16, s30, v86
	v_lshlrev_b32_e32 v18, 3, v18
	v_rcp_iflag_f32_e32 v20, v20
	scratch_store_b32 off, v19, off offset:376 ; 4-byte Folded Spill
	v_lshrrev_b32_e32 v186, 2, v86
	v_and_b32_e32 v99, 7, v232
	v_add_nc_u32_e32 v81, 16, v13
	v_add_nc_u32_e32 v82, 24, v13
	;; [unrolled: 1-line block ×3, first 2 shown]
	v_mul_lo_u32 v30, s30, v15
	v_readfirstlane_b32 s6, v22
	v_lshlrev_b32_e32 v26, 1, v81
	v_mul_f32_e32 v20, 0x4f7ffffe, v20
	v_add_nc_u32_e32 v40, s3, v36
	v_lshlrev_b32_e32 v27, 1, v82
	v_and_b32_e32 v28, 15, v82
	v_and_or_b32 v85, 0x7e0, v26, v25
	v_cvt_u32_f32_e32 v21, v20
	v_add_nc_u32_e32 v42, s3, v40
	v_add_co_u32 v89, s3, s7, v18
	s_delay_alu instid0(VALU_DEP_1)
	v_add_co_ci_u32_e64 v90, null, s8, 0, s3
	v_mad_u32_u24 v18, v88, 60, v98
	v_mul_lo_u32 v20, s34, v86
	v_and_or_b32 v87, 0x7e0, v27, v28
	scratch_store_b64 off, v[89:90], off offset:748 ; 8-byte Folded Spill
	v_add_nc_u32_e32 v89, 16, v88
	v_add_nc_u32_e32 v90, 24, v88
	v_bfe_u32 v88, v214, 1, 4
	v_lshl_add_u32 v180, v18, 2, 0
	v_add_nc_u32_e32 v18, 16, v44
	v_mad_u32_u24 v44, 0xf0, v86, 0
	v_or_b32_e32 v86, v12, v232
	v_add_nc_u32_e32 v12, v12, v232
	v_and_or_b32 v91, 0x60, v214, v88
	v_lshrrev_b32_e32 v227, 2, v89
	v_lshlrev_b32_e32 v89, 1, v18
	v_mul_lo_u32 v34, s30, v17
	v_mul_u32_u24_e32 v12, 0xf0, v12
	v_mul_u32_u24_e32 v19, 60, v91
	v_ashrrev_i32_e32 v31, 31, v30
	v_and_or_b32 v88, 0xe0, v89, v88
	v_mul_lo_u32 v24, s34, v17
	v_lshl_add_u32 v38, s30, 5, v30
	v_lshl_add_u32 v19, v19, 2, v209
	scratch_store_b32 off, v12, off offset:528 ; 4-byte Folded Spill
	v_mul_u32_u24_e32 v12, 60, v46
	v_ashrrev_i32_e32 v35, 31, v34
	v_lshlrev_b64 v[212:213], 2, v[30:31]
	v_ashrrev_i32_e32 v39, 31, v38
	v_ashrrev_i32_e32 v25, 31, v24
	v_lshl_add_u32 v12, v12, 2, v209
	v_lshlrev_b64 v[210:211], 2, v[34:35]
	v_mul_lo_u32 v22, s34, v15
	v_lshlrev_b64 v[170:171], 2, v[38:39]
	v_lshlrev_b64 v[172:173], 2, v[24:25]
	scratch_store_b32 off, v12, off offset:760 ; 4-byte Folded Spill
	v_lshrrev_b32_e32 v12, 2, v45
	v_ashrrev_i32_e32 v17, 31, v16
	v_lshlrev_b32_e32 v222, 2, v1
	v_lshrrev_b32_e32 v183, 2, v90
	v_lshl_add_u32 v26, s34, 5, v22
	scratch_store_b32 off, v12, off offset:764 ; 4-byte Folded Spill
	v_mul_u32_u24_e32 v12, 60, v49
	v_ashrrev_i32_e32 v23, 31, v22
	v_lshlrev_b64 v[181:182], 2, v[16:17]
	v_ashrrev_i32_e32 v27, 31, v26
	v_and_b32_e32 v90, 28, v0
	v_lshl_add_u32 v12, v12, 2, v209
	v_lshlrev_b64 v[176:177], 2, v[22:23]
	v_lshlrev_b32_e32 v254, 2, v2
	v_lshlrev_b64 v[250:251], 2, v[26:27]
	v_lshl_add_u32 v243, v90, 2, v44
	scratch_store_b32 off, v12, off offset:848 ; 4-byte Folded Spill
	v_lshrrev_b32_e32 v12, 2, v47
	s_sub_i32 s3, 0, s93
	v_readfirstlane_b32 s4, v21
	s_mul_i32 s3, s3, s6
	v_ashrrev_i32_e32 v37, 31, v36
	scratch_store_b32 off, v12, off offset:852 ; 4-byte Folded Spill
	v_mul_u32_u24_e32 v12, 60, v52
	s_mul_hi_u32 s3, s6, s3
	v_ashrrev_i32_e32 v41, 31, v40
	s_add_i32 s98, s6, s3
	s_sub_i32 s3, 0, s94
	v_lshl_add_u32 v12, v12, 2, v209
	s_mul_i32 s3, s3, s5
	s_sub_i32 s6, 0, s95
	s_mul_hi_u32 s3, s5, s3
	s_mul_i32 s6, s6, s4
	scratch_store_b32 off, v12, off offset:936 ; 4-byte Folded Spill
	v_lshrrev_b32_e32 v12, 2, v50
	s_add_i32 s100, s5, s3
	s_mul_hi_u32 s3, s4, s6
	v_lshlrev_b64 v[229:230], 2, v[36:37]
	s_add_i32 s102, s4, s3
	scratch_store_b32 off, v12, off offset:940 ; 4-byte Folded Spill
	v_mul_u32_u24_e32 v12, 60, v55
	v_add_co_u32 v0, s3, s42, v0
	v_lshlrev_b64 v[225:226], 2, v[40:41]
	v_ashrrev_i32_e32 v43, 31, v42
	s_delay_alu instid0(VALU_DEP_4)
	v_lshl_add_u32 v12, v12, 2, v209
	v_ashrrev_i32_e32 v21, 31, v20
	s_lshl_b64 s[4:5], s[58:59], 1
	v_cmp_eq_u32_e64 s0, 0, v191
	v_lshlrev_b64 v[246:247], 2, v[42:43]
	scratch_store_b32 off, v12, off offset:992 ; 4-byte Folded Spill
	v_lshrrev_b32_e32 v12, 2, v18
	v_mul_u32_u24_e32 v18, 0xf0, v88
	v_lshlrev_b64 v[252:253], 2, v[20:21]
	v_writelane_b32 v255, s4, 7
	v_cmp_eq_u32_e64 s1, 1, v191
	scratch_store_b32 off, v12, off offset:996 ; 4-byte Folded Spill
	v_mul_u32_u24_e32 v12, 60, v56
	scratch_store_b32 off, v18, off offset:1016 ; 4-byte Folded Spill
	v_writelane_b32 v255, s5, 8
	v_lshlrev_b32_e32 v215, 2, v90
	v_mul_u32_u24_e32 v178, 0x90, v214
	v_lshl_add_u32 v12, v12, 2, v209
	v_xor_b32_e32 v237, 1, v234
	v_add_nc_u32_e32 v241, 0xf00, v243
	v_add_nc_u32_e32 v204, 0x1e00, v243
	;; [unrolled: 1-line block ×3, first 2 shown]
	scratch_store_b32 off, v12, off offset:1032 ; 4-byte Folded Spill
	v_lshrrev_b32_e32 v12, 2, v54
	v_mad_u32_u24 v199, 0xf0, v98, 0
	v_add_nc_u32_e32 v200, 0x1e00, v249
	v_add_nc_u32_e32 v240, 32, v249
	;; [unrolled: 1-line block ×3, first 2 shown]
	scratch_store_b32 off, v12, off offset:1036 ; 4-byte Folded Spill
	v_mul_u32_u24_e32 v12, 60, v60
	v_add_nc_u32_e32 v168, 0x60, v249
	v_add_nc_u32_e32 v184, 0xc0, v249
	v_writelane_b32 v255, s12, 9
	s_ashr_i32 s97, s88, 31
	v_lshl_add_u32 v12, v12, 2, v209
	s_ashr_i32 s99, s87, 31
	s_ashr_i32 s101, s10, 31
	s_lshl_b64 s[78:79], s[30:31], 8
	s_lshl_b64 s[80:81], s[34:35], 8
	scratch_store_b32 off, v12, off offset:1064 ; 4-byte Folded Spill
	v_lshrrev_b32_e32 v12, 2, v57
	s_mov_b32 s20, s75
	s_mov_b32 s21, s75
	;; [unrolled: 1-line block ×4, first 2 shown]
	scratch_store_b32 off, v12, off offset:1068 ; 4-byte Folded Spill
	v_mul_u32_u24_e32 v12, 60, v62
	s_mov_b32 s24, s75
	s_mov_b32 s25, s75
	;; [unrolled: 1-line block ×4, first 2 shown]
	v_lshl_add_u32 v12, v12, 2, v209
	scratch_store_b32 off, v12, off offset:1096 ; 4-byte Folded Spill
	v_lshrrev_b32_e32 v12, 2, v59
	scratch_store_b32 off, v12, off offset:1100 ; 4-byte Folded Spill
	v_mul_u32_u24_e32 v12, 60, v65
	s_delay_alu instid0(VALU_DEP_1)
	v_lshl_add_u32 v12, v12, 2, v209
	scratch_store_b32 off, v12, off offset:1128 ; 4-byte Folded Spill
	v_mul_u32_u24_e32 v12, 0xf0, v67
	scratch_store_b32 off, v19, off offset:596 ; 4-byte Folded Spill
	v_mul_u32_u24_e32 v19, 0xf0, v46
	scratch_store_b32 off, v12, off offset:600 ; 4-byte Folded Spill
	v_mad_u32_u24 v12, v69, 60, v98
	scratch_store_b32 off, v19, off offset:756 ; 4-byte Folded Spill
	v_mul_u32_u24_e32 v19, 60, v48
	v_lshl_add_u32 v12, v12, 2, 0
	s_delay_alu instid0(VALU_DEP_2)
	v_lshl_add_u32 v19, v19, 2, v209
	scratch_store_b32 off, v12, off offset:772 ; 4-byte Folded Spill
	v_lshrrev_b32_e32 v12, 2, v66
	scratch_store_b32 off, v19, off offset:804 ; 4-byte Folded Spill
	v_mul_u32_u24_e32 v19, 0xf0, v49
	scratch_store_b32 off, v12, off offset:776 ; 4-byte Folded Spill
	v_mul_u32_u24_e32 v12, 0xf0, v71
	;; [unrolled: 2-line block ×3, first 2 shown]
	scratch_store_b32 off, v12, off offset:808 ; 4-byte Folded Spill
	v_mad_u32_u24 v12, v73, 60, v98
	v_lshl_add_u32 v19, v19, 2, v209
	s_delay_alu instid0(VALU_DEP_2)
	v_lshl_add_u32 v12, v12, 2, 0
	scratch_store_b32 off, v19, off offset:912 ; 4-byte Folded Spill
	v_mul_u32_u24_e32 v19, 0xf0, v52
	scratch_store_b32 off, v12, off offset:860 ; 4-byte Folded Spill
	v_lshrrev_b32_e32 v12, 2, v70
	scratch_store_b32 off, v19, off offset:932 ; 4-byte Folded Spill
	v_mul_u32_u24_e32 v19, 60, v53
	scratch_store_b32 off, v12, off offset:864 ; 4-byte Folded Spill
	v_mul_u32_u24_e32 v12, 0xf0, v77
	v_lshl_add_u32 v19, v19, 2, v209
	s_clause 0x1
	scratch_store_b32 off, v12, off offset:916
	scratch_store_b32 off, v19, off offset:968
	v_mul_u32_u24_e32 v19, 0xf0, v55
	v_mad_u32_u24 v12, v78, 60, v98
	scratch_store_b32 off, v19, off offset:988 ; 4-byte Folded Spill
	v_mul_u32_u24_e32 v19, 60, v88
	v_lshl_add_u32 v12, v12, 2, 0
	s_delay_alu instid0(VALU_DEP_2)
	v_lshl_add_u32 v18, v19, 2, v209
	scratch_store_b32 off, v12, off offset:948 ; 4-byte Folded Spill
	v_lshrrev_b32_e32 v12, 2, v74
	v_mul_u32_u24_e32 v19, 0xf0, v58
	scratch_store_b32 off, v18, off offset:1020 ; 4-byte Folded Spill
	v_mul_u32_u24_e32 v18, 0xf0, v56
	scratch_store_b32 off, v12, off offset:952 ; 4-byte Folded Spill
	;; [unrolled: 2-line block ×4, first 2 shown]
	v_mad_u32_u24 v12, v80, 60, v98
	v_lshl_add_u32 v18, v18, 2, v209
	s_delay_alu instid0(VALU_DEP_2)
	v_lshl_add_u32 v12, v12, 2, 0
	scratch_store_b32 off, v18, off offset:1052 ; 4-byte Folded Spill
	v_mul_u32_u24_e32 v18, 0xf0, v60
	scratch_store_b32 off, v12, off offset:1004 ; 4-byte Folded Spill
	v_lshrrev_b32_e32 v12, 2, v13
	scratch_store_b32 off, v18, off offset:1060 ; 4-byte Folded Spill
	v_mul_u32_u24_e32 v18, 60, v61
	scratch_store_b32 off, v12, off offset:532 ; 4-byte Folded Spill
	v_mul_u32_u24_e32 v12, 0xf0, v84
	v_lshl_add_u32 v18, v18, 2, v209
	scratch_store_b32 off, v18, off offset:1084 ; 4-byte Folded Spill
	v_mul_u32_u24_e32 v18, 0xf0, v62
	scratch_store_b32 off, v18, off offset:1092 ; 4-byte Folded Spill
	v_mul_u32_u24_e32 v18, 60, v63
	s_delay_alu instid0(VALU_DEP_1) | instskip(SKIP_2) | instid1(VALU_DEP_1)
	v_lshl_add_u32 v18, v18, 2, v209
	scratch_store_b32 off, v18, off offset:1116 ; 4-byte Folded Spill
	v_mad_u32_u24 v18, v67, 60, v98
	v_lshl_add_u32 v18, v18, 2, 0
	scratch_store_b32 off, v19, off offset:1048 ; 4-byte Folded Spill
	v_mul_u32_u24_e32 v19, 0xf0, v61
	scratch_store_b32 off, v18, off offset:604 ; 4-byte Folded Spill
	v_lshrrev_b32_e32 v18, 2, v64
	scratch_store_b32 off, v18, off offset:608 ; 4-byte Folded Spill
	v_mul_u32_u24_e32 v18, 0xf0, v69
	scratch_store_b32 off, v18, off offset:768 ; 4-byte Folded Spill
	v_mad_u32_u24 v18, v71, 60, v98
	s_delay_alu instid0(VALU_DEP_1)
	v_lshl_add_u32 v18, v18, 2, 0
	scratch_store_b32 off, v18, off offset:812 ; 4-byte Folded Spill
	v_lshrrev_b32_e32 v18, 2, v68
	scratch_store_b32 off, v18, off offset:816 ; 4-byte Folded Spill
	v_mul_u32_u24_e32 v18, 0xf0, v73
	scratch_store_b32 off, v18, off offset:856 ; 4-byte Folded Spill
	v_mad_u32_u24 v18, v77, 60, v98
	s_delay_alu instid0(VALU_DEP_1)
	v_lshl_add_u32 v18, v18, 2, 0
	scratch_store_b32 off, v18, off offset:920 ; 4-byte Folded Spill
	v_lshrrev_b32_e32 v18, 2, v72
	scratch_store_b32 off, v18, off offset:924 ; 4-byte Folded Spill
	v_mul_u32_u24_e32 v18, 0xf0, v78
	scratch_store_b32 off, v18, off offset:944 ; 4-byte Folded Spill
	v_mad_u32_u24 v18, v79, 60, v98
	s_delay_alu instid0(VALU_DEP_1)
	v_lshl_add_u32 v18, v18, 2, 0
	scratch_store_b32 off, v18, off offset:976 ; 4-byte Folded Spill
	v_lshrrev_b32_e32 v18, 2, v75
	scratch_store_b32 off, v18, off offset:980 ; 4-byte Folded Spill
	v_mul_u32_u24_e32 v18, 0xf0, v80
	scratch_store_b32 off, v18, off offset:1000 ; 4-byte Folded Spill
	v_mad_u32_u24 v18, v84, 60, v99
	s_delay_alu instid0(VALU_DEP_1)
	v_lshl_add_u32 v13, v18, 2, 0
	scratch_store_b32 off, v12, off offset:612 ; 4-byte Folded Spill
	v_mad_u32_u24 v12, v83, 60, v99
	v_mul_u32_u24_e32 v18, 0xf0, v83
	scratch_store_b32 off, v13, off offset:616 ; 4-byte Folded Spill
	v_lshrrev_b32_e32 v13, 2, v76
	v_lshl_add_u32 v12, v12, 2, 0
	s_clause 0x1
	scratch_store_b32 off, v13, off offset:620
	scratch_store_b32 off, v12, off offset:784
	v_lshrrev_b32_e32 v12, 2, v81
	v_mad_u32_u24 v13, v85, 60, v99
	s_clause 0x1
	scratch_store_b32 off, v18, off offset:780
	scratch_store_b32 off, v12, off offset:788
	v_mul_u32_u24_e32 v12, 0xf0, v85
	scratch_store_b32 off, v12, off offset:820 ; 4-byte Folded Spill
	v_lshl_add_u32 v12, v13, 2, 0
	v_lshrrev_b32_e32 v13, 2, v82
	scratch_store_b32 off, v12, off offset:824 ; 4-byte Folded Spill
	v_mad_u32_u24 v12, v87, 60, v99
	s_delay_alu instid0(VALU_DEP_1)
	v_lshl_add_u32 v12, v12, 2, 0
	scratch_store_b32 off, v13, off offset:828 ; 4-byte Folded Spill
	v_mul_u32_u24_e32 v13, 0xf0, v87
	scratch_store_b32 off, v12, off offset:872 ; 4-byte Folded Spill
	v_and_b32_e32 v12, 1, v232
	scratch_store_b32 off, v13, off offset:868 ; 4-byte Folded Spill
	v_lshlrev_b32_e32 v12, 4, v12
	s_delay_alu instid0(VALU_DEP_1) | instskip(SKIP_1) | instid1(VALU_DEP_2)
	v_add_co_u32 v13, vcc_lo, v12, v210
	v_add_co_ci_u32_e32 v18, vcc_lo, 0, v211, vcc_lo
	v_add_co_u32 v13, vcc_lo, v13, s40
	s_delay_alu instid0(VALU_DEP_2) | instskip(NEXT) | instid1(VALU_DEP_2)
	v_add_co_ci_u32_e32 v18, vcc_lo, s41, v18, vcc_lo
	v_add_co_u32 v13, vcc_lo, 0xc0, v13
	scratch_store_b32 off, v19, off offset:1080 ; 4-byte Folded Spill
	v_mul_u32_u24_e32 v19, 0xf0, v63
	scratch_store_b32 off, v13, off offset:628 ; 4-byte Folded Spill
	v_add_co_ci_u32_e32 v13, vcc_lo, 0, v18, vcc_lo
	scratch_store_b32 off, v19, off offset:1112 ; 4-byte Folded Spill
	v_mul_u32_u24_e32 v19, 0xf0, v65
	v_add_co_u32 v18, vcc_lo, s40, v212
	v_mad_u64_u32 v[64:65], null, v238, s12, v[232:233]
	scratch_store_b32 off, v19, off offset:1124 ; 4-byte Folded Spill
	v_add_co_ci_u32_e32 v19, vcc_lo, s41, v213, vcc_lo
	s_clause 0x1
	scratch_store_b32 off, v13, off offset:632
	scratch_store_b64 off, v[18:19], off offset:636
	v_add_co_u32 v18, vcc_lo, s40, v170
	v_add_co_ci_u32_e32 v19, vcc_lo, s41, v171, vcc_lo
	v_add_co_u32 v12, vcc_lo, v12, v172
	v_add_co_ci_u32_e32 v13, vcc_lo, 0, v173, vcc_lo
	scratch_store_b64 off, v[18:19], off offset:644 ; 8-byte Folded Spill
	v_add_co_u32 v12, vcc_lo, v12, s38
	v_add_co_ci_u32_e32 v13, vcc_lo, s39, v13, vcc_lo
	s_delay_alu instid0(VALU_DEP_2)
	v_add_co_u32 v12, vcc_lo, 0xc0, v12
	scratch_store_b32 off, v12, off offset:652 ; 4-byte Folded Spill
	v_add_co_ci_u32_e32 v12, vcc_lo, 0, v13, vcc_lo
	scratch_store_b32 off, v12, off offset:656 ; 4-byte Folded Spill
	v_add_co_u32 v12, vcc_lo, v176, s38
	v_add_co_ci_u32_e32 v13, vcc_lo, s39, v177, vcc_lo
	v_add_co_u32 v16, vcc_lo, v250, s38
	v_add_co_ci_u32_e32 v17, vcc_lo, s39, v251, vcc_lo
	s_delay_alu instid0(VALU_DEP_4)
	v_add_co_u32 v12, vcc_lo, 0x80, v12
	scratch_store_b32 off, v12, off offset:660 ; 4-byte Folded Spill
	v_add_co_ci_u32_e32 v12, vcc_lo, 0, v13, vcc_lo
	scratch_store_b32 off, v12, off offset:664 ; 4-byte Folded Spill
	v_add_co_u32 v12, vcc_lo, 0x80, v16
	scratch_store_b32 off, v12, off offset:668 ; 4-byte Folded Spill
	v_add_co_ci_u32_e32 v12, vcc_lo, 0, v17, vcc_lo
	scratch_store_b32 off, v12, off offset:672 ; 4-byte Folded Spill
	v_bfe_u32 v12, v232, 3, 2
	s_delay_alu instid0(VALU_DEP_1)
	v_mov_b32_e32 v1, v12
	v_mad_u32_u24 v14, 0xf0, v14, 0
	s_clause 0x1
	scratch_store_b64 off, v[1:2], off offset:340
	scratch_store_b32 off, v14, off offset:372
	v_mul_lo_u32 v1, s12, v12
	v_add_nc_u32_e32 v14, s2, v20
	s_delay_alu instid0(VALU_DEP_1) | instskip(SKIP_1) | instid1(VALU_DEP_4)
	v_ashrrev_i32_e32 v15, 31, v14
	v_add_nc_u32_e32 v28, s2, v14
	v_add3_u32 v1, v1, v99, 48
	scratch_store_b32 off, v189, off offset:836 ; 4-byte Folded Spill
	v_lshl_add_u32 v189, v99, 2, v44
	v_mul_u32_u24_e32 v44, 0xf0, v86
	v_lshlrev_b64 v[138:139], 2, v[14:15]
	scratch_store_b64 off, v[1:2], off offset:380 ; 8-byte Folded Spill
	v_mul_u32_u24_e32 v1, 0xf0, v98
	scratch_store_b32 off, v191, off offset:840 ; 4-byte Folded Spill
	v_and_b32_e32 v2, 3, v232
	v_ashrrev_i32_e32 v29, 31, v28
	v_add_nc_u32_e32 v32, s2, v28
	scratch_store_b32 off, v1, off offset:388 ; 4-byte Folded Spill
	v_lshlrev_b32_e32 v1, 1, v232
	scratch_store_b32 off, v44, off offset:524 ; 4-byte Folded Spill
	v_mul_u32_u24_e32 v44, 0xf0, v91
	v_lshlrev_b64 v[140:141], 2, v[28:29]
	v_ashrrev_i32_e32 v33, 31, v32
	scratch_store_b32 off, v1, off offset:348 ; 4-byte Folded Spill
	v_add_nc_u32_e32 v1, 0x3c00, v248
	v_cmp_gt_u32_e64 s2, 16, v232
	v_lshlrev_b64 v[124:125], 2, v[32:33]
	scratch_store_b32 off, v1, off offset:548 ; 4-byte Folded Spill
	v_lshrrev_b32_e32 v1, 2, v3
	scratch_store_b32 off, v1, off offset:540 ; 4-byte Folded Spill
	v_and_b32_e32 v1, 3, v3
	scratch_store_b32 off, v44, off offset:592 ; 4-byte Folded Spill
	v_mul_u32_u24_e32 v44, 0xf0, v48
	v_lshrrev_b32_e32 v3, 2, v116
	scratch_store_b64 off, v[1:2], off offset:448 ; 8-byte Folded Spill
	v_mul_lo_u32 v1, v179, s12
	scratch_store_b32 off, v44, off offset:800 ; 4-byte Folded Spill
	v_mul_u32_u24_e32 v44, 0xf0, v51
	scratch_store_b32 off, v44, off offset:908 ; 4-byte Folded Spill
	v_mul_u32_u24_e32 v44, 0xf0, v53
	v_add3_u32 v63, v1, v98, 32
	v_add_nc_u32_e32 v1, 0x3c00, v236
	s_clause 0x2
	scratch_store_b32 off, v44, off offset:964
	scratch_store_b32 off, v3, off offset:392
	;; [unrolled: 1-line block ×3, first 2 shown]
	v_lshrrev_b32_e32 v3, 2, v97
	s_clause 0x1
	scratch_store_b32 off, v3, off offset:396
	scratch_store_b32 off, v96, off offset:892
	v_lshrrev_b32_e32 v3, 2, v96
	s_clause 0x1
	scratch_store_b32 off, v3, off offset:400
	scratch_store_b32 off, v95, off offset:888
	;; [unrolled: 4-line block ×6, first 2 shown]
	scratch_store_b32 off, v1, off offset:436
	scratch_store_b32 off, v0, off offset:676
	v_lshrrev_b32_e32 v1, 3, v214
	v_add_co_ci_u32_e64 v0, null, s43, 0, s3
	scratch_store_b32 off, v1, off offset:544 ; 4-byte Folded Spill
	v_lshrrev_b32_e32 v1, 2, v4
	scratch_store_b32 off, v1, off offset:624 ; 4-byte Folded Spill
	v_and_b32_e32 v1, 3, v4
	scratch_store_b64 off, v[1:2], off offset:560 ; 8-byte Folded Spill
	v_lshrrev_b32_e32 v1, 2, v5
	scratch_store_b32 off, v1, off offset:832 ; 4-byte Folded Spill
	v_and_b32_e32 v1, 3, v5
	scratch_store_b64 off, v[1:2], off offset:792 ; 8-byte Folded Spill
	;; [unrolled: 4-line block ×7, first 2 shown]
	v_lshrrev_b32_e32 v1, 2, v11
	scratch_store_b32 off, v1, off offset:1120 ; 4-byte Folded Spill
	v_and_b32_e32 v1, 3, v11
	s_clause 0x2
	scratch_store_b64 off, v[1:2], off offset:1104
	scratch_store_b32 off, v0, off offset:680
	scratch_store_b32 off, v2, off offset:536
	v_lshlrev_b32_e32 v0, 4, v2
	s_clause 0x1
	scratch_store_b32 off, v0, off offset:332
	scratch_store_b32 off, v99, off offset:556
	v_lshlrev_b32_e32 v0, 4, v99
	scratch_store_b32 off, v0, off offset:328 ; 4-byte Folded Spill
	v_add_co_u32 v0, vcc_lo, s40, v181
	scratch_store_b32 off, v0, off offset:684 ; 4-byte Folded Spill
	v_add_co_ci_u32_e32 v0, vcc_lo, s41, v182, vcc_lo
	scratch_store_b32 off, v0, off offset:688 ; 4-byte Folded Spill
	v_add_co_u32 v0, vcc_lo, s40, v229
	scratch_store_b32 off, v0, off offset:692 ; 4-byte Folded Spill
	v_add_co_ci_u32_e32 v0, vcc_lo, s41, v230, vcc_lo
	;; [unrolled: 4-line block ×8, first 2 shown]
	scratch_store_b32 off, v0, off offset:744 ; 4-byte Folded Spill
	v_mbcnt_lo_u32_b32 v0, -1, 0
	scratch_store_b32 off, v0, off offset:336 ; 4-byte Folded Spill
	v_bfe_u32 v0, v214, 1, 2
	scratch_store_b64 off, v[0:1], off offset:460 ; 8-byte Folded Spill
	v_mov_b32_e32 v0, v63
	s_clause 0x1d
	scratch_store_b32 off, v207, off offset:204
	scratch_store_b32 off, v208, off offset:208
	;; [unrolled: 1-line block ×12, first 2 shown]
	scratch_store_b64 off, v[210:211], off offset:216
	scratch_store_b64 off, v[212:213], off offset:224
	;; [unrolled: 1-line block ×11, first 2 shown]
	scratch_store_b32 off, v237, off offset:232
	scratch_store_b32 off, v241, off offset:84
	;; [unrolled: 1-line block ×6, first 2 shown]
	scratch_store_b64 off, v[0:1], off offset:428
	v_mov_b32_e32 v0, v64
	s_clause 0xc
	scratch_store_b64 off, v[0:1], off offset:440
	scratch_store_b32 off, v238, off offset:572
	scratch_store_b32 off, v216, off offset:576
	;; [unrolled: 1-line block ×6, first 2 shown]
	scratch_store_b64 off, v[252:253], off offset:272
	scratch_store_b64 off, v[250:251], off offset:280
	;; [unrolled: 1-line block ×3, first 2 shown]
	scratch_store_b32 off, v242, off offset:296
	scratch_store_b32 off, v243, off offset:300
	scratch_store_b32 off, v233, off offset:304
	s_branch .LBB19_12
.LBB19_10:                              ;   in Loop: Header=BB19_12 Depth=1
	s_or_b32 exec_lo, exec_lo, s7
	s_waitcnt_vscnt null, 0x0
	s_barrier
.LBB19_11:                              ;   in Loop: Header=BB19_12 Depth=1
	s_add_i32 s3, s68, s89
	s_mov_b32 s33, 0
	s_abs_i32 s4, s3
	s_waitcnt_vscnt null, 0x0
	buffer_gl0_inv
	s_mul_hi_u32 s5, s4, s92
	s_delay_alu instid0(SALU_CYCLE_1) | instskip(NEXT) | instid1(SALU_CYCLE_1)
	s_mul_i32 s5, s5, s90
	s_sub_i32 s4, s4, s5
	s_ashr_i32 s5, s3, 31
	s_sub_i32 s6, s4, s90
	s_cmp_ge_u32 s4, s90
	s_cselect_b32 s4, s6, s4
	s_delay_alu instid0(SALU_CYCLE_1) | instskip(SKIP_2) | instid1(SALU_CYCLE_1)
	s_sub_i32 s6, s4, s90
	s_cmp_ge_u32 s4, s90
	s_cselect_b32 s4, s6, s4
	s_xor_b32 s4, s4, s5
	s_delay_alu instid0(SALU_CYCLE_1) | instskip(NEXT) | instid1(SALU_CYCLE_1)
	s_sub_i32 s4, s5, s4
	s_add_i32 s68, s3, s4
	s_delay_alu instid0(SALU_CYCLE_1) | instskip(NEXT) | instid1(SALU_CYCLE_1)
	s_sub_i32 s4, s72, s68
	s_min_i32 s9, s89, s4
	s_cmp_gt_i32 s72, s68
	s_cselect_b32 s3, -1, 0
	s_cmp_le_i32 s89, s4
	s_cselect_b32 s4, -1, 0
	s_delay_alu instid0(SALU_CYCLE_1) | instskip(NEXT) | instid1(SALU_CYCLE_1)
	s_and_b32 s4, s4, s3
	s_and_b32 vcc_lo, exec_lo, s4
	s_cbranch_vccz .LBB19_425
.LBB19_12:                              ; =>This Loop Header: Depth=1
                                        ;     Child Loop BB19_283 Depth 2
                                        ;     Child Loop BB19_77 Depth 2
	s_abs_i32 s3, s68
	s_ashr_i32 s5, s68, 31
	s_mul_hi_u32 s4, s3, s98
	s_xor_b32 s5, s5, s97
	s_mul_i32 s6, s4, s93
	s_delay_alu instid0(SALU_CYCLE_1)
	s_sub_i32 s3, s3, s6
	s_add_i32 s6, s4, 1
	s_sub_i32 s7, s3, s93
	s_cmp_ge_u32 s3, s93
	s_cselect_b32 s4, s6, s4
	s_cselect_b32 s3, s7, s3
	s_add_i32 s6, s4, 1
	s_cmp_ge_u32 s3, s93
	s_cselect_b32 s3, s6, s4
	s_delay_alu instid0(SALU_CYCLE_1) | instskip(NEXT) | instid1(SALU_CYCLE_1)
	s_xor_b32 s3, s3, s5
	s_sub_i32 s3, s3, s5
	s_delay_alu instid0(SALU_CYCLE_1) | instskip(NEXT) | instid1(SALU_CYCLE_1)
	s_mul_i32 s4, s3, s88
	s_sub_i32 s5, s68, s4
	s_delay_alu instid0(SALU_CYCLE_1) | instskip(SKIP_4) | instid1(SALU_CYCLE_1)
	s_abs_i32 s4, s5
	s_ashr_i32 s7, s5, 31
	s_mul_hi_u32 s6, s4, s100
	s_xor_b32 s7, s7, s99
	s_mul_i32 s8, s6, s94
	s_sub_i32 s4, s4, s8
	s_add_i32 s8, s6, 1
	s_sub_i32 s10, s4, s94
	s_cmp_ge_u32 s4, s94
	s_cselect_b32 s6, s8, s6
	s_cselect_b32 s4, s10, s4
	s_add_i32 s8, s6, 1
	s_cmp_ge_u32 s4, s94
	s_cselect_b32 s4, s8, s6
	s_delay_alu instid0(SALU_CYCLE_1) | instskip(NEXT) | instid1(SALU_CYCLE_1)
	s_xor_b32 s4, s4, s7
	s_sub_i32 s4, s4, s7
	s_delay_alu instid0(SALU_CYCLE_1) | instskip(NEXT) | instid1(SALU_CYCLE_1)
	s_mul_i32 s6, s4, s87
	s_sub_i32 s6, s5, s6
	s_delay_alu instid0(SALU_CYCLE_1) | instskip(SKIP_4) | instid1(SALU_CYCLE_1)
	s_abs_i32 s5, s6
	s_ashr_i32 s8, s6, 31
	s_mul_hi_u32 s7, s5, s102
	s_xor_b32 s8, s8, s101
	s_mul_i32 s10, s7, s95
	s_sub_i32 s5, s5, s10
	s_add_i32 s10, s7, 1
	s_sub_i32 s11, s5, s95
	s_cmp_ge_u32 s5, s95
	s_cselect_b32 s7, s10, s7
	s_cselect_b32 s5, s11, s5
	s_add_i32 s10, s7, 1
	s_cmp_ge_u32 s5, s95
	s_cselect_b32 s5, s10, s7
	s_mul_i32 s7, s85, s89
	s_xor_b32 s5, s5, s8
	s_delay_alu instid0(SALU_CYCLE_1) | instskip(NEXT) | instid1(SALU_CYCLE_1)
	s_sub_i32 s5, s5, s8
	s_mul_i32 s7, s5, s7
	s_delay_alu instid0(SALU_CYCLE_1) | instskip(NEXT) | instid1(SALU_CYCLE_1)
	s_sub_i32 s6, s6, s7
	s_abs_i32 s7, s6
	s_ashr_i32 s6, s6, 31
	s_mul_hi_u32 s8, s7, s92
	s_xor_b32 s6, s6, s91
	s_mul_i32 s10, s8, s90
	s_delay_alu instid0(SALU_CYCLE_1)
	s_sub_i32 s7, s7, s10
	s_add_i32 s10, s8, 1
	s_sub_i32 s11, s7, s90
	s_cmp_ge_u32 s7, s90
	s_cselect_b32 s8, s10, s8
	s_cselect_b32 s7, s11, s7
	s_add_i32 s10, s8, 1
	s_cmp_ge_u32 s7, s90
	s_cselect_b32 s7, s10, s8
	s_and_not1_b32 vcc_lo, exec_lo, s64
	s_xor_b32 s7, s7, s6
	s_delay_alu instid0(SALU_CYCLE_1)
	s_sub_i32 s76, s7, s6
	s_cbranch_vccnz .LBB19_14
; %bb.13:                               ;   in Loop: Header=BB19_12 Depth=1
	s_mul_i32 s6, s3, s85
	s_delay_alu instid0(SALU_CYCLE_1) | instskip(NEXT) | instid1(SALU_CYCLE_1)
	s_add_i32 s6, s76, s6
	s_ashr_i32 s7, s6, 31
	s_delay_alu instid0(SALU_CYCLE_1) | instskip(NEXT) | instid1(SALU_CYCLE_1)
	s_lshl_b64 s[6:7], s[6:7], 2
	s_add_u32 s6, s46, s6
	s_addc_u32 s7, s47, s7
	global_load_b32 v0, v174, s[6:7]
	s_waitcnt vmcnt(0)
	v_readfirstlane_b32 s6, v0
	s_delay_alu instid0(VALU_DEP_1) | instskip(NEXT) | instid1(SALU_CYCLE_1)
	s_ashr_i32 s7, s6, 31
	s_lshr_b32 s7, s7, 26
	s_delay_alu instid0(SALU_CYCLE_1) | instskip(NEXT) | instid1(SALU_CYCLE_1)
	s_add_i32 s6, s6, s7
	s_ashr_i32 s6, s6, 6
	s_delay_alu instid0(SALU_CYCLE_1)
	s_min_i32 s9, s9, s6
.LBB19_14:                              ;   in Loop: Header=BB19_12 Depth=1
	scratch_load_b32 v0, off, off offset:456 ; 4-byte Folded Reload
	s_mul_i32 s6, s4, s84
	s_lshl_b32 s103, s5, 2
	s_mul_i32 s5, s3, s67
	s_add_i32 s6, s103, s6
	s_ashr_i32 s7, s5, 31
	s_mul_i32 s8, s6, s66
	s_add_u32 s5, s36, s5
	s_addc_u32 s7, s37, s7
	s_ashr_i32 s10, s8, 31
	s_add_u32 s19, s5, s8
	s_addc_u32 s96, s7, s10
	v_readlane_b32 s10, v255, 1
	v_readlane_b32 s11, v255, 2
	s_mul_i32 s5, s3, s53
	s_mul_hi_u32 s7, s3, s52
	s_ashr_i32 s8, s3, 31
	s_add_i32 s5, s7, s5
	s_mul_i32 s7, s8, s52
	s_mul_i32 s17, s3, s52
	s_add_i32 s12, s5, s7
	s_mul_i32 s18, s4, s11
	s_add_u32 s5, s38, s17
	s_addc_u32 s7, s39, s12
	s_ashr_i32 s14, s18, 31
	s_add_u32 s70, s5, s18
	s_addc_u32 s73, s7, s14
	s_abs_i32 s5, s3
	s_mul_i32 s7, s3, s61
	s_mul_hi_u32 s13, s3, s60
	s_mul_i32 s15, s3, s60
	v_or_b32_e32 v10, s103, v238
	s_waitcnt vmcnt(0)
	v_mul_hi_u32 v0, s5, v0
	s_delay_alu instid0(VALU_DEP_1) | instskip(NEXT) | instid1(VALU_DEP_1)
	v_mul_lo_u32 v0, v0, s71
	v_sub_nc_u32_e32 v0, s5, v0
	s_mul_i32 s5, s28, s29
	s_delay_alu instid0(SALU_CYCLE_1) | instskip(SKIP_1) | instid1(VALU_DEP_1)
	s_mul_i32 s5, s5, s3
	s_mul_i32 s3, s8, s60
	v_subrev_nc_u32_e32 v1, s71, v0
	v_cmp_le_u32_e32 vcc_lo, s71, v0
	s_add_i32 s5, s6, s5
	s_delay_alu instid0(SALU_CYCLE_1) | instskip(NEXT) | instid1(VALU_DEP_2)
	s_mul_i32 s74, s5, 56
	v_cndmask_b32_e32 v0, v0, v1, vcc_lo
	s_lshl_b64 s[10:11], s[74:75], 3
	s_delay_alu instid0(SALU_CYCLE_1) | instskip(SKIP_1) | instid1(VALU_DEP_1)
	s_add_u32 s59, s48, s10
	s_addc_u32 s77, s49, s11
	v_subrev_nc_u32_e32 v1, s71, v0
	v_cmp_le_u32_e32 vcc_lo, s71, v0
	s_add_i32 s5, s13, s7
	s_mul_i32 s13, s4, s55
	s_add_i32 s74, s5, s3
	s_add_u32 s3, s40, s15
	v_cndmask_b32_e32 v0, v0, v1, vcc_lo
	s_addc_u32 s4, s41, s74
	s_ashr_i32 s16, s13, 31
	s_add_u32 s104, s3, s13
	s_addc_u32 vcc_hi, s4, s16
	v_xor_b32_e32 v0, s8, v0
	s_ashr_i32 s7, s6, 31
	s_delay_alu instid0(SALU_CYCLE_1) | instskip(NEXT) | instid1(VALU_DEP_1)
	s_lshl_b64 s[4:5], s[6:7], 2
	v_subrev_nc_u32_e32 v0, s8, v0
	s_add_u32 s3, s44, s4
	s_addc_u32 s4, s45, s5
	s_and_b32 s5, s54, exec_lo
	s_cselect_b32 s83, 0, s4
	v_ashrrev_i32_e32 v1, 31, v0
	v_mul_lo_u32 v2, v0, s63
	v_mul_hi_u32 v3, v0, s62
	v_mul_lo_u32 v4, v0, s62
	s_cselect_b32 s82, 0, s3
	v_mul_lo_u32 v1, v1, s62
	s_cmp_lg_u32 s33, 0
	s_delay_alu instid0(VALU_DEP_3) | instskip(NEXT) | instid1(VALU_DEP_3)
	v_add_nc_u32_e32 v0, v3, v2
	v_add_co_u32 v118, vcc_lo, s42, v4
	s_delay_alu instid0(VALU_DEP_2) | instskip(NEXT) | instid1(VALU_DEP_1)
	v_add_nc_u32_e32 v5, v0, v1
	v_add_co_ci_u32_e32 v239, vcc_lo, s43, v5, vcc_lo
	v_cmp_gt_i32_e32 vcc_lo, s84, v10
	scratch_store_b64 off, v[4:5], off offset:352 ; 8-byte Folded Spill
	s_cbranch_scc0 .LBB19_73
; %bb.15:                               ;   in Loop: Header=BB19_12 Depth=1
	scratch_load_b32 v0, off, off offset:364 ; 4-byte Folded Reload
	s_lshl_b32 s65, s76, 3
	s_xor_b32 s4, vcc_lo, -1
	s_waitcnt vmcnt(0)
	v_add_nc_u32_e32 v0, s65, v0
	s_delay_alu instid0(VALU_DEP_1) | instskip(NEXT) | instid1(VALU_DEP_1)
	v_cmp_le_i32_e64 s3, s28, v0
	s_or_b32 s3, s3, s4
	s_delay_alu instid0(SALU_CYCLE_1) | instskip(NEXT) | instid1(SALU_CYCLE_1)
	s_and_saveexec_b32 s5, s3
	s_xor_b32 s3, exec_lo, s5
	s_cbranch_execz .LBB19_17
; %bb.16:                               ;   in Loop: Header=BB19_12 Depth=1
	ds_store_b32 v175, v174
                                        ; implicit-def: $vgpr0
.LBB19_17:                              ;   in Loop: Header=BB19_12 Depth=1
	s_and_not1_saveexec_b32 s3, s3
	s_cbranch_execz .LBB19_19
; %bb.18:                               ;   in Loop: Header=BB19_12 Depth=1
	v_mad_u64_u32 v[1:2], null, v0, s69, v[64:65]
	s_delay_alu instid0(VALU_DEP_1) | instskip(NEXT) | instid1(VALU_DEP_1)
	v_ashrrev_i32_e32 v2, 31, v1
	v_lshlrev_b64 v[0:1], 3, v[1:2]
	s_delay_alu instid0(VALU_DEP_1) | instskip(NEXT) | instid1(VALU_DEP_2)
	v_add_co_u32 v0, vcc_lo, s19, v0
	v_add_co_ci_u32_e32 v1, vcc_lo, s96, v1, vcc_lo
	global_load_b64 v[0:1], v[0:1], off
	s_waitcnt vmcnt(0)
	v_cvt_f16_f32_e32 v0, v0
	v_cvt_f16_f32_e32 v1, v1
	s_delay_alu instid0(VALU_DEP_1) | instskip(NEXT) | instid1(VALU_DEP_1)
	v_pack_b32_f16 v0, v0, v1
	v_pk_mul_f16 v0, v216, v0
	ds_store_b32 v175, v0
.LBB19_19:                              ;   in Loop: Header=BB19_12 Depth=1
	s_or_b32 exec_lo, exec_lo, s3
	scratch_load_b32 v0, off, off offset:392 ; 4-byte Folded Reload
	s_waitcnt vmcnt(0)
	v_add_nc_u32_e32 v0, s65, v0
	s_delay_alu instid0(VALU_DEP_1) | instskip(SKIP_1) | instid1(SALU_CYCLE_1)
	v_cmp_le_i32_e32 vcc_lo, s28, v0
	s_or_b32 s3, vcc_lo, s4
	s_and_saveexec_b32 s5, s3
	s_delay_alu instid0(SALU_CYCLE_1)
	s_xor_b32 s3, exec_lo, s5
	s_cbranch_execz .LBB19_21
; %bb.20:                               ;   in Loop: Header=BB19_12 Depth=1
	ds_store_b32 v175, v174 offset:960
                                        ; implicit-def: $vgpr0
.LBB19_21:                              ;   in Loop: Header=BB19_12 Depth=1
	s_and_not1_saveexec_b32 s3, s3
	s_cbranch_execz .LBB19_23
; %bb.22:                               ;   in Loop: Header=BB19_12 Depth=1
	v_mad_u64_u32 v[1:2], null, v0, s69, v[64:65]
	s_delay_alu instid0(VALU_DEP_1) | instskip(NEXT) | instid1(VALU_DEP_1)
	v_ashrrev_i32_e32 v2, 31, v1
	v_lshlrev_b64 v[0:1], 3, v[1:2]
	s_delay_alu instid0(VALU_DEP_1) | instskip(NEXT) | instid1(VALU_DEP_2)
	v_add_co_u32 v0, vcc_lo, s19, v0
	v_add_co_ci_u32_e32 v1, vcc_lo, s96, v1, vcc_lo
	global_load_b64 v[0:1], v[0:1], off
	s_waitcnt vmcnt(0)
	v_cvt_f16_f32_e32 v0, v0
	v_cvt_f16_f32_e32 v1, v1
	s_delay_alu instid0(VALU_DEP_1) | instskip(NEXT) | instid1(VALU_DEP_1)
	v_pack_b32_f16 v0, v0, v1
	v_pk_mul_f16 v0, v216, v0
	ds_store_b32 v175, v0 offset:960
.LBB19_23:                              ;   in Loop: Header=BB19_12 Depth=1
	s_or_b32 exec_lo, exec_lo, s3
	scratch_load_b32 v0, off, off offset:396 ; 4-byte Folded Reload
	s_waitcnt vmcnt(0)
	v_add_nc_u32_e32 v0, s65, v0
	s_delay_alu instid0(VALU_DEP_1) | instskip(SKIP_1) | instid1(SALU_CYCLE_1)
	v_cmp_le_i32_e32 vcc_lo, s28, v0
	s_or_b32 s3, vcc_lo, s4
	s_and_saveexec_b32 s5, s3
	s_delay_alu instid0(SALU_CYCLE_1)
	s_xor_b32 s3, exec_lo, s5
	s_cbranch_execz .LBB19_25
; %bb.24:                               ;   in Loop: Header=BB19_12 Depth=1
	ds_store_b32 v175, v174 offset:1920
                                        ; implicit-def: $vgpr0
.LBB19_25:                              ;   in Loop: Header=BB19_12 Depth=1
	s_and_not1_saveexec_b32 s3, s3
	s_cbranch_execz .LBB19_27
; %bb.26:                               ;   in Loop: Header=BB19_12 Depth=1
	v_mad_u64_u32 v[1:2], null, v0, s69, v[64:65]
	s_delay_alu instid0(VALU_DEP_1) | instskip(NEXT) | instid1(VALU_DEP_1)
	v_ashrrev_i32_e32 v2, 31, v1
	v_lshlrev_b64 v[0:1], 3, v[1:2]
	s_delay_alu instid0(VALU_DEP_1) | instskip(NEXT) | instid1(VALU_DEP_2)
	v_add_co_u32 v0, vcc_lo, s19, v0
	v_add_co_ci_u32_e32 v1, vcc_lo, s96, v1, vcc_lo
	global_load_b64 v[0:1], v[0:1], off
	s_waitcnt vmcnt(0)
	v_cvt_f16_f32_e32 v0, v0
	v_cvt_f16_f32_e32 v1, v1
	s_delay_alu instid0(VALU_DEP_1) | instskip(NEXT) | instid1(VALU_DEP_1)
	v_pack_b32_f16 v0, v0, v1
	v_pk_mul_f16 v0, v216, v0
	ds_store_b32 v175, v0 offset:1920
.LBB19_27:                              ;   in Loop: Header=BB19_12 Depth=1
	;; [unrolled: 34-line block ×7, first 2 shown]
	s_or_b32 exec_lo, exec_lo, s3
	v_or_b32_e32 v1, s103, v179
	v_add_nc_u32_e32 v0, s65, v218
	s_delay_alu instid0(VALU_DEP_2) | instskip(NEXT) | instid1(VALU_DEP_2)
	v_cmp_gt_i32_e32 vcc_lo, s84, v1
	v_cmp_le_i32_e64 s3, s28, v0
	s_xor_b32 s4, vcc_lo, -1
	s_delay_alu instid0(VALU_DEP_1) | instid1(SALU_CYCLE_1)
	s_or_b32 s3, s3, s4
	s_delay_alu instid0(SALU_CYCLE_1) | instskip(NEXT) | instid1(SALU_CYCLE_1)
	s_and_saveexec_b32 s5, s3
	s_xor_b32 s3, exec_lo, s5
	s_cbranch_execz .LBB19_49
; %bb.48:                               ;   in Loop: Header=BB19_12 Depth=1
	ds_store_b32 v180, v174 offset:128
                                        ; implicit-def: $vgpr0
.LBB19_49:                              ;   in Loop: Header=BB19_12 Depth=1
	s_and_not1_saveexec_b32 s3, s3
	s_cbranch_execz .LBB19_51
; %bb.50:                               ;   in Loop: Header=BB19_12 Depth=1
	v_mad_u64_u32 v[1:2], null, v0, s69, v[63:64]
	s_delay_alu instid0(VALU_DEP_1) | instskip(NEXT) | instid1(VALU_DEP_1)
	v_ashrrev_i32_e32 v2, 31, v1
	v_lshlrev_b64 v[0:1], 3, v[1:2]
	s_delay_alu instid0(VALU_DEP_1) | instskip(NEXT) | instid1(VALU_DEP_2)
	v_add_co_u32 v0, vcc_lo, s19, v0
	v_add_co_ci_u32_e32 v1, vcc_lo, s96, v1, vcc_lo
	global_load_b64 v[0:1], v[0:1], off
	s_waitcnt vmcnt(0)
	v_cvt_f16_f32_e32 v0, v0
	v_cvt_f16_f32_e32 v1, v1
	s_delay_alu instid0(VALU_DEP_1) | instskip(NEXT) | instid1(VALU_DEP_1)
	v_pack_b32_f16 v0, v0, v1
	v_pk_mul_f16 v0, v216, v0
	ds_store_b32 v180, v0 offset:128
.LBB19_51:                              ;   in Loop: Header=BB19_12 Depth=1
	s_or_b32 exec_lo, exec_lo, s3
	v_add_nc_u32_e32 v0, s65, v217
	s_delay_alu instid0(VALU_DEP_1) | instskip(SKIP_1) | instid1(SALU_CYCLE_1)
	v_cmp_le_i32_e32 vcc_lo, s28, v0
	s_or_b32 s3, vcc_lo, s4
	s_and_saveexec_b32 s5, s3
	s_delay_alu instid0(SALU_CYCLE_1)
	s_xor_b32 s3, exec_lo, s5
	s_cbranch_execz .LBB19_53
; %bb.52:                               ;   in Loop: Header=BB19_12 Depth=1
	ds_store_b32 v180, v174 offset:2048
                                        ; implicit-def: $vgpr0
.LBB19_53:                              ;   in Loop: Header=BB19_12 Depth=1
	s_and_not1_saveexec_b32 s3, s3
	s_cbranch_execz .LBB19_55
; %bb.54:                               ;   in Loop: Header=BB19_12 Depth=1
	v_mad_u64_u32 v[1:2], null, v0, s69, v[63:64]
	s_delay_alu instid0(VALU_DEP_1) | instskip(NEXT) | instid1(VALU_DEP_1)
	v_ashrrev_i32_e32 v2, 31, v1
	v_lshlrev_b64 v[0:1], 3, v[1:2]
	s_delay_alu instid0(VALU_DEP_1) | instskip(NEXT) | instid1(VALU_DEP_2)
	v_add_co_u32 v0, vcc_lo, s19, v0
	v_add_co_ci_u32_e32 v1, vcc_lo, s96, v1, vcc_lo
	global_load_b64 v[0:1], v[0:1], off
	s_waitcnt vmcnt(0)
	v_cvt_f16_f32_e32 v0, v0
	v_cvt_f16_f32_e32 v1, v1
	s_delay_alu instid0(VALU_DEP_1) | instskip(NEXT) | instid1(VALU_DEP_1)
	v_pack_b32_f16 v0, v0, v1
	v_pk_mul_f16 v0, v216, v0
	ds_store_b32 v180, v0 offset:2048
.LBB19_55:                              ;   in Loop: Header=BB19_12 Depth=1
	s_or_b32 exec_lo, exec_lo, s3
	v_add_nc_u32_e32 v0, s65, v227
	s_delay_alu instid0(VALU_DEP_1) | instskip(SKIP_1) | instid1(SALU_CYCLE_1)
	v_cmp_le_i32_e32 vcc_lo, s28, v0
	s_or_b32 s3, vcc_lo, s4
	s_and_saveexec_b32 s5, s3
	s_delay_alu instid0(SALU_CYCLE_1)
	;; [unrolled: 32-line block ×3, first 2 shown]
	s_xor_b32 s3, exec_lo, s4
	s_cbranch_execz .LBB19_61
; %bb.60:                               ;   in Loop: Header=BB19_12 Depth=1
	ds_store_b32 v180, v174 offset:5888
                                        ; implicit-def: $vgpr0
.LBB19_61:                              ;   in Loop: Header=BB19_12 Depth=1
	s_and_not1_saveexec_b32 s3, s3
	s_cbranch_execz .LBB19_63
; %bb.62:                               ;   in Loop: Header=BB19_12 Depth=1
	v_mad_u64_u32 v[1:2], null, v0, s69, v[63:64]
	s_delay_alu instid0(VALU_DEP_1) | instskip(NEXT) | instid1(VALU_DEP_1)
	v_ashrrev_i32_e32 v2, 31, v1
	v_lshlrev_b64 v[0:1], 3, v[1:2]
	s_delay_alu instid0(VALU_DEP_1) | instskip(NEXT) | instid1(VALU_DEP_2)
	v_add_co_u32 v0, vcc_lo, s19, v0
	v_add_co_ci_u32_e32 v1, vcc_lo, s96, v1, vcc_lo
	global_load_b64 v[0:1], v[0:1], off
	s_waitcnt vmcnt(0)
	v_cvt_f16_f32_e32 v0, v0
	v_cvt_f16_f32_e32 v1, v1
	s_delay_alu instid0(VALU_DEP_1) | instskip(NEXT) | instid1(VALU_DEP_1)
	v_pack_b32_f16 v0, v0, v1
	v_pk_mul_f16 v0, v216, v0
	ds_store_b32 v180, v0 offset:5888
.LBB19_63:                              ;   in Loop: Header=BB19_12 Depth=1
	s_or_b32 exec_lo, exec_lo, s3
	scratch_load_b64 v[0:1], off, off offset:340 ; 8-byte Folded Reload
	s_waitcnt vmcnt(0)
	v_or_b32_e32 v1, s103, v0
	v_add_nc_u32_e32 v0, s65, v186
	s_delay_alu instid0(VALU_DEP_2) | instskip(NEXT) | instid1(VALU_DEP_2)
	v_cmp_gt_i32_e64 s3, s84, v1
	v_cmp_le_i32_e32 vcc_lo, s28, v0
	s_delay_alu instid0(VALU_DEP_2) | instskip(NEXT) | instid1(SALU_CYCLE_1)
	s_xor_b32 s4, s3, -1
	s_or_b32 s5, vcc_lo, s4
	s_delay_alu instid0(SALU_CYCLE_1) | instskip(NEXT) | instid1(SALU_CYCLE_1)
	s_and_saveexec_b32 s6, s5
	s_xor_b32 s5, exec_lo, s6
	s_cbranch_execz .LBB19_65
; %bb.64:                               ;   in Loop: Header=BB19_12 Depth=1
	ds_store_b32 v189, v174 offset:192
                                        ; implicit-def: $vgpr0
.LBB19_65:                              ;   in Loop: Header=BB19_12 Depth=1
	s_and_not1_saveexec_b32 s5, s5
	s_cbranch_execz .LBB19_67
; %bb.66:                               ;   in Loop: Header=BB19_12 Depth=1
	scratch_load_b64 v[3:4], off, off offset:380 ; 8-byte Folded Reload
	s_waitcnt vmcnt(0)
	v_mad_u64_u32 v[1:2], null, v0, s69, v[3:4]
	s_delay_alu instid0(VALU_DEP_1) | instskip(NEXT) | instid1(VALU_DEP_1)
	v_ashrrev_i32_e32 v2, 31, v1
	v_lshlrev_b64 v[0:1], 3, v[1:2]
	s_delay_alu instid0(VALU_DEP_1) | instskip(NEXT) | instid1(VALU_DEP_2)
	v_add_co_u32 v0, vcc_lo, s19, v0
	v_add_co_ci_u32_e32 v1, vcc_lo, s96, v1, vcc_lo
	global_load_b64 v[0:1], v[0:1], off
	s_waitcnt vmcnt(0)
	v_cvt_f16_f32_e32 v0, v0
	v_cvt_f16_f32_e32 v1, v1
	s_delay_alu instid0(VALU_DEP_1) | instskip(NEXT) | instid1(VALU_DEP_1)
	v_pack_b32_f16 v0, v0, v1
	v_pk_mul_f16 v0, v216, v0
	ds_store_b32 v189, v0 offset:192
.LBB19_67:                              ;   in Loop: Header=BB19_12 Depth=1
	s_or_b32 exec_lo, exec_lo, s5
	scratch_load_b32 v0, off, off offset:376 ; 4-byte Folded Reload
	s_waitcnt vmcnt(0)
	v_add_nc_u32_e32 v0, s65, v0
	s_delay_alu instid0(VALU_DEP_1) | instskip(SKIP_1) | instid1(SALU_CYCLE_1)
	v_cmp_le_i32_e32 vcc_lo, s28, v0
	s_or_b32 s4, vcc_lo, s4
	s_and_saveexec_b32 s5, s4
	s_delay_alu instid0(SALU_CYCLE_1)
	s_xor_b32 s4, exec_lo, s5
	s_cbranch_execz .LBB19_69
; %bb.68:                               ;   in Loop: Header=BB19_12 Depth=1
	ds_store_b32 v189, v174 offset:4032
                                        ; implicit-def: $vgpr0
.LBB19_69:                              ;   in Loop: Header=BB19_12 Depth=1
	s_and_not1_saveexec_b32 s4, s4
	s_cbranch_execz .LBB19_71
; %bb.70:                               ;   in Loop: Header=BB19_12 Depth=1
	scratch_load_b64 v[3:4], off, off offset:380 ; 8-byte Folded Reload
	s_waitcnt vmcnt(0)
	v_mad_u64_u32 v[1:2], null, v0, s69, v[3:4]
	s_delay_alu instid0(VALU_DEP_1) | instskip(NEXT) | instid1(VALU_DEP_1)
	v_ashrrev_i32_e32 v2, 31, v1
	v_lshlrev_b64 v[0:1], 3, v[1:2]
	s_delay_alu instid0(VALU_DEP_1) | instskip(NEXT) | instid1(VALU_DEP_2)
	v_add_co_u32 v0, vcc_lo, s19, v0
	v_add_co_ci_u32_e32 v1, vcc_lo, s96, v1, vcc_lo
	global_load_b64 v[0:1], v[0:1], off
	s_waitcnt vmcnt(0)
	v_cvt_f16_f32_e32 v0, v0
	v_cvt_f16_f32_e32 v1, v1
	s_delay_alu instid0(VALU_DEP_1) | instskip(NEXT) | instid1(VALU_DEP_1)
	v_pack_b32_f16 v0, v0, v1
	v_pk_mul_f16 v0, v216, v0
	ds_store_b32 v189, v0 offset:4032
.LBB19_71:                              ;   in Loop: Header=BB19_12 Depth=1
	s_or_b32 exec_lo, exec_lo, s4
	s_clause 0x1
	scratch_load_b32 v0, off, off offset:388
	scratch_load_b32 v1, off, off offset:372
	s_waitcnt vmcnt(0) lgkmcnt(0)
	s_waitcnt_vscnt null, 0x0
	s_barrier
	buffer_gl0_inv
	v_add_nc_u32_e32 v112, s65, v214
	v_add_nc_u32_e32 v113, s65, v116
	s_add_i32 s86, s9, -1
	s_delay_alu instid0(SALU_CYCLE_1) | instskip(NEXT) | instid1(VALU_DEP_2)
	s_cmp_gt_i32 s86, s33
	v_mul_hi_u32 v115, s56, v112
	s_delay_alu instid0(VALU_DEP_2)
	v_mul_hi_u32 v114, s56, v113
	v_add_nc_u32_e32 v0, v1, v0
	ds_load_b128 v[96:99], v0
	ds_load_b128 v[100:103], v0 offset:16
	ds_load_b128 v[152:155], v0 offset:32
	;; [unrolled: 1-line block ×13, first 2 shown]
	s_waitcnt lgkmcnt(0)
	s_barrier
	buffer_gl0_inv
	scratch_store_b32 off, v10, off offset:360 ; 4-byte Folded Spill
	s_cbranch_scc1 .LBB19_74
; %bb.72:                               ;   in Loop: Header=BB19_12 Depth=1
	v_add_nc_u32_e32 v0, v112, v115
	v_dual_mov_b32 v120, 32 :: v_dual_add_nc_u32 v1, v113, v114
	s_mov_b32 s4, 0
	s_mov_b32 s5, 0xfeffffff
	s_delay_alu instid0(VALU_DEP_2) | instskip(NEXT) | instid1(VALU_DEP_2)
	v_lshrrev_b32_e32 v0, s57, v0
	v_lshrrev_b32_e32 v1, s57, v1
	s_mov_b32 s6, 0
	s_delay_alu instid0(VALU_DEP_2) | instskip(NEXT) | instid1(VALU_DEP_2)
	v_mul_lo_u32 v0, v0, s28
	v_mul_lo_u32 v1, v1, s28
	s_delay_alu instid0(VALU_DEP_2) | instskip(NEXT) | instid1(VALU_DEP_2)
	v_sub_nc_u32_e32 v0, v112, v0
	v_sub_nc_u32_e32 v1, v113, v1
	s_delay_alu instid0(VALU_DEP_2)
	v_mad_i64_i32 v[64:65], null, v0, s58, 0
	scratch_load_b32 v0, off, off offset:336 ; 4-byte Folded Reload
	v_mad_i64_i32 v[54:55], null, v1, s58, 0
	s_waitcnt vmcnt(0)
	v_xor_b32_e32 v119, 16, v0
	s_branch .LBB19_75
.LBB19_73:                              ;   in Loop: Header=BB19_12 Depth=1
	s_cbranch_execz .LBB19_11
	s_branch .LBB19_222
.LBB19_74:                              ;   in Loop: Header=BB19_12 Depth=1
	s_mov_b32 s4, -1
                                        ; implicit-def: $sgpr6
                                        ; implicit-def: $sgpr5
                                        ; implicit-def: $vgpr64_vgpr65
                                        ; implicit-def: $vgpr54_vgpr55
                                        ; implicit-def: $vgpr119
                                        ; implicit-def: $vgpr120
.LBB19_75:                              ;   in Loop: Header=BB19_12 Depth=1
	v_dual_mov_b32 v7, s6 :: v_dual_mov_b32 v6, s6
	v_dual_mov_b32 v237, s5 :: v_dual_mov_b32 v4, s6
	;; [unrolled: 1-line block ×29, first 2 shown]
	s_and_not1_b32 vcc_lo, exec_lo, s4
	s_cbranch_vccnz .LBB19_79
; %bb.76:                               ;   in Loop: Header=BB19_12 Depth=1
	s_clause 0x2
	scratch_load_b32 v3, off, off offset:336
	scratch_load_b32 v2, off, off offset:348
	;; [unrolled: 1-line block ×3, first 2 shown]
	v_dual_mov_b32 v237, 0xfeffffff :: v_dual_add_nc_u32 v0, v112, v115
	v_dual_mov_b32 v224, 0 :: v_dual_add_nc_u32 v1, v113, v114
	v_mov_b32_e32 v8, 0
	s_delay_alu instid0(VALU_DEP_3) | instskip(SKIP_1) | instid1(VALU_DEP_4)
	v_lshrrev_b32_e32 v0, s57, v0
	v_mov_b32_e32 v16, 0
	v_lshrrev_b32_e32 v1, s57, v1
	v_mov_b32_e32 v11, v224
	v_dual_mov_b32 v12, v224 :: v_dual_mov_b32 v235, v221
	v_mul_lo_u32 v0, v0, s28
	s_delay_alu instid0(VALU_DEP_4)
	v_mul_lo_u32 v1, v1, s28
	v_dual_mov_b32 v14, v224 :: v_dual_add_nc_u32 v169, 0xa0, v249
	v_mov_b32_e32 v15, v224
	v_dual_mov_b32 v17, v224 :: v_dual_mov_b32 v24, 0
	v_mov_b32_e32 v18, v224
	v_sub_nc_u32_e32 v49, v112, v0
	v_sub_nc_u32_e32 v50, v113, v1
	v_dual_mov_b32 v19, v224 :: v_dual_mov_b32 v32, 0
	v_mov_b32_e32 v20, v224
	s_delay_alu instid0(VALU_DEP_4) | instskip(NEXT) | instid1(VALU_DEP_4)
	v_mad_i64_i32 v[64:65], null, v49, s58, 0
	v_mad_i64_i32 v[54:55], null, v50, s58, 0
	v_dual_mov_b32 v21, v224 :: v_dual_mov_b32 v40, 0
	v_mov_b32_e32 v22, v224
	v_dual_mov_b32 v23, v224 :: v_dual_mov_b32 v56, 0
	v_dual_mov_b32 v25, v224 :: v_dual_mov_b32 v0, 0
	v_mov_b32_e32 v26, v224
	v_dual_mov_b32 v27, v224 :: v_dual_mov_b32 v202, v215
	v_mov_b32_e32 v28, v224
	v_mov_b32_e32 v29, v224
	;; [unrolled: 1-line block ×31, first 2 shown]
	v_add_nc_u32_e32 v168, 0x80, v249
	s_lshl_b32 s10, s33, 6
	v_mov_b32_e32 v9, v224
	v_mov_b32_e32 v13, v224
	scratch_store_b32 off, v239, off offset:476 ; 4-byte Folded Spill
	s_waitcnt vmcnt(2)
	v_xor_b32_e32 v4, 16, v3
	s_waitcnt vmcnt(1)
	v_lshlrev_b32_e32 v48, 1, v2
	s_delay_alu instid0(VALU_DEP_2) | instskip(SKIP_1) | instid1(VALU_DEP_3)
	v_cmp_gt_i32_e32 vcc_lo, 32, v4
	v_cndmask_b32_e32 v2, v3, v4, vcc_lo
	v_add_co_u32 v48, vcc_lo, v118, v48
	v_mov_b32_e32 v10, v224
	v_mov_b32_e32 v3, v224
	s_delay_alu instid0(VALU_DEP_4)
	v_dual_mov_b32 v2, v224 :: v_dual_lshlrev_b32 v205, 2, v2
	s_clause 0x1
	scratch_store_b32 off, v48, off offset:316
	scratch_store_b32 off, v4, off offset:484
	v_mov_b32_e32 v4, v224
	v_add_co_ci_u32_e32 v48, vcc_lo, 0, v239, vcc_lo
	s_clause 0x4
	scratch_store_b32 off, v118, off offset:480
	scratch_store_b32 off, v48, off offset:320
	scratch_store_b128 off, v[126:129], off offset:236
	scratch_store_b128 off, v[130:133], off offset:252
	scratch_store_b64 off, v[54:55], off offset:308
.LBB19_77:                              ;   Parent Loop BB19_12 Depth=1
                                        ; =>  This Inner Loop Header: Depth=2
	scratch_load_b32 v48, off, off offset:316 ; 4-byte Folded Reload
	s_ashr_i32 s11, s10, 31
	v_lshlrev_b64 v[50:51], 1, v[54:55]
	s_lshl_b64 s[4:5], s[10:11], 1
	v_mov_b32_e32 v226, v65
	v_cmp_eq_u32_e64 s6, 0, v234
	v_mov_b32_e32 v225, v64
	v_mov_b32_e32 v135, s27
	v_dual_mov_b32 v133, s25 :: v_dual_mov_b32 v134, s26
	v_dual_mov_b32 v129, s21 :: v_dual_mov_b32 v132, s24
	v_mov_b32_e32 v130, s22
	v_dual_mov_b32 v128, s20 :: v_dual_mov_b32 v131, s23
	v_mov_b32_e32 v201, v199
	v_mov_b32_e32 v221, v198
	;; [unrolled: 1-line block ×5, first 2 shown]
	s_waitcnt vmcnt(0)
	v_add_co_u32 v52, vcc_lo, v48, s4
	scratch_load_b32 v48, off, off offset:320 ; 4-byte Folded Reload
	s_mul_i32 s4, s10, s34
	s_waitcnt vmcnt(0)
	v_add_co_ci_u32_e32 v53, vcc_lo, s5, v48, vcc_lo
	v_lshlrev_b64 v[48:49], 1, v[64:65]
	s_mul_hi_i32 s5, s10, s34
	s_delay_alu instid0(SALU_CYCLE_1) | instskip(NEXT) | instid1(SALU_CYCLE_1)
	s_lshl_b64 s[4:5], s[4:5], 2
	s_add_u32 s4, s70, s4
	s_delay_alu instid0(VALU_DEP_1) | instskip(NEXT) | instid1(VALU_DEP_2)
	v_add_co_u32 v48, vcc_lo, v52, v48
	v_add_co_ci_u32_e32 v49, vcc_lo, v53, v49, vcc_lo
	v_add_co_u32 v50, vcc_lo, v52, v50
	v_add_co_ci_u32_e32 v51, vcc_lo, v53, v51, vcc_lo
	s_clause 0x1
	global_load_b32 v48, v[48:49], off
	global_load_b32 v49, v[50:51], off
	v_add_nc_u32_e32 v50, v209, v178
	scratch_load_b32 v76, off, off offset:268 ; 4-byte Folded Reload
	s_addc_u32 s5, s73, s5
	v_add_nc_u32_e32 v50, 0x3c00, v50
	s_waitcnt vmcnt(1)
	ds_store_2addr_b32 v50, v48, v49 offset1:144
	scratch_load_b64 v[50:51], off, off offset:288 ; 8-byte Folded Reload
	v_add_co_u32 v48, vcc_lo, s4, v172
	v_add_co_ci_u32_e32 v49, vcc_lo, s5, v173, vcc_lo
	s_waitcnt vmcnt(1)
	s_delay_alu instid0(VALU_DEP_2) | instskip(NEXT) | instid1(VALU_DEP_2)
	v_add_co_u32 v48, vcc_lo, v48, v76
	v_add_co_ci_u32_e32 v49, vcc_lo, 0, v49, vcc_lo
	s_waitcnt vmcnt(0)
	v_add_co_u32 v50, vcc_lo, s4, v50
	v_add_co_ci_u32_e32 v51, vcc_lo, s5, v51, vcc_lo
	s_delay_alu instid0(VALU_DEP_2) | instskip(NEXT) | instid1(VALU_DEP_2)
	v_add_co_u32 v52, vcc_lo, v50, v254
	v_add_co_ci_u32_e32 v53, vcc_lo, 0, v51, vcc_lo
	s_clause 0x1
	global_load_b128 v[48:51], v[48:49], off offset:192
	global_load_b128 v[52:55], v[52:53], off offset:128
	scratch_load_b32 v79, off, off offset:304 ; 4-byte Folded Reload
	s_waitcnt vmcnt(0)
	ds_store_b128 v79, v[48:51]
	s_clause 0x1
	scratch_load_b64 v[48:49], off, off offset:280
	scratch_load_b64 v[50:51], off, off offset:272
	s_waitcnt vmcnt(1)
	v_add_co_u32 v48, vcc_lo, s4, v48
	v_add_co_ci_u32_e32 v49, vcc_lo, s5, v49, vcc_lo
	s_delay_alu instid0(VALU_DEP_2) | instskip(NEXT) | instid1(VALU_DEP_2)
	v_add_co_u32 v48, vcc_lo, v48, v254
	v_add_co_ci_u32_e32 v49, vcc_lo, 0, v49, vcc_lo
	s_waitcnt vmcnt(0)
	v_add_co_u32 v50, vcc_lo, s4, v50
	v_add_co_ci_u32_e32 v51, vcc_lo, s5, v51, vcc_lo
	s_delay_alu instid0(VALU_DEP_2) | instskip(NEXT) | instid1(VALU_DEP_2)
	v_add_co_u32 v64, vcc_lo, v50, v202
	v_add_co_ci_u32_e32 v65, vcc_lo, 0, v51, vcc_lo
	s_clause 0x1
	global_load_b128 v[48:51], v[48:49], off offset:128
	global_load_b128 v[64:67], v[64:65], off
	scratch_load_b32 v77, off, off offset:296 ; 4-byte Folded Reload
	s_waitcnt vmcnt(0)
	ds_store_b128 v77, v[52:55]
	ds_store_b128 v208, v[48:51]
	v_add_co_u32 v48, vcc_lo, s4, v138
	v_add_co_ci_u32_e32 v49, vcc_lo, s5, v139, vcc_lo
	s_delay_alu instid0(VALU_DEP_2) | instskip(NEXT) | instid1(VALU_DEP_2)
	v_add_co_u32 v48, vcc_lo, v48, v202
	v_add_co_ci_u32_e32 v49, vcc_lo, 0, v49, vcc_lo
	v_add_co_u32 v50, vcc_lo, s4, v140
	v_add_co_ci_u32_e32 v51, vcc_lo, s5, v141, vcc_lo
	s_delay_alu instid0(VALU_DEP_2) | instskip(NEXT) | instid1(VALU_DEP_2)
	v_add_co_u32 v52, vcc_lo, v50, v202
	v_add_co_ci_u32_e32 v53, vcc_lo, 0, v51, vcc_lo
	s_clause 0x1
	global_load_b128 v[48:51], v[48:49], off
	global_load_b128 v[52:55], v[52:53], off
	s_clause 0x1
	scratch_load_b32 v78, off, off offset:300
	scratch_load_b32 v81, off, off offset:84
	s_waitcnt vmcnt(1)
	ds_store_b128 v78, v[64:67]
	s_waitcnt vmcnt(0)
	ds_store_b128 v81, v[48:51]
	v_add_co_u32 v48, vcc_lo, s4, v124
	v_add_co_ci_u32_e32 v49, vcc_lo, s5, v125, vcc_lo
	s_mul_hi_i32 s5, s10, s30
	s_delay_alu instid0(VALU_DEP_2) | instskip(NEXT) | instid1(VALU_DEP_2)
	v_add_co_u32 v48, vcc_lo, v48, v202
	v_add_co_ci_u32_e32 v49, vcc_lo, 0, v49, vcc_lo
	s_mul_i32 s4, s10, s30
	s_delay_alu instid0(SALU_CYCLE_1)
	s_lshl_b64 s[4:5], s[4:5], 2
	global_load_b128 v[48:51], v[48:49], off
	ds_store_b128 v204, v[52:55]
	s_waitcnt vmcnt(0)
	ds_store_b128 v228, v[48:51]
	v_add_nc_u32_e32 v48, v199, v207
	s_waitcnt lgkmcnt(0)
	s_waitcnt_vscnt null, 0x0
	s_barrier
	buffer_gl0_inv
	ds_load_b128 v[112:115], v48
	ds_load_b128 v[116:119], v48 offset:16
	ds_load_b128 v[120:123], v48 offset:7680
	;; [unrolled: 1-line block ×3, first 2 shown]
	s_add_u32 s4, s104, s4
	s_addc_u32 s5, vcc_hi, s5
	s_add_i32 s33, s33, 1
	s_add_i32 s10, s10, 64
	s_cmp_lt_i32 s33, s86
	s_waitcnt lgkmcnt(2)
	v_wmma_f32_16x16x16_f16 v[136:143], v[112:119], v[96:103], v[128:135]
	ds_load_b128 v[112:115], v48 offset:32
	ds_load_b128 v[116:119], v48 offset:48
	s_waitcnt lgkmcnt(2)
	v_wmma_f32_16x16x16_f16 v[144:151], v[120:127], v[96:103], v[128:135]
	s_waitcnt lgkmcnt(0)
	v_wmma_f32_16x16x16_f16 v[136:143], v[112:119], v[152:159], v[136:143]
	ds_load_b128 v[112:115], v48 offset:7712
	ds_load_b128 v[116:119], v48 offset:7728
	s_waitcnt lgkmcnt(0)
	v_wmma_f32_16x16x16_f16 v[144:151], v[112:119], v[152:159], v[144:151]
	ds_load_b128 v[112:115], v48 offset:64
	ds_load_b128 v[116:119], v48 offset:80
	s_clause 0x1
	scratch_load_b128 v[64:67], off, off offset:236
	scratch_load_b128 v[68:71], off, off offset:252
	s_waitcnt vmcnt(0) lgkmcnt(0)
	v_wmma_f32_16x16x16_f16 v[136:143], v[112:119], v[64:71], v[136:143]
	ds_load_b128 v[112:115], v48 offset:7744
	ds_load_b128 v[116:119], v48 offset:7760
	s_waitcnt lgkmcnt(0)
	v_wmma_f32_16x16x16_f16 v[144:151], v[112:119], v[64:71], v[144:151]
	ds_load_b128 v[112:115], v48 offset:96
	ds_load_b128 v[116:119], v48 offset:112
	s_waitcnt lgkmcnt(0)
	;; [unrolled: 4-line block ×9, first 2 shown]
	s_barrier
	buffer_gl0_inv
	ds_load_u16 v48, v248 offset:15360
	ds_load_u16 v49, v248 offset:15364
	;; [unrolled: 1-line block ×8, first 2 shown]
	s_waitcnt lgkmcnt(7)
	v_cvt_f32_f16_e32 v48, v48
	s_waitcnt lgkmcnt(6)
	v_cvt_f32_f16_e32 v49, v49
	;; [unrolled: 2-line block ×8, first 2 shown]
	v_wmma_f32_16x16x16_f16 v[144:151], v[112:119], v[160:167], v[144:151]
	v_dual_add_f32 v68, v136, v48 :: v_dual_add_f32 v69, v137, v49
	v_dual_add_f32 v70, v138, v50 :: v_dual_add_f32 v71, v139, v51
	;; [unrolled: 1-line block ×4, first 2 shown]
	ds_load_u16 v48, v223 offset:64
	ds_load_u16 v49, v223 offset:68
	ds_load_u16 v50, v223 offset:72
	ds_load_u16 v51, v223 offset:76
	ds_load_u16 v52, v223 offset:80
	ds_load_u16 v53, v223 offset:84
	ds_load_u16 v54, v223 offset:88
	ds_load_u16 v55, v223 offset:92
	s_waitcnt lgkmcnt(7)
	v_cvt_f32_f16_e32 v48, v48
	s_waitcnt lgkmcnt(6)
	v_cvt_f32_f16_e32 v49, v49
	s_waitcnt lgkmcnt(5)
	v_cvt_f32_f16_e32 v50, v50
	s_waitcnt lgkmcnt(4)
	v_cvt_f32_f16_e32 v51, v51
	s_waitcnt lgkmcnt(3)
	v_cvt_f32_f16_e32 v52, v52
	v_add_f32_e32 v80, v144, v48
	v_add_co_u32 v48, vcc_lo, s4, v210
	v_add_f32_e32 v75, v145, v49
	v_add_co_ci_u32_e32 v49, vcc_lo, s5, v211, vcc_lo
	s_delay_alu instid0(VALU_DEP_3) | instskip(SKIP_2) | instid1(VALU_DEP_3)
	v_add_co_u32 v48, vcc_lo, v48, v76
	s_waitcnt lgkmcnt(2)
	v_cvt_f32_f16_e32 v53, v53
	v_add_co_ci_u32_e32 v49, vcc_lo, 0, v49, vcc_lo
	s_waitcnt lgkmcnt(1)
	v_cvt_f32_f16_e32 v54, v54
	s_waitcnt lgkmcnt(0)
	v_cvt_f32_f16_e32 v55, v55
	v_add_f32_e32 v236, v146, v50
	v_add_co_u32 v50, vcc_lo, s4, v212
	v_add_f32_e32 v206, v147, v51
	v_add_co_ci_u32_e32 v51, vcc_lo, s5, v213, vcc_lo
	v_dual_add_f32 v227, v148, v52 :: v_dual_add_f32 v84, v149, v53
	v_dual_add_f32 v83, v150, v54 :: v_dual_add_f32 v82, v151, v55
	v_add_co_u32 v52, vcc_lo, v50, v254
	s_delay_alu instid0(VALU_DEP_4)
	v_add_co_ci_u32_e32 v53, vcc_lo, 0, v51, vcc_lo
	s_clause 0x2
	scratch_store_b32 off, v84, off offset:8
	scratch_store_b32 off, v83, off offset:4
	scratch_store_b32 off, v82, off
	s_clause 0x1
	global_load_b128 v[48:51], v[48:49], off offset:192
	global_load_b128 v[52:55], v[52:53], off offset:128
	s_waitcnt vmcnt(1)
	ds_store_b128 v79, v[48:51]
	v_add_co_u32 v48, vcc_lo, s4, v170
	v_add_co_ci_u32_e32 v49, vcc_lo, s5, v171, vcc_lo
	s_delay_alu instid0(VALU_DEP_2) | instskip(NEXT) | instid1(VALU_DEP_2)
	v_add_co_u32 v48, vcc_lo, v48, v254
	v_add_co_ci_u32_e32 v49, vcc_lo, 0, v49, vcc_lo
	v_add_co_u32 v50, vcc_lo, s4, v181
	v_add_co_ci_u32_e32 v51, vcc_lo, s5, v182, vcc_lo
	v_mov_b32_e32 v183, v111
	s_delay_alu instid0(VALU_DEP_3) | instskip(NEXT) | instid1(VALU_DEP_3)
	v_add_co_u32 v64, vcc_lo, v50, v202
	v_add_co_ci_u32_e32 v65, vcc_lo, 0, v51, vcc_lo
	s_clause 0x1
	global_load_b128 v[48:51], v[48:49], off offset:128
	global_load_b128 v[64:67], v[64:65], off
	s_waitcnt vmcnt(2)
	ds_store_b128 v77, v[52:55]
	s_waitcnt vmcnt(1)
	ds_store_b128 v208, v[48:51]
	scratch_load_b64 v[50:51], off, off offset:116 ; 8-byte Folded Reload
	v_add_co_u32 v48, vcc_lo, s4, v229
	v_add_co_ci_u32_e32 v49, vcc_lo, s5, v230, vcc_lo
	v_mov_b32_e32 v181, v109
	s_delay_alu instid0(VALU_DEP_3) | instskip(NEXT) | instid1(VALU_DEP_3)
	v_add_co_u32 v48, vcc_lo, v48, v202
	v_add_co_ci_u32_e32 v49, vcc_lo, 0, v49, vcc_lo
	v_mov_b32_e32 v179, v107
	v_dual_mov_b32 v177, v105 :: v_dual_mov_b32 v182, v110
	v_mov_b32_e32 v180, v108
	v_mov_b32_e32 v178, v106
	v_dual_mov_b32 v176, v104 :: v_dual_mov_b32 v111, v103
	v_mov_b32_e32 v109, v101
	v_mov_b32_e32 v107, v99
	v_dual_mov_b32 v105, v97 :: v_dual_mov_b32 v110, v102
	v_mov_b32_e32 v108, v100
	v_mov_b32_e32 v106, v98
	v_dual_mov_b32 v104, v96 :: v_dual_mov_b32 v103, v95
	v_mov_b32_e32 v102, v94
	v_mov_b32_e32 v100, v92
	v_mov_b32_e32 v98, v90
	v_dual_mov_b32 v96, v88 :: v_dual_mov_b32 v101, v93
	v_mov_b32_e32 v99, v91
	v_dual_mov_b32 v97, v89 :: v_dual_mov_b32 v88, v152
	v_dual_mov_b32 v89, v153 :: v_dual_mov_b32 v90, v154
	v_mov_b32_e32 v91, v155
	v_mov_b32_e32 v93, v157
	;; [unrolled: 1-line block ×3, first 2 shown]
	s_waitcnt vmcnt(0)
	v_add_co_u32 v50, vcc_lo, s4, v50
	v_add_co_ci_u32_e32 v51, vcc_lo, s5, v51, vcc_lo
	s_delay_alu instid0(VALU_DEP_2) | instskip(NEXT) | instid1(VALU_DEP_2)
	v_add_co_u32 v52, vcc_lo, v50, v202
	v_add_co_ci_u32_e32 v53, vcc_lo, 0, v51, vcc_lo
	s_clause 0x1
	global_load_b128 v[48:51], v[48:49], off
	global_load_b128 v[52:55], v[52:53], off
	ds_store_b128 v78, v[64:67]
	s_waitcnt vmcnt(1)
	ds_store_b128 v81, v[48:51]
	scratch_load_b64 v[48:49], off, off offset:148 ; 8-byte Folded Reload
	s_waitcnt vmcnt(0)
	v_add_co_u32 v48, vcc_lo, s4, v48
	v_add_co_ci_u32_e32 v49, vcc_lo, s5, v49, vcc_lo
	v_cmp_eq_u32_e64 s5, 1, v234
	s_delay_alu instid0(VALU_DEP_3) | instskip(NEXT) | instid1(VALU_DEP_3)
	v_add_co_u32 v48, vcc_lo, v48, v202
	v_add_co_ci_u32_e32 v49, vcc_lo, 0, v49, vcc_lo
	global_load_b128 v[48:51], v[48:49], off
	ds_store_b128 v204, v[52:55]
	s_waitcnt vmcnt(0)
	ds_store_b128 v228, v[48:51]
	v_dual_mov_b32 v48, v237 :: v_dual_add_f32 v49, 0x40051340, v68
	v_dual_add_f32 v50, 0x40051340, v69 :: v_dual_add_f32 v51, 0x40051340, v71
	s_delay_alu instid0(VALU_DEP_1) | instskip(SKIP_1) | instid1(VALU_DEP_1)
	v_max3_f32 v49, v48, v49, v50
	v_add_f32_e32 v50, 0x40051340, v70
	v_max3_f32 v49, v49, v50, v51
	v_dual_add_f32 v50, 0x40051340, v72 :: v_dual_add_f32 v51, 0x40051340, v73
	s_delay_alu instid0(VALU_DEP_1) | instskip(SKIP_1) | instid1(VALU_DEP_1)
	v_max3_f32 v49, v49, v50, v51
	v_dual_add_f32 v50, 0x40051340, v74 :: v_dual_add_f32 v51, 0x40051340, v119
	v_max3_f32 v49, v49, v50, v51
	v_dual_add_f32 v50, 0x40051340, v80 :: v_dual_add_f32 v51, 0x40051340, v75
	s_delay_alu instid0(VALU_DEP_1) | instskip(SKIP_1) | instid1(VALU_DEP_1)
	v_max3_f32 v49, v49, v50, v51
	v_dual_add_f32 v50, 0x40051340, v236 :: v_dual_add_f32 v51, 0x40051340, v206
	;; [unrolled: 5-line block ×3, first 2 shown]
	v_max3_f32 v49, v49, v50, v51
	ds_bpermute_b32 v50, v205, v49
	s_waitcnt lgkmcnt(0)
	v_max_f32_e32 v50, v50, v50
	s_delay_alu instid0(VALU_DEP_1) | instskip(NEXT) | instid1(VALU_DEP_1)
	v_max_f32_e32 v237, v49, v50
	v_sub_f32_e32 v49, v69, v237
	s_delay_alu instid0(VALU_DEP_1) | instskip(SKIP_2) | instid1(VALU_DEP_3)
	v_mul_f32_e32 v50, 0x3fb8aa3b, v49
	v_cmp_ngt_f32_e32 vcc_lo, 0xc2ce8ed0, v49
	v_sub_f32_e32 v48, v48, v237
	v_fma_f32 v51, 0x3fb8aa3b, v49, -v50
	v_rndne_f32_e32 v52, v50
	s_delay_alu instid0(VALU_DEP_1) | instskip(SKIP_1) | instid1(VALU_DEP_2)
	v_dual_fmac_f32 v51, 0x32a5705f, v49 :: v_dual_sub_f32 v50, v50, v52
	v_cvt_i32_f32_e32 v52, v52
	v_dual_add_f32 v50, v50, v51 :: v_dual_sub_f32 v51, v68, v237
	s_delay_alu instid0(VALU_DEP_1) | instskip(NEXT) | instid1(VALU_DEP_1)
	v_exp_f32_e32 v50, v50
	v_mul_f32_e32 v53, 0x3fb8aa3b, v51
	v_cmp_ngt_f32_e64 s4, 0xc2ce8ed0, v51
	s_delay_alu instid0(VALU_DEP_2)
	v_fma_f32 v54, 0x3fb8aa3b, v51, -v53
	v_rndne_f32_e32 v55, v53
	s_waitcnt_depctr 0xfff
	v_ldexp_f32 v50, v50, v52
	v_fmac_f32_e32 v54, 0x32a5705f, v51
	v_sub_f32_e32 v53, v53, v55
	v_cvt_i32_f32_e32 v52, v55
	s_delay_alu instid0(VALU_DEP_4) | instskip(SKIP_1) | instid1(VALU_DEP_4)
	v_cndmask_b32_e32 v50, 0, v50, vcc_lo
	v_cmp_nlt_f32_e32 vcc_lo, 0x42b17218, v49
	v_add_f32_e32 v53, v53, v54
	s_delay_alu instid0(VALU_DEP_3)
	v_cndmask_b32_e32 v251, 0x7f800000, v50, vcc_lo
	scratch_load_b32 v50, off, off offset:232 ; 4-byte Folded Reload
	v_exp_f32_e32 v53, v53
	s_waitcnt vmcnt(0)
	s_waitcnt_vscnt null, 0x0
	s_barrier
	buffer_gl0_inv
	ds_load_u16 v126, v249 offset:2880
	ds_load_u16 v127, v249 offset:3360
	;; [unrolled: 1-line block ×23, first 2 shown]
	v_ldexp_f32 v52, v53, v52
	s_delay_alu instid0(VALU_DEP_1)
	v_cndmask_b32_e64 v49, 0, v52, s4
	v_cmp_nlt_f32_e64 s4, 0x42b17218, v51
	ds_bpermute_b32 v51, v205, v251
	v_cndmask_b32_e64 v186, 0x7f800000, v49, s4
	ds_bpermute_b32 v49, v205, v186
	v_cmp_eq_u32_e64 s4, 0, v50
	v_cmp_eq_u32_e32 vcc_lo, 1, v50
	s_waitcnt lgkmcnt(0)
	v_cndmask_b32_e32 v50, v186, v49, vcc_lo
	s_delay_alu instid0(VALU_DEP_3) | instskip(NEXT) | instid1(VALU_DEP_2)
	v_cndmask_b32_e64 v49, v186, v49, s4
	v_cndmask_b32_e64 v53, v50, v251, s5
	s_delay_alu instid0(VALU_DEP_2) | instskip(SKIP_2) | instid1(VALU_DEP_3)
	v_cndmask_b32_e64 v52, v49, v251, s6
	v_cvt_f16_f32_e32 v49, v49
	v_cvt_f16_f32_e32 v50, v50
	v_cndmask_b32_e64 v52, v52, v51, s4
	v_cndmask_b32_e32 v51, v53, v51, vcc_lo
	s_delay_alu instid0(VALU_DEP_3) | instskip(SKIP_1) | instid1(VALU_DEP_4)
	v_pack_b32_f16 v112, v49, v50
	v_sub_f32_e32 v49, v70, v237
	v_cvt_f16_f32_e32 v53, v52
	s_delay_alu instid0(VALU_DEP_4) | instskip(NEXT) | instid1(VALU_DEP_3)
	v_cvt_f16_f32_e32 v54, v51
	v_mul_f32_e32 v50, 0x3fb8aa3b, v49
	v_cmp_ngt_f32_e64 s7, 0xc2ce8ed0, v49
	s_delay_alu instid0(VALU_DEP_3) | instskip(NEXT) | instid1(VALU_DEP_3)
	v_pack_b32_f16 v113, v53, v54
	v_fma_f32 v53, 0x3fb8aa3b, v49, -v50
	v_rndne_f32_e32 v54, v50
	s_delay_alu instid0(VALU_DEP_1) | instskip(NEXT) | instid1(VALU_DEP_1)
	v_dual_fmac_f32 v53, 0x32a5705f, v49 :: v_dual_sub_f32 v50, v50, v54
	v_add_f32_e32 v50, v50, v53
	v_cvt_i32_f32_e32 v53, v54
	s_delay_alu instid0(VALU_DEP_2) | instskip(SKIP_2) | instid1(VALU_DEP_1)
	v_exp_f32_e32 v50, v50
	s_waitcnt_depctr 0xfff
	v_ldexp_f32 v50, v50, v53
	v_cndmask_b32_e64 v50, 0, v50, s7
	v_cmp_nlt_f32_e64 s7, 0x42b17218, v49
	s_delay_alu instid0(VALU_DEP_1) | instskip(NEXT) | instid1(VALU_DEP_1)
	v_cndmask_b32_e64 v199, 0x7f800000, v50, s7
	v_cndmask_b32_e64 v50, v51, v199, s5
	ds_bpermute_b32 v51, v205, v199
	v_cndmask_b32_e64 v49, v52, v199, s6
	s_waitcnt lgkmcnt(0)
	s_delay_alu instid0(VALU_DEP_1) | instskip(SKIP_1) | instid1(VALU_DEP_2)
	v_cndmask_b32_e64 v49, v49, v51, s4
	v_cndmask_b32_e32 v50, v50, v51, vcc_lo
	v_cvt_f16_f32_e32 v51, v49
	s_delay_alu instid0(VALU_DEP_2) | instskip(NEXT) | instid1(VALU_DEP_1)
	v_cvt_f16_f32_e32 v52, v50
	v_pack_b32_f16 v114, v51, v52
	v_sub_f32_e32 v51, v71, v237
	v_add_nc_u32_e32 v71, 0x80, v249
	s_delay_alu instid0(VALU_DEP_2) | instskip(SKIP_1) | instid1(VALU_DEP_2)
	v_mul_f32_e32 v52, 0x3fb8aa3b, v51
	v_cmp_ngt_f32_e64 s7, 0xc2ce8ed0, v51
	v_fma_f32 v53, 0x3fb8aa3b, v51, -v52
	v_rndne_f32_e32 v54, v52
	s_delay_alu instid0(VALU_DEP_1) | instskip(NEXT) | instid1(VALU_DEP_1)
	v_dual_fmac_f32 v53, 0x32a5705f, v51 :: v_dual_sub_f32 v52, v52, v54
	v_add_f32_e32 v52, v52, v53
	v_cvt_i32_f32_e32 v53, v54
	s_delay_alu instid0(VALU_DEP_2) | instskip(SKIP_2) | instid1(VALU_DEP_1)
	v_exp_f32_e32 v52, v52
	s_waitcnt_depctr 0xfff
	v_ldexp_f32 v52, v52, v53
	v_cndmask_b32_e64 v52, 0, v52, s7
	v_cmp_nlt_f32_e64 s7, 0x42b17218, v51
	s_delay_alu instid0(VALU_DEP_1) | instskip(SKIP_4) | instid1(VALU_DEP_2)
	v_cndmask_b32_e64 v238, 0x7f800000, v52, s7
	ds_bpermute_b32 v51, v205, v238
	v_cndmask_b32_e64 v49, v49, v238, s6
	v_cndmask_b32_e64 v50, v50, v238, s5
	s_waitcnt lgkmcnt(0)
	v_cndmask_b32_e64 v49, v49, v51, s4
	s_delay_alu instid0(VALU_DEP_2) | instskip(NEXT) | instid1(VALU_DEP_2)
	v_cndmask_b32_e32 v50, v50, v51, vcc_lo
	v_cvt_f16_f32_e32 v51, v49
	s_delay_alu instid0(VALU_DEP_2) | instskip(NEXT) | instid1(VALU_DEP_1)
	v_cvt_f16_f32_e32 v52, v50
	v_pack_b32_f16 v115, v51, v52
	v_sub_f32_e32 v51, v72, v237
	s_delay_alu instid0(VALU_DEP_1) | instskip(SKIP_1) | instid1(VALU_DEP_2)
	v_mul_f32_e32 v52, 0x3fb8aa3b, v51
	v_cmp_ngt_f32_e64 s7, 0xc2ce8ed0, v51
	v_fma_f32 v53, 0x3fb8aa3b, v51, -v52
	v_rndne_f32_e32 v54, v52
	s_delay_alu instid0(VALU_DEP_1) | instskip(NEXT) | instid1(VALU_DEP_1)
	v_dual_fmac_f32 v53, 0x32a5705f, v51 :: v_dual_sub_f32 v52, v52, v54
	v_add_f32_e32 v52, v52, v53
	v_cvt_i32_f32_e32 v53, v54
	s_delay_alu instid0(VALU_DEP_2) | instskip(SKIP_2) | instid1(VALU_DEP_1)
	v_exp_f32_e32 v52, v52
	s_waitcnt_depctr 0xfff
	v_ldexp_f32 v52, v52, v53
	v_cndmask_b32_e64 v52, 0, v52, s7
	v_cmp_nlt_f32_e64 s7, 0x42b17218, v51
	s_delay_alu instid0(VALU_DEP_1) | instskip(SKIP_4) | instid1(VALU_DEP_2)
	v_cndmask_b32_e64 v247, 0x7f800000, v52, s7
	ds_bpermute_b32 v51, v205, v247
	v_cndmask_b32_e64 v49, v49, v247, s6
	v_cndmask_b32_e64 v50, v50, v247, s5
	s_waitcnt lgkmcnt(0)
	v_cndmask_b32_e64 v49, v49, v51, s4
	s_delay_alu instid0(VALU_DEP_2) | instskip(NEXT) | instid1(VALU_DEP_2)
	v_cndmask_b32_e32 v50, v50, v51, vcc_lo
	v_cvt_f16_f32_e32 v51, v49
	s_delay_alu instid0(VALU_DEP_2) | instskip(NEXT) | instid1(VALU_DEP_1)
	v_cvt_f16_f32_e32 v52, v50
	v_pack_b32_f16 v116, v51, v52
	v_sub_f32_e32 v51, v73, v237
	s_delay_alu instid0(VALU_DEP_1) | instskip(SKIP_1) | instid1(VALU_DEP_2)
	;; [unrolled: 29-line block ×4, first 2 shown]
	v_mul_f32_e32 v52, 0x3fb8aa3b, v51
	v_cmp_ngt_f32_e64 s7, 0xc2ce8ed0, v51
	v_fma_f32 v53, 0x3fb8aa3b, v51, -v52
	v_rndne_f32_e32 v54, v52
	s_delay_alu instid0(VALU_DEP_1) | instskip(NEXT) | instid1(VALU_DEP_1)
	v_dual_fmac_f32 v53, 0x32a5705f, v51 :: v_dual_sub_f32 v52, v52, v54
	v_add_f32_e32 v52, v52, v53
	v_cvt_i32_f32_e32 v53, v54
	s_delay_alu instid0(VALU_DEP_2) | instskip(SKIP_2) | instid1(VALU_DEP_1)
	v_exp_f32_e32 v52, v52
	s_waitcnt_depctr 0xfff
	v_ldexp_f32 v52, v52, v53
	v_cndmask_b32_e64 v52, 0, v52, s7
	v_cmp_nlt_f32_e64 s7, 0x42b17218, v51
	s_delay_alu instid0(VALU_DEP_1)
	v_cndmask_b32_e64 v250, 0x7f800000, v52, s7
	v_cmp_ngt_f32_e64 s7, 0xc2ce8ed0, v48
	ds_bpermute_b32 v51, v205, v250
	v_cndmask_b32_e64 v49, v49, v250, s6
	v_cndmask_b32_e64 v50, v50, v250, s5
	s_waitcnt lgkmcnt(0)
	s_delay_alu instid0(VALU_DEP_2) | instskip(NEXT) | instid1(VALU_DEP_2)
	v_cndmask_b32_e64 v49, v49, v51, s4
	v_cndmask_b32_e32 v50, v50, v51, vcc_lo
	s_delay_alu instid0(VALU_DEP_2) | instskip(NEXT) | instid1(VALU_DEP_2)
	v_cvt_f16_f32_e32 v49, v49
	v_cvt_f16_f32_e32 v50, v50
	s_delay_alu instid0(VALU_DEP_1) | instskip(SKIP_1) | instid1(VALU_DEP_1)
	v_pack_b32_f16 v119, v49, v50
	v_mul_f32_e32 v49, 0x3fb8aa3b, v48
	v_fma_f32 v50, 0x3fb8aa3b, v48, -v49
	v_rndne_f32_e32 v51, v49
	s_delay_alu instid0(VALU_DEP_1) | instskip(NEXT) | instid1(VALU_DEP_1)
	v_dual_fmac_f32 v50, 0x32a5705f, v48 :: v_dual_sub_f32 v49, v49, v51
	v_add_f32_e32 v49, v49, v50
	v_cvt_i32_f32_e32 v50, v51
	s_delay_alu instid0(VALU_DEP_2) | instskip(SKIP_2) | instid1(VALU_DEP_1)
	v_exp_f32_e32 v49, v49
	s_waitcnt_depctr 0xfff
	v_ldexp_f32 v49, v49, v50
	v_cndmask_b32_e64 v49, 0, v49, s7
	v_cmp_nlt_f32_e64 s7, 0x42b17218, v48
	s_delay_alu instid0(VALU_DEP_1) | instskip(SKIP_1) | instid1(VALU_DEP_1)
	v_cndmask_b32_e64 v49, 0x7f800000, v49, s7
	v_cmp_le_f32_e64 s7, 0xc1a00000, v48
	v_cndmask_b32_e64 v189, 0, v49, s7
	v_mov_b32_e32 v48, v240
	v_mov_b32_e32 v64, v244
	;; [unrolled: 1-line block ×3, first 2 shown]
	s_delay_alu instid0(VALU_DEP_4)
	v_dual_mov_b32 v92, v156 :: v_dual_mul_f32 v41, v41, v189
	v_mul_f32_e32 v56, v56, v189
	v_mul_f32_e32 v58, v58, v189
	;; [unrolled: 1-line block ×4, first 2 shown]
	v_dual_mov_b32 v94, v158 :: v_dual_mul_f32 v43, v43, v189
	ds_load_u16 v154, v168 offset:960
	ds_load_u16 v155, v168 offset:1440
	;; [unrolled: 1-line block ×6, first 2 shown]
	ds_load_u16 v120, v249
	ds_load_u16 v128, v249 offset:32
	ds_load_u16 v136, v249 offset:64
	;; [unrolled: 1-line block ×4, first 2 shown]
	v_dual_mov_b32 v245, v166 :: v_dual_mov_b32 v244, v165
	v_dual_mov_b32 v243, v164 :: v_dual_mov_b32 v242, v163
	v_mul_f32_e32 v33, v33, v189
	v_dual_mov_b32 v241, v162 :: v_dual_mov_b32 v240, v161
	v_mul_f32_e32 v35, v35, v189
	v_mov_b32_e32 v239, v160
	ds_load_u16 v160, v249 offset:160
	ds_load_u16 v162, v169 offset:960
	;; [unrolled: 1-line block ×15, first 2 shown]
	v_dual_mov_b32 v220, v197 :: v_dual_mul_f32 v39, v39, v189
	v_dual_mov_b32 v218, v195 :: v_dual_mul_f32 v37, v37, v189
	;; [unrolled: 1-line block ×4, first 2 shown]
	ds_load_u16 v192, v200 offset:480
	ds_load_u16 v193, v200 offset:960
	;; [unrolled: 1-line block ×11, first 2 shown]
	v_dual_mov_b32 v204, v234 :: v_dual_mul_f32 v29, v29, v189
	v_mul_f32_e32 v45, v45, v189
	ds_load_u16 v234, v187 offset:3360
	ds_load_u16 v230, v187 offset:1440
	;; [unrolled: 1-line block ×34, first 2 shown]
	s_waitcnt lgkmcnt(37)
	ds_load_u16_d16_hi v228, v48 offset:8400
	v_mul_f32_e32 v47, v47, v189
	s_waitcnt lgkmcnt(33)
	ds_load_u16_d16_hi v230, v48 offset:9360
	ds_load_u16 v133, v48 offset:2400
	ds_load_u16_d16_hi v134, v249 offset:3152
	ds_load_u16_d16_hi v135, v249 offset:3632
	;; [unrolled: 1-line block ×6, first 2 shown]
	s_waitcnt lgkmcnt(39)
	ds_load_u16_d16_hi v207, v64 offset:8400
	s_waitcnt lgkmcnt(35)
	ds_load_u16_d16_hi v210, v64 offset:9840
	;; [unrolled: 2-line block ×5, first 2 shown]
	v_add_nc_u32_e32 v71, 0x80, v249
	v_mul_f32_e32 v16, v16, v189
	v_mul_f32_e32 v18, v18, v189
	;; [unrolled: 1-line block ×4, first 2 shown]
	s_waitcnt lgkmcnt(26)
	ds_load_u16_d16_hi v68, v71 offset:9840
	v_add_nc_u32_e32 v71, 0xa0, v249
	v_mul_f32_e32 v23, v23, v189
	v_mul_f32_e32 v32, v32, v189
	;; [unrolled: 1-line block ×4, first 2 shown]
	s_waitcnt lgkmcnt(25)
	ds_load_u16_d16_hi v73, v71 offset:8400
	v_add_nc_u32_e32 v71, 0xa0, v249
	s_waitcnt lgkmcnt(22)
	ds_load_u16_d16_hi v76, v71 offset:9840
	ds_load_u16_d16_hi v122, v249 offset:1200
	;; [unrolled: 1-line block ×12, first 2 shown]
	s_waitcnt lgkmcnt(32)
	ds_load_u16_d16_hi v81, v184 offset:8400
	s_waitcnt lgkmcnt(30)
	ds_load_u16_d16_hi v84, v184 offset:9840
	ds_load_u16_d16_hi v87, v184 offset:11280
	ds_load_u16 v172, v184 offset:1920
	ds_load_u16_d16_hi v171, v249 offset:1872
	ds_load_u16_d16_hi v124, v249 offset:2160
	;; [unrolled: 1-line block ×18, first 2 shown]
	s_waitcnt lgkmcnt(47)
	ds_load_u16_d16_hi v133, v249 offset:2672
	s_waitcnt lgkmcnt(19)
	ds_load_u16_d16_hi v172, v249 offset:2352
	ds_load_u16_d16_hi v125, v249 offset:2640
	;; [unrolled: 1-line block ×15, first 2 shown]
	ds_load_u16 v191, v249 offset:7680
	ds_load_u16_d16_hi v192, v249 offset:8400
	ds_load_u16 v129, v48 offset:480
	ds_load_u16 v137, v64 offset:480
	;; [unrolled: 1-line block ×3, first 2 shown]
	v_add_nc_u32_e32 v71, 0x80, v249
	v_mul_f32_e32 v17, v17, v189
	v_mul_f32_e32 v19, v19, v189
	;; [unrolled: 1-line block ×4, first 2 shown]
	ds_load_u16 v153, v71 offset:480
	v_add_nc_u32_e32 v71, 0xa0, v249
	ds_load_u16 v161, v71 offset:480
	ds_load_u16 v71, v185 offset:3360
	s_waitcnt lgkmcnt(5)
	ds_load_u16_d16_hi v129, v249 offset:752
	s_waitcnt lgkmcnt(5)
	ds_load_u16_d16_hi v137, v249 offset:784
	;; [unrolled: 2-line block ×4, first 2 shown]
	v_mul_f32_e32 v42, v42, v189
	v_mul_f32_e32 v44, v44, v189
	;; [unrolled: 1-line block ×14, first 2 shown]
	s_waitcnt lgkmcnt(5)
	ds_load_u16_d16_hi v161, v249 offset:880
	v_mul_f32_e32 v26, v26, v189
	v_mul_f32_e32 v28, v28, v189
	;; [unrolled: 1-line block ×4, first 2 shown]
	s_waitcnt lgkmcnt(1)
	v_wmma_f32_16x16x16_f16 v[16:23], v[152:159], v[112:119], v[16:23]
	v_dual_mov_b32 v159, v95 :: v_dual_mov_b32 v158, v94
	v_dual_mov_b32 v157, v93 :: v_dual_mov_b32 v156, v92
	;; [unrolled: 1-line block ×8, first 2 shown]
	v_mov_b32_e32 v96, v104
	s_waitcnt lgkmcnt(0)
	v_wmma_f32_16x16x16_f16 v[8:15], v[160:167], v[112:119], v[8:15]
	v_dual_mov_b32 v160, v239 :: v_dual_mov_b32 v97, v105
	v_dual_mov_b32 v98, v106 :: v_dual_mov_b32 v161, v240
	;; [unrolled: 1-line block ×3, first 2 shown]
	v_mov_b32_e32 v163, v242
	v_dual_mov_b32 v101, v109 :: v_dual_mov_b32 v102, v110
	v_mov_b32_e32 v165, v244
	v_dual_mov_b32 v103, v111 :: v_dual_mov_b32 v104, v176
	v_dual_mov_b32 v167, v246 :: v_dual_mov_b32 v162, v241
	v_mul_f32_e32 v7, v7, v189
	v_mov_b32_e32 v164, v243
	v_mov_b32_e32 v166, v245
	;; [unrolled: 1-line block ×3, first 2 shown]
	v_sub_f32_e32 v48, v75, v237
	v_mov_b32_e32 v244, v64
	v_dual_mov_b32 v106, v178 :: v_dual_mul_f32 v1, v1, v189
	v_dual_mov_b32 v108, v180 :: v_dual_mul_f32 v3, v3, v189
	s_delay_alu instid0(VALU_DEP_4) | instskip(SKIP_3) | instid1(VALU_DEP_4)
	v_mul_f32_e32 v64, 0x3fb8aa3b, v48
	v_dual_mov_b32 v110, v182 :: v_dual_mul_f32 v5, v5, v189
	v_mul_f32_e32 v2, v2, v189
	v_mul_f32_e32 v4, v4, v189
	v_fma_f32 v72, 0x3fb8aa3b, v48, -v64
	v_rndne_f32_e32 v75, v64
	v_mul_f32_e32 v6, v6, v189
	v_cmp_ngt_f32_e64 s7, 0xc2ce8ed0, v48
	s_delay_alu instid0(VALU_DEP_4) | instskip(NEXT) | instid1(VALU_DEP_4)
	v_dual_mul_f32 v57, v57, v189 :: v_dual_fmac_f32 v72, 0x32a5705f, v48
	v_sub_f32_e32 v64, v64, v75
	s_delay_alu instid0(VALU_DEP_4) | instskip(SKIP_2) | instid1(VALU_DEP_4)
	v_wmma_f32_16x16x16_f16 v[0:7], v[168:175], v[112:119], v[0:7]
	v_cvt_i32_f32_e32 v75, v75
	v_add_nc_u32_e32 v169, 0xa0, v249
	v_dual_mul_f32 v59, v59, v189 :: v_dual_add_f32 v64, v64, v72
	v_sub_f32_e32 v72, v80, v237
	v_mul_f32_e32 v61, v61, v189
	v_mul_f32_e32 v63, v63, v189
	v_wmma_f32_16x16x16_f16 v[40:47], v[128:135], v[112:119], v[40:47]
	v_exp_f32_e32 v64, v64
	v_mul_f32_e32 v80, 0x3fb8aa3b, v72
	v_cmp_ngt_f32_e64 s8, 0xc2ce8ed0, v72
	v_wmma_f32_16x16x16_f16 v[56:63], v[120:127], v[112:119], v[56:63]
	v_wmma_f32_16x16x16_f16 v[32:39], v[136:143], v[112:119], v[32:39]
	;; [unrolled: 1-line block ×3, first 2 shown]
	v_fma_f32 v83, 0x3fb8aa3b, v72, -v80
	v_rndne_f32_e32 v85, v80
	s_clause 0x3
	scratch_load_b64 v[140:141], off, off offset:164
	scratch_load_b64 v[138:139], off, off offset:156
	scratch_load_b64 v[172:173], off, off offset:180
	scratch_load_b64 v[170:171], off, off offset:172
	v_ldexp_f32 v64, v64, v75
	v_dual_fmac_f32 v83, 0x32a5705f, v72 :: v_dual_sub_f32 v80, v80, v85
	v_cvt_i32_f32_e32 v75, v85
	v_mov_b32_e32 v105, v177
	s_delay_alu instid0(VALU_DEP_4) | instskip(SKIP_4) | instid1(VALU_DEP_4)
	v_cndmask_b32_e64 v64, 0, v64, s7
	v_cmp_nlt_f32_e64 s7, 0x42b17218, v48
	v_dual_add_f32 v80, v80, v83 :: v_dual_mov_b32 v107, v179
	v_mov_b32_e32 v109, v181
	v_mov_b32_e32 v111, v183
	v_cndmask_b32_e64 v121, 0x7f800000, v64, s7
	s_delay_alu instid0(VALU_DEP_4) | instskip(SKIP_3) | instid1(VALU_DEP_1)
	v_exp_f32_e32 v80, v80
	scratch_load_b32 v178, off, off offset:20 ; 4-byte Folded Reload
	v_add_nc_u32_e32 v168, 0x80, v249
	v_ldexp_f32 v75, v80, v75
	v_cndmask_b32_e64 v48, 0, v75, s8
	v_cmp_nlt_f32_e64 s8, 0x42b17218, v72
	ds_bpermute_b32 v72, v205, v121
	v_cndmask_b32_e64 v120, 0x7f800000, v48, s8
	ds_bpermute_b32 v48, v205, v120
	s_waitcnt lgkmcnt(0)
	v_cndmask_b32_e32 v64, v120, v48, vcc_lo
	v_cndmask_b32_e64 v48, v120, v48, s4
	s_delay_alu instid0(VALU_DEP_2) | instskip(NEXT) | instid1(VALU_DEP_2)
	v_cndmask_b32_e64 v80, v64, v121, s5
	v_cndmask_b32_e64 v75, v48, v121, s6
	v_cvt_f16_f32_e32 v48, v48
	v_cvt_f16_f32_e32 v64, v64
	s_delay_alu instid0(VALU_DEP_3) | instskip(SKIP_1) | instid1(VALU_DEP_3)
	v_cndmask_b32_e64 v75, v75, v72, s4
	v_cndmask_b32_e32 v72, v80, v72, vcc_lo
	v_pack_b32_f16 v112, v48, v64
	v_sub_f32_e32 v48, v236, v237
	s_delay_alu instid0(VALU_DEP_4) | instskip(NEXT) | instid1(VALU_DEP_4)
	v_cvt_f16_f32_e32 v80, v75
	v_cvt_f16_f32_e32 v83, v72
	s_delay_alu instid0(VALU_DEP_3) | instskip(SKIP_1) | instid1(VALU_DEP_3)
	v_mul_f32_e32 v64, 0x3fb8aa3b, v48
	v_cmp_ngt_f32_e64 s7, 0xc2ce8ed0, v48
	v_pack_b32_f16 v113, v80, v83
	s_delay_alu instid0(VALU_DEP_3) | instskip(SKIP_1) | instid1(VALU_DEP_2)
	v_fma_f32 v80, 0x3fb8aa3b, v48, -v64
	v_rndne_f32_e32 v83, v64
	v_fmac_f32_e32 v80, 0x32a5705f, v48
	s_delay_alu instid0(VALU_DEP_2) | instskip(NEXT) | instid1(VALU_DEP_1)
	v_sub_f32_e32 v64, v64, v83
	v_add_f32_e32 v64, v64, v80
	v_cvt_i32_f32_e32 v80, v83
	s_delay_alu instid0(VALU_DEP_2) | instskip(SKIP_2) | instid1(VALU_DEP_1)
	v_exp_f32_e32 v64, v64
	s_waitcnt_depctr 0xfff
	v_ldexp_f32 v64, v64, v80
	v_cndmask_b32_e64 v64, 0, v64, s7
	v_cmp_nlt_f32_e64 s7, 0x42b17218, v48
	s_delay_alu instid0(VALU_DEP_1) | instskip(NEXT) | instid1(VALU_DEP_1)
	v_cndmask_b32_e64 v122, 0x7f800000, v64, s7
	v_cndmask_b32_e64 v64, v72, v122, s5
	ds_bpermute_b32 v72, v205, v122
	v_cndmask_b32_e64 v48, v75, v122, s6
	s_waitcnt lgkmcnt(0)
	s_delay_alu instid0(VALU_DEP_1) | instskip(SKIP_1) | instid1(VALU_DEP_2)
	v_cndmask_b32_e64 v48, v48, v72, s4
	v_cndmask_b32_e32 v64, v64, v72, vcc_lo
	v_cvt_f16_f32_e32 v72, v48
	s_delay_alu instid0(VALU_DEP_2) | instskip(NEXT) | instid1(VALU_DEP_1)
	v_cvt_f16_f32_e32 v75, v64
	v_pack_b32_f16 v114, v72, v75
	v_sub_f32_e32 v72, v206, v237
	s_delay_alu instid0(VALU_DEP_1) | instskip(SKIP_1) | instid1(VALU_DEP_2)
	v_mul_f32_e32 v75, 0x3fb8aa3b, v72
	v_cmp_ngt_f32_e64 s7, 0xc2ce8ed0, v72
	v_fma_f32 v80, 0x3fb8aa3b, v72, -v75
	v_rndne_f32_e32 v83, v75
	s_delay_alu instid0(VALU_DEP_1) | instskip(NEXT) | instid1(VALU_DEP_1)
	v_dual_fmac_f32 v80, 0x32a5705f, v72 :: v_dual_sub_f32 v75, v75, v83
	v_add_f32_e32 v75, v75, v80
	v_cvt_i32_f32_e32 v80, v83
	s_delay_alu instid0(VALU_DEP_2) | instskip(SKIP_2) | instid1(VALU_DEP_1)
	v_exp_f32_e32 v75, v75
	s_waitcnt_depctr 0xfff
	v_ldexp_f32 v75, v75, v80
	v_cndmask_b32_e64 v75, 0, v75, s7
	v_cmp_nlt_f32_e64 s7, 0x42b17218, v72
	s_delay_alu instid0(VALU_DEP_1) | instskip(SKIP_4) | instid1(VALU_DEP_2)
	v_cndmask_b32_e64 v123, 0x7f800000, v75, s7
	ds_bpermute_b32 v72, v205, v123
	v_cndmask_b32_e64 v48, v48, v123, s6
	v_cndmask_b32_e64 v64, v64, v123, s5
	s_waitcnt lgkmcnt(0)
	v_cndmask_b32_e64 v48, v48, v72, s4
	s_delay_alu instid0(VALU_DEP_2) | instskip(NEXT) | instid1(VALU_DEP_2)
	v_cndmask_b32_e32 v64, v64, v72, vcc_lo
	v_cvt_f16_f32_e32 v72, v48
	s_delay_alu instid0(VALU_DEP_2) | instskip(NEXT) | instid1(VALU_DEP_1)
	v_cvt_f16_f32_e32 v75, v64
	v_pack_b32_f16 v115, v72, v75
	v_sub_f32_e32 v72, v227, v237
	s_delay_alu instid0(VALU_DEP_1) | instskip(SKIP_1) | instid1(VALU_DEP_2)
	v_mul_f32_e32 v75, 0x3fb8aa3b, v72
	v_cmp_ngt_f32_e64 s7, 0xc2ce8ed0, v72
	v_fma_f32 v80, 0x3fb8aa3b, v72, -v75
	v_rndne_f32_e32 v83, v75
	s_delay_alu instid0(VALU_DEP_1) | instskip(NEXT) | instid1(VALU_DEP_1)
	v_dual_fmac_f32 v80, 0x32a5705f, v72 :: v_dual_sub_f32 v75, v75, v83
	v_add_f32_e32 v75, v75, v80
	v_cvt_i32_f32_e32 v80, v83
	s_delay_alu instid0(VALU_DEP_2) | instskip(SKIP_2) | instid1(VALU_DEP_1)
	v_exp_f32_e32 v75, v75
	s_waitcnt_depctr 0xfff
	v_ldexp_f32 v75, v75, v80
	v_cndmask_b32_e64 v75, 0, v75, s7
	v_cmp_nlt_f32_e64 s7, 0x42b17218, v72
	s_delay_alu instid0(VALU_DEP_1) | instskip(SKIP_4) | instid1(VALU_DEP_2)
	v_cndmask_b32_e64 v124, 0x7f800000, v75, s7
	ds_bpermute_b32 v72, v205, v124
	v_cndmask_b32_e64 v48, v48, v124, s6
	v_cndmask_b32_e64 v64, v64, v124, s5
	s_waitcnt lgkmcnt(0)
	v_cndmask_b32_e64 v48, v48, v72, s4
	s_delay_alu instid0(VALU_DEP_2) | instskip(NEXT) | instid1(VALU_DEP_2)
	v_cndmask_b32_e32 v64, v64, v72, vcc_lo
	v_cvt_f16_f32_e32 v72, v48
	s_delay_alu instid0(VALU_DEP_2) | instskip(NEXT) | instid1(VALU_DEP_1)
	v_cvt_f16_f32_e32 v75, v64
	v_pack_b32_f16 v116, v72, v75
	scratch_load_b32 v72, off, off offset:8 ; 4-byte Folded Reload
	s_waitcnt vmcnt(0)
	v_sub_f32_e32 v72, v72, v237
	s_delay_alu instid0(VALU_DEP_1) | instskip(SKIP_1) | instid1(VALU_DEP_2)
	v_mul_f32_e32 v75, 0x3fb8aa3b, v72
	v_cmp_ngt_f32_e64 s7, 0xc2ce8ed0, v72
	v_fma_f32 v80, 0x3fb8aa3b, v72, -v75
	v_rndne_f32_e32 v83, v75
	s_delay_alu instid0(VALU_DEP_1) | instskip(NEXT) | instid1(VALU_DEP_1)
	v_dual_fmac_f32 v80, 0x32a5705f, v72 :: v_dual_sub_f32 v75, v75, v83
	v_add_f32_e32 v75, v75, v80
	v_cvt_i32_f32_e32 v80, v83
	s_delay_alu instid0(VALU_DEP_2) | instskip(SKIP_2) | instid1(VALU_DEP_1)
	v_exp_f32_e32 v75, v75
	s_waitcnt_depctr 0xfff
	v_ldexp_f32 v75, v75, v80
	v_cndmask_b32_e64 v75, 0, v75, s7
	v_cmp_nlt_f32_e64 s7, 0x42b17218, v72
	s_delay_alu instid0(VALU_DEP_1) | instskip(SKIP_4) | instid1(VALU_DEP_2)
	v_cndmask_b32_e64 v125, 0x7f800000, v75, s7
	ds_bpermute_b32 v72, v205, v125
	v_cndmask_b32_e64 v48, v48, v125, s6
	v_cndmask_b32_e64 v64, v64, v125, s5
	s_waitcnt lgkmcnt(0)
	v_cndmask_b32_e64 v48, v48, v72, s4
	s_delay_alu instid0(VALU_DEP_2) | instskip(NEXT) | instid1(VALU_DEP_2)
	v_cndmask_b32_e32 v64, v64, v72, vcc_lo
	v_cvt_f16_f32_e32 v72, v48
	s_delay_alu instid0(VALU_DEP_2) | instskip(NEXT) | instid1(VALU_DEP_1)
	v_cvt_f16_f32_e32 v75, v64
	v_pack_b32_f16 v117, v72, v75
	scratch_load_b32 v72, off, off offset:4 ; 4-byte Folded Reload
	s_waitcnt vmcnt(0)
	v_sub_f32_e32 v72, v72, v237
	s_delay_alu instid0(VALU_DEP_1) | instskip(SKIP_1) | instid1(VALU_DEP_2)
	v_mul_f32_e32 v75, 0x3fb8aa3b, v72
	v_cmp_ngt_f32_e64 s7, 0xc2ce8ed0, v72
	v_fma_f32 v80, 0x3fb8aa3b, v72, -v75
	v_rndne_f32_e32 v83, v75
	s_delay_alu instid0(VALU_DEP_1) | instskip(NEXT) | instid1(VALU_DEP_1)
	v_dual_fmac_f32 v80, 0x32a5705f, v72 :: v_dual_sub_f32 v75, v75, v83
	v_add_f32_e32 v75, v75, v80
	v_cvt_i32_f32_e32 v80, v83
	s_delay_alu instid0(VALU_DEP_2) | instskip(SKIP_2) | instid1(VALU_DEP_1)
	v_exp_f32_e32 v75, v75
	s_waitcnt_depctr 0xfff
	v_ldexp_f32 v75, v75, v80
	v_cndmask_b32_e64 v75, 0, v75, s7
	v_cmp_nlt_f32_e64 s7, 0x42b17218, v72
	s_delay_alu instid0(VALU_DEP_1) | instskip(SKIP_4) | instid1(VALU_DEP_2)
	v_cndmask_b32_e64 v126, 0x7f800000, v75, s7
	ds_bpermute_b32 v72, v205, v126
	v_cndmask_b32_e64 v48, v48, v126, s6
	v_cndmask_b32_e64 v64, v64, v126, s5
	s_waitcnt lgkmcnt(0)
	v_cndmask_b32_e64 v48, v48, v72, s4
	s_delay_alu instid0(VALU_DEP_2) | instskip(NEXT) | instid1(VALU_DEP_2)
	v_cndmask_b32_e32 v64, v64, v72, vcc_lo
	v_cvt_f16_f32_e32 v72, v48
	s_delay_alu instid0(VALU_DEP_2) | instskip(NEXT) | instid1(VALU_DEP_1)
	v_cvt_f16_f32_e32 v75, v64
	v_pack_b32_f16 v118, v72, v75
	scratch_load_b32 v72, off, off          ; 4-byte Folded Reload
	ds_load_u16_d16_hi v191, v249 offset:7920
	ds_load_u16_d16_hi v193, v249 offset:8880
	;; [unrolled: 1-line block ×7, first 2 shown]
	ds_load_u16 v227, v240 offset:7680
	s_waitcnt lgkmcnt(0)
	ds_load_u16_d16_hi v227, v240 offset:7920
	ds_load_u16_d16_hi v229, v240 offset:8880
	;; [unrolled: 1-line block ×6, first 2 shown]
	ds_load_u16 v206, v244 offset:7680
	ds_load_u16_d16_hi v208, v244 offset:8880
	s_waitcnt vmcnt(0)
	v_sub_f32_e32 v72, v72, v237
	s_delay_alu instid0(VALU_DEP_1) | instskip(SKIP_1) | instid1(VALU_DEP_2)
	v_mul_f32_e32 v75, 0x3fb8aa3b, v72
	v_cmp_ngt_f32_e64 s7, 0xc2ce8ed0, v72
	v_fma_f32 v80, 0x3fb8aa3b, v72, -v75
	v_rndne_f32_e32 v83, v75
	s_delay_alu instid0(VALU_DEP_1) | instskip(NEXT) | instid1(VALU_DEP_1)
	v_dual_fmac_f32 v80, 0x32a5705f, v72 :: v_dual_sub_f32 v75, v75, v83
	v_add_f32_e32 v75, v75, v80
	v_cvt_i32_f32_e32 v80, v83
	s_delay_alu instid0(VALU_DEP_2) | instskip(SKIP_2) | instid1(VALU_DEP_1)
	v_exp_f32_e32 v75, v75
	s_waitcnt_depctr 0xfff
	v_ldexp_f32 v75, v75, v80
	v_cndmask_b32_e64 v75, 0, v75, s7
	v_cmp_nlt_f32_e64 s7, 0x42b17218, v72
	s_delay_alu instid0(VALU_DEP_1) | instskip(SKIP_4) | instid1(VALU_DEP_2)
	v_cndmask_b32_e64 v127, 0x7f800000, v75, s7
	ds_bpermute_b32 v72, v205, v127
	v_cndmask_b32_e64 v48, v48, v127, s6
	v_cndmask_b32_e64 v64, v64, v127, s5
	s_waitcnt lgkmcnt(0)
	v_cndmask_b32_e64 v48, v48, v72, s4
	s_delay_alu instid0(VALU_DEP_2) | instskip(NEXT) | instid1(VALU_DEP_2)
	v_cndmask_b32_e32 v64, v64, v72, vcc_lo
	v_cvt_f16_f32_e32 v48, v48
	s_delay_alu instid0(VALU_DEP_2) | instskip(NEXT) | instid1(VALU_DEP_1)
	v_cvt_f16_f32_e32 v64, v64
	v_pack_b32_f16 v119, v48, v64
	s_delay_alu instid0(VALU_DEP_1)
	v_wmma_f32_16x16x16_f16 v[40:47], v[227:234], v[112:119], v[40:47]
	s_clause 0x1
	scratch_load_b64 v[229:230], off, off offset:196
	scratch_load_b64 v[181:182], off, off offset:188
	v_mov_b32_e32 v234, v204
	scratch_load_b32 v204, off, off offset:12 ; 4-byte Folded Reload
	ds_load_u16_d16_hi v206, v244 offset:7920
	ds_load_u16_d16_hi v209, v244 offset:9360
	ds_load_u16_d16_hi v211, v244 offset:10320
	ds_load_u16_d16_hi v212, v244 offset:10800
	ds_load_u16_d16_hi v213, v244 offset:11280
	ds_load_u16 v48, v222 offset:7680
	ds_load_u16_d16_hi v50, v222 offset:8880
	ds_load_u16_d16_hi v53, v222 offset:10320
	v_wmma_f32_16x16x16_f16 v[56:63], v[191:198], v[112:119], v[56:63]
	v_dual_mov_b32 v191, v214 :: v_dual_mov_b32 v192, v215
	v_dual_mov_b32 v193, v216 :: v_dual_mov_b32 v194, v217
	v_dual_mov_b32 v195, v218 :: v_dual_mov_b32 v196, v219
	v_dual_mov_b32 v197, v220 :: v_dual_mov_b32 v198, v221
	s_waitcnt lgkmcnt(3)
	v_wmma_f32_16x16x16_f16 v[32:39], v[206:213], v[112:119], v[32:39]
	s_clause 0x5
	scratch_load_b32 v228, off, off offset:16
	scratch_load_b64 v[212:213], off, off offset:224
	scratch_load_b64 v[210:211], off, off offset:216
	scratch_load_b32 v209, off, off offset:212
	scratch_load_b32 v208, off, off offset:208
	;; [unrolled: 1-line block ×3, first 2 shown]
	s_waitcnt lgkmcnt(2)
	ds_load_u16_d16_hi v48, v222 offset:7920
	ds_load_u16_d16_hi v51, v222 offset:9360
	;; [unrolled: 1-line block ×4, first 2 shown]
	ds_load_u16 v64, v168 offset:7680
	ds_load_u16_d16_hi v66, v168 offset:8880
	ds_load_u16_d16_hi v69, v168 offset:10320
	;; [unrolled: 1-line block ×3, first 2 shown]
	s_waitcnt lgkmcnt(4)
	v_wmma_f32_16x16x16_f16 v[24:31], v[48:55], v[112:119], v[24:31]
	v_mov_b32_e32 v49, v224
	scratch_load_b64 v[54:55], off, off offset:308 ; 8-byte Folded Reload
	s_waitcnt lgkmcnt(3)
	ds_load_u16_d16_hi v64, v168 offset:7920
	ds_load_u16_d16_hi v67, v168 offset:9360
	;; [unrolled: 1-line block ×3, first 2 shown]
	ds_load_u16 v72, v169 offset:7680
	ds_load_u16_d16_hi v74, v169 offset:8880
	ds_load_u16_d16_hi v77, v169 offset:10320
	;; [unrolled: 1-line block ×3, first 2 shown]
	v_add_f32_e32 v48, v186, v251
	ds_load_u16 v75, v203 offset:1440
	ds_load_u16 v85, v235 offset:2400
	s_waitcnt lgkmcnt(5)
	ds_load_u16_d16_hi v72, v169 offset:7920
	v_add_f32_e32 v48, v199, v48
	s_waitcnt lgkmcnt(2)
	ds_load_u16_d16_hi v75, v169 offset:9360
	ds_load_u16_d16_hi v78, v169 offset:10800
	ds_load_u16 v80, v184 offset:7680
	ds_load_u16_d16_hi v82, v184 offset:8880
	s_waitcnt lgkmcnt(5)
	ds_load_u16_d16_hi v85, v184 offset:10320
	v_add_f32_e32 v48, v238, v48
	ds_load_u16 v83, v235 offset:1440
	s_waitcnt lgkmcnt(3)
	ds_load_u16_d16_hi v80, v184 offset:7920
	v_add_f32_e32 v48, v247, v48
	s_waitcnt lgkmcnt(1)
	ds_load_u16_d16_hi v83, v184 offset:9360
	ds_load_u16_d16_hi v86, v184 offset:10800
	v_add_f32_e32 v48, v252, v48
	v_wmma_f32_16x16x16_f16 v[16:23], v[64:71], v[112:119], v[16:23]
	v_dual_mov_b32 v64, v225 :: v_dual_mov_b32 v65, v226
	v_wmma_f32_16x16x16_f16 v[8:15], v[72:79], v[112:119], v[8:15]
	s_delay_alu instid0(VALU_DEP_4) | instskip(NEXT) | instid1(VALU_DEP_1)
	v_add_f32_e32 v48, v253, v48
	v_dual_mov_b32 v199, v201 :: v_dual_add_f32 v48, v250, v48
	s_delay_alu instid0(VALU_DEP_1) | instskip(SKIP_2) | instid1(VALU_DEP_2)
	v_add_f32_e32 v48, v120, v48
	s_waitcnt lgkmcnt(0)
	v_wmma_f32_16x16x16_f16 v[0:7], v[80:87], v[112:119], v[0:7]
	v_add_f32_e32 v48, v121, v48
	s_delay_alu instid0(VALU_DEP_1) | instskip(NEXT) | instid1(VALU_DEP_1)
	v_add_f32_e32 v48, v122, v48
	v_add_f32_e32 v48, v123, v48
	s_delay_alu instid0(VALU_DEP_1) | instskip(NEXT) | instid1(VALU_DEP_1)
	v_add_f32_e32 v48, v124, v48
	v_add_f32_e32 v48, v125, v48
	scratch_load_b64 v[124:125], off, off offset:52 ; 8-byte Folded Reload
	s_waitcnt vmcnt(0)
	s_barrier
	buffer_gl0_inv
	v_add_f32_e32 v48, v126, v48
	s_delay_alu instid0(VALU_DEP_1) | instskip(NEXT) | instid1(VALU_DEP_1)
	v_add_f32_e32 v224, v127, v48
	v_fmac_f32_e32 v224, v49, v189
	s_cbranch_scc1 .LBB19_77
; %bb.78:                               ;   in Loop: Header=BB19_12 Depth=1
	s_clause 0x1c
	scratch_load_b32 v214, off, off offset:568
	scratch_load_b32 v116, off, off offset:580
	;; [unrolled: 1-line block ×15, first 2 shown]
	scratch_load_b64 v[225:226], off, off offset:116
	scratch_load_b32 v242, off, off offset:296
	scratch_load_b32 v243, off, off offset:300
	scratch_load_b64 v[246:247], off, off offset:148
	scratch_load_b64 v[176:177], off, off offset:288
	;; [unrolled: 1-line block ×3, first 2 shown]
	scratch_load_b32 v245, off, off offset:588
	scratch_load_b64 v[252:253], off, off offset:272
	scratch_load_b32 v222, off, off offset:268
	scratch_load_b32 v239, off, off offset:476
	;; [unrolled: 1-line block ×4, first 2 shown]
	scratch_load_b128 v[126:129], off, off offset:236
	scratch_load_b128 v[130:133], off, off offset:252
	v_dual_mov_b32 v220, v203 :: v_dual_mov_b32 v215, v202
	v_dual_mov_b32 v221, v235 :: v_dual_mov_b32 v174, 0
	v_mov_b32_e32 v120, 32
.LBB19_79:                              ;   in Loop: Header=BB19_12 Depth=1
	scratch_load_b32 v48, off, off offset:348 ; 4-byte Folded Reload
	s_lshl_b32 s4, s33, 6
	s_waitcnt vmcnt(29)
	v_mov_b32_e32 v223, v214
	s_ashr_i32 s5, s4, 31
	s_waitcnt vmcnt(5)
	v_dual_mov_b32 v231, v239 :: v_dual_add_nc_u32 v114, v209, v178
	s_lshl_b64 s[6:7], s[4:5], 1
	s_waitcnt vmcnt(4)
	v_dual_mov_b32 v219, v116 :: v_dual_mov_b32 v232, v118
	v_add_co_u32 v49, vcc_lo, v118, s6
	v_add_co_ci_u32_e32 v50, vcc_lo, s7, v239, vcc_lo
	s_mul_hi_i32 s7, s34, s4
	s_mul_i32 s6, s34, s4
	v_mov_b32_e32 v79, s27
	s_lshl_b64 s[6:7], s[6:7], 2
	v_dual_mov_b32 v78, s26 :: v_dual_mov_b32 v75, s23
	s_add_u32 s5, s70, s6
	s_addc_u32 s6, s73, s7
	v_dual_mov_b32 v76, s24 :: v_dual_mov_b32 v73, s21
	v_mov_b32_e32 v74, s22
	v_dual_mov_b32 v72, s20 :: v_dual_mov_b32 v77, s25
	v_add_nc_u32_e32 v146, 0x80, v249
	s_waitcnt vmcnt(0)
	v_lshlrev_b32_e32 v48, 1, v48
	s_delay_alu instid0(VALU_DEP_1) | instskip(SKIP_3) | instid1(VALU_DEP_3)
	v_add_co_u32 v52, vcc_lo, v49, v48
	v_lshlrev_b64 v[48:49], 1, v[64:65]
	v_add_co_ci_u32_e32 v53, vcc_lo, 0, v50, vcc_lo
	v_lshlrev_b64 v[50:51], 1, v[54:55]
	v_add_co_u32 v48, vcc_lo, v52, v48
	s_delay_alu instid0(VALU_DEP_3) | instskip(NEXT) | instid1(VALU_DEP_3)
	v_add_co_ci_u32_e32 v49, vcc_lo, v53, v49, vcc_lo
	v_add_co_u32 v50, vcc_lo, v52, v50
	s_delay_alu instid0(VALU_DEP_4)
	v_add_co_ci_u32_e32 v51, vcc_lo, v53, v51, vcc_lo
	s_clause 0x1
	global_load_b32 v112, v[48:49], off
	global_load_b32 v113, v[50:51], off
	v_add_nc_u32_e32 v48, 0x3c00, v114
	s_waitcnt vmcnt(0)
	ds_store_2addr_b32 v48, v112, v113 offset1:144
	v_add_co_u32 v48, vcc_lo, s5, v172
	v_add_co_ci_u32_e32 v49, vcc_lo, s6, v173, vcc_lo
	v_add_nc_u32_e32 v112, v199, v207
	s_delay_alu instid0(VALU_DEP_3) | instskip(NEXT) | instid1(VALU_DEP_3)
	v_add_co_u32 v48, vcc_lo, v48, v222
	v_add_co_ci_u32_e32 v49, vcc_lo, 0, v49, vcc_lo
	v_add_co_u32 v50, vcc_lo, s5, v176
	v_add_co_ci_u32_e32 v51, vcc_lo, s6, v177, vcc_lo
	s_delay_alu instid0(VALU_DEP_2) | instskip(NEXT) | instid1(VALU_DEP_2)
	v_add_co_u32 v52, vcc_lo, v50, v254
	v_add_co_ci_u32_e32 v53, vcc_lo, 0, v51, vcc_lo
	s_clause 0x1
	global_load_b128 v[48:51], v[48:49], off offset:192
	global_load_b128 v[52:55], v[52:53], off offset:128
	s_waitcnt vmcnt(1)
	ds_store_b128 v233, v[48:51]
	v_add_co_u32 v48, vcc_lo, s5, v250
	v_add_co_ci_u32_e32 v49, vcc_lo, s6, v251, vcc_lo
	s_delay_alu instid0(VALU_DEP_2) | instskip(NEXT) | instid1(VALU_DEP_2)
	v_add_co_u32 v48, vcc_lo, v48, v254
	v_add_co_ci_u32_e32 v49, vcc_lo, 0, v49, vcc_lo
	v_add_co_u32 v50, vcc_lo, s5, v252
	v_add_co_ci_u32_e32 v51, vcc_lo, s6, v253, vcc_lo
	s_delay_alu instid0(VALU_DEP_2) | instskip(NEXT) | instid1(VALU_DEP_2)
	v_add_co_u32 v64, vcc_lo, v50, v215
	v_add_co_ci_u32_e32 v65, vcc_lo, 0, v51, vcc_lo
	s_clause 0x1
	global_load_b128 v[48:51], v[48:49], off offset:128
	global_load_b128 v[64:67], v[64:65], off
	s_waitcnt vmcnt(2)
	ds_store_b128 v242, v[52:55]
	s_waitcnt vmcnt(1)
	ds_store_b128 v208, v[48:51]
	v_add_co_u32 v48, vcc_lo, s5, v138
	v_add_co_ci_u32_e32 v49, vcc_lo, s6, v139, vcc_lo
	s_delay_alu instid0(VALU_DEP_2) | instskip(NEXT) | instid1(VALU_DEP_2)
	v_add_co_u32 v48, vcc_lo, v48, v215
	v_add_co_ci_u32_e32 v49, vcc_lo, 0, v49, vcc_lo
	v_add_co_u32 v50, vcc_lo, s5, v140
	v_add_co_ci_u32_e32 v51, vcc_lo, s6, v141, vcc_lo
	s_delay_alu instid0(VALU_DEP_2) | instskip(NEXT) | instid1(VALU_DEP_2)
	v_add_co_u32 v52, vcc_lo, v50, v215
	v_add_co_ci_u32_e32 v53, vcc_lo, 0, v51, vcc_lo
	s_clause 0x1
	global_load_b128 v[48:51], v[48:49], off
	global_load_b128 v[52:55], v[52:53], off
	scratch_load_b32 v113, off, off offset:84 ; 4-byte Folded Reload
	s_waitcnt vmcnt(3)
	ds_store_b128 v243, v[64:67]
	s_waitcnt vmcnt(0)
	ds_store_b128 v113, v[48:51]
	v_add_co_u32 v48, vcc_lo, s5, v124
	v_add_co_ci_u32_e32 v49, vcc_lo, s6, v125, vcc_lo
	s_mul_hi_i32 s5, s30, s4
	s_delay_alu instid0(VALU_DEP_2) | instskip(NEXT) | instid1(VALU_DEP_2)
	v_add_co_u32 v48, vcc_lo, v48, v215
	v_add_co_ci_u32_e32 v49, vcc_lo, 0, v49, vcc_lo
	v_cmp_lt_i32_e32 vcc_lo, v119, v120
	s_mul_i32 s4, s30, s4
	v_cmp_eq_u32_e64 s6, 1, v234
	global_load_b128 v[48:51], v[48:49], off
	ds_store_b128 v204, v[52:55]
	s_waitcnt vmcnt(0)
	ds_store_b128 v228, v[48:51]
	s_waitcnt lgkmcnt(0)
	s_waitcnt_vscnt null, 0x0
	s_barrier
	buffer_gl0_inv
	ds_load_b128 v[48:51], v112
	ds_load_b128 v[52:55], v112 offset:16
	ds_load_b128 v[64:67], v112 offset:7680
	;; [unrolled: 1-line block ×3, first 2 shown]
	s_lshl_b64 s[4:5], s[4:5], 2
	s_delay_alu instid0(SALU_CYCLE_1)
	s_add_u32 s4, s104, s4
	s_waitcnt lgkmcnt(2)
	v_wmma_f32_16x16x16_f16 v[80:87], v[48:55], v[96:103], v[72:79]
	s_waitcnt lgkmcnt(0)
	v_wmma_f32_16x16x16_f16 v[48:55], v[64:71], v[96:103], v[72:79]
	ds_load_b128 v[64:67], v112 offset:32
	ds_load_b128 v[68:71], v112 offset:48
	s_waitcnt lgkmcnt(0)
	v_wmma_f32_16x16x16_f16 v[80:87], v[64:71], v[152:159], v[80:87]
	ds_load_b128 v[64:67], v112 offset:7712
	ds_load_b128 v[68:71], v112 offset:7728
	;; [unrolled: 4-line block ×3, first 2 shown]
	v_add_nc_u32_e32 v154, 0xa0, v249
	s_waitcnt lgkmcnt(0)
	v_wmma_f32_16x16x16_f16 v[80:87], v[64:71], v[126:133], v[80:87]
	ds_load_b128 v[64:67], v112 offset:7744
	ds_load_b128 v[68:71], v112 offset:7760
	s_waitcnt lgkmcnt(0)
	v_wmma_f32_16x16x16_f16 v[48:55], v[64:71], v[126:133], v[48:55]
	ds_load_b128 v[64:67], v112 offset:96
	ds_load_b128 v[68:71], v112 offset:112
	;; [unrolled: 4-line block ×6, first 2 shown]
	v_add_nc_u32_e32 v92, 0x60, v249
	s_waitcnt lgkmcnt(0)
	v_wmma_f32_16x16x16_f16 v[80:87], v[64:71], v[104:111], v[80:87]
	ds_load_b128 v[64:67], v112 offset:7840
	ds_load_b128 v[68:71], v112 offset:7856
	s_waitcnt lgkmcnt(0)
	v_wmma_f32_16x16x16_f16 v[48:55], v[64:71], v[104:111], v[48:55]
	ds_load_b128 v[64:67], v112 offset:192
	ds_load_b128 v[68:71], v112 offset:208
	;; [unrolled: 4-line block ×3, first 2 shown]
	s_waitcnt lgkmcnt(0)
	s_barrier
	buffer_gl0_inv
	v_wmma_f32_16x16x16_f16 v[48:55], v[64:71], v[160:167], v[48:55]
	ds_load_u16 v64, v236 offset:15360
	ds_load_u16 v65, v236 offset:15364
	;; [unrolled: 1-line block ×8, first 2 shown]
	scratch_load_b32 v79, off, off offset:436 ; 4-byte Folded Reload
	s_waitcnt lgkmcnt(7)
	v_cvt_f32_f16_e32 v64, v64
	s_waitcnt lgkmcnt(6)
	v_cvt_f32_f16_e32 v65, v65
	;; [unrolled: 2-line block ×8, first 2 shown]
	v_dual_add_f32 v70, v80, v64 :: v_dual_add_f32 v71, v81, v65
	v_add_f32_e32 v69, v82, v66
	v_dual_add_f32 v65, v86, v74 :: v_dual_add_f32 v68, v83, v67
	v_dual_add_f32 v67, v84, v72 :: v_dual_add_f32 v66, v85, v73
	v_add_f32_e32 v64, v87, v75
	s_waitcnt vmcnt(0)
	ds_load_u16 v72, v79 offset:64
	ds_load_u16 v73, v79 offset:68
	;; [unrolled: 1-line block ×8, first 2 shown]
	s_waitcnt lgkmcnt(7)
	v_cvt_f32_f16_e32 v72, v72
	s_waitcnt lgkmcnt(6)
	v_cvt_f32_f16_e32 v73, v73
	;; [unrolled: 2-line block ×5, first 2 shown]
	v_dual_add_f32 v81, v48, v72 :: v_dual_add_f32 v82, v49, v73
	s_waitcnt lgkmcnt(0)
	v_cvt_f32_f16_e32 v84, v79
	v_dual_add_f32 v79, v51, v75 :: v_dual_add_f32 v80, v50, v74
	v_dual_add_f32 v49, 0x40051340, v71 :: v_dual_add_f32 v48, 0x40051340, v70
	s_delay_alu instid0(VALU_DEP_3)
	v_add_f32_e32 v74, v55, v84
	v_add_f32_e32 v50, 0x40051340, v68
	v_cvt_f32_f16_e32 v83, v77
	v_add_f32_e32 v77, v52, v76
	v_max3_f32 v48, v237, v48, v49
	v_add_f32_e32 v49, 0x40051340, v69
	v_cvt_f32_f16_e32 v78, v78
	v_add_f32_e32 v76, v53, v83
	s_delay_alu instid0(VALU_DEP_3) | instskip(NEXT) | instid1(VALU_DEP_3)
	v_max3_f32 v48, v48, v49, v50
	v_add_f32_e32 v75, v54, v78
	v_dual_add_f32 v49, 0x40051340, v67 :: v_dual_add_f32 v50, 0x40051340, v66
	s_delay_alu instid0(VALU_DEP_1) | instskip(SKIP_1) | instid1(VALU_DEP_1)
	v_max3_f32 v48, v48, v49, v50
	v_dual_add_f32 v49, 0x40051340, v65 :: v_dual_add_f32 v50, 0x40051340, v64
	v_max3_f32 v48, v48, v49, v50
	v_dual_add_f32 v49, 0x40051340, v81 :: v_dual_add_f32 v50, 0x40051340, v82
	s_delay_alu instid0(VALU_DEP_1) | instskip(SKIP_1) | instid1(VALU_DEP_1)
	v_max3_f32 v48, v48, v49, v50
	v_dual_add_f32 v49, 0x40051340, v80 :: v_dual_add_f32 v50, 0x40051340, v79
	v_max3_f32 v48, v48, v49, v50
	;; [unrolled: 5-line block ×3, first 2 shown]
	scratch_load_b32 v49, off, off offset:336 ; 4-byte Folded Reload
	s_waitcnt vmcnt(0)
	v_cndmask_b32_e32 v49, v49, v119, vcc_lo
	s_delay_alu instid0(VALU_DEP_1) | instskip(SKIP_3) | instid1(VALU_DEP_1)
	v_lshlrev_b32_e32 v72, 2, v49
	ds_bpermute_b32 v49, v72, v48
	s_waitcnt lgkmcnt(0)
	v_max_f32_e32 v49, v49, v49
	v_max_f32_e32 v73, v48, v49
	s_delay_alu instid0(VALU_DEP_1) | instskip(NEXT) | instid1(VALU_DEP_1)
	v_sub_f32_e32 v48, v237, v73
	v_mul_f32_e32 v49, 0x3fb8aa3b, v48
	v_cmp_ngt_f32_e32 vcc_lo, 0xc2ce8ed0, v48
	s_delay_alu instid0(VALU_DEP_2) | instskip(SKIP_1) | instid1(VALU_DEP_1)
	v_fma_f32 v50, 0x3fb8aa3b, v48, -v49
	v_rndne_f32_e32 v51, v49
	v_dual_fmac_f32 v50, 0x32a5705f, v48 :: v_dual_sub_f32 v49, v49, v51
	v_sub_f32_e32 v64, v64, v73
	s_delay_alu instid0(VALU_DEP_2) | instskip(SKIP_1) | instid1(VALU_DEP_2)
	v_dual_sub_f32 v74, v74, v73 :: v_dual_add_f32 v49, v49, v50
	v_cvt_i32_f32_e32 v50, v51
	v_exp_f32_e32 v49, v49
	s_waitcnt_depctr 0xfff
	v_ldexp_f32 v49, v49, v50
	s_delay_alu instid0(VALU_DEP_1) | instskip(SKIP_1) | instid1(VALU_DEP_2)
	v_cndmask_b32_e32 v49, 0, v49, vcc_lo
	v_cmp_nlt_f32_e32 vcc_lo, 0x42b17218, v48
	v_cndmask_b32_e32 v49, 0x7f800000, v49, vcc_lo
	v_cmp_le_f32_e32 vcc_lo, 0xc1a00000, v48
	s_delay_alu instid0(VALU_DEP_2) | instskip(SKIP_2) | instid1(VALU_DEP_1)
	v_cndmask_b32_e32 v78, 0, v49, vcc_lo
	s_addc_u32 s5, vcc_hi, s5
	s_cmp_lg_u64 s[82:83], 0
	v_mul_f32_e32 v48, v56, v78
	v_add_co_u32 v56, vcc_lo, s4, v210
	v_mul_f32_e32 v49, v57, v78
	v_add_co_ci_u32_e32 v57, vcc_lo, s5, v211, vcc_lo
	s_delay_alu instid0(VALU_DEP_3) | instskip(SKIP_1) | instid1(VALU_DEP_3)
	v_add_co_u32 v56, vcc_lo, v56, v222
	v_mul_f32_e32 v50, v58, v78
	v_add_co_ci_u32_e32 v57, vcc_lo, 0, v57, vcc_lo
	v_add_co_u32 v58, vcc_lo, s4, v212
	v_mul_f32_e32 v51, v59, v78
	v_add_co_ci_u32_e32 v59, vcc_lo, s5, v213, vcc_lo
	v_mul_f32_e32 v52, v60, v78
	s_delay_alu instid0(VALU_DEP_4) | instskip(SKIP_1) | instid1(VALU_DEP_4)
	v_add_co_u32 v60, vcc_lo, v58, v254
	v_mul_f32_e32 v53, v61, v78
	v_add_co_ci_u32_e32 v61, vcc_lo, 0, v59, vcc_lo
	v_mul_f32_e32 v54, v62, v78
	v_mul_f32_e32 v55, v63, v78
	s_clause 0x1
	global_load_b128 v[56:59], v[56:57], off offset:192
	global_load_b128 v[60:63], v[60:61], off offset:128
	s_waitcnt vmcnt(1)
	ds_store_b128 v233, v[56:59]
	v_add_co_u32 v56, vcc_lo, s4, v170
	v_add_co_ci_u32_e32 v57, vcc_lo, s5, v171, vcc_lo
	s_delay_alu instid0(VALU_DEP_2) | instskip(NEXT) | instid1(VALU_DEP_2)
	v_add_co_u32 v56, vcc_lo, v56, v254
	v_add_co_ci_u32_e32 v57, vcc_lo, 0, v57, vcc_lo
	v_add_co_u32 v58, vcc_lo, s4, v181
	v_add_co_ci_u32_e32 v59, vcc_lo, s5, v182, vcc_lo
	s_delay_alu instid0(VALU_DEP_2) | instskip(NEXT) | instid1(VALU_DEP_2)
	v_add_co_u32 v83, vcc_lo, v58, v215
	v_add_co_ci_u32_e32 v84, vcc_lo, 0, v59, vcc_lo
	s_clause 0x1
	global_load_b128 v[56:59], v[56:57], off offset:128
	global_load_b128 v[83:86], v[83:84], off
	s_waitcnt vmcnt(2)
	ds_store_b128 v242, v[60:63]
	s_waitcnt vmcnt(1)
	ds_store_b128 v208, v[56:59]
	v_add_co_u32 v56, vcc_lo, s4, v229
	v_add_co_ci_u32_e32 v57, vcc_lo, s5, v230, vcc_lo
	s_delay_alu instid0(VALU_DEP_2) | instskip(NEXT) | instid1(VALU_DEP_2)
	v_add_co_u32 v56, vcc_lo, v56, v215
	v_add_co_ci_u32_e32 v57, vcc_lo, 0, v57, vcc_lo
	v_add_co_u32 v58, vcc_lo, s4, v225
	v_add_co_ci_u32_e32 v59, vcc_lo, s5, v226, vcc_lo
	s_delay_alu instid0(VALU_DEP_2) | instskip(NEXT) | instid1(VALU_DEP_2)
	v_add_co_u32 v60, vcc_lo, v58, v215
	v_add_co_ci_u32_e32 v61, vcc_lo, 0, v59, vcc_lo
	s_clause 0x1
	global_load_b128 v[56:59], v[56:57], off
	global_load_b128 v[60:63], v[60:61], off
	s_waitcnt vmcnt(2)
	ds_store_b128 v243, v[83:86]
	s_waitcnt vmcnt(1)
	ds_store_b128 v113, v[56:59]
	v_add_co_u32 v56, vcc_lo, s4, v246
	v_add_co_ci_u32_e32 v57, vcc_lo, s5, v247, vcc_lo
	v_cmp_eq_u32_e64 s5, 0, v234
	s_delay_alu instid0(VALU_DEP_3) | instskip(NEXT) | instid1(VALU_DEP_3)
	v_add_co_u32 v56, vcc_lo, v56, v215
	v_add_co_ci_u32_e32 v57, vcc_lo, 0, v57, vcc_lo
	global_load_b128 v[56:59], v[56:57], off
	s_waitcnt vmcnt(1)
	ds_store_b128 v204, v[60:63]
	s_waitcnt vmcnt(0)
	ds_store_b128 v228, v[56:59]
	scratch_load_b32 v237, off, off offset:232 ; 4-byte Folded Reload
	v_sub_f32_e32 v56, v71, v73
	s_waitcnt vmcnt(0) lgkmcnt(0)
	s_barrier
	buffer_gl0_inv
	v_mul_f32_e32 v57, 0x3fb8aa3b, v56
	v_cmp_ngt_f32_e32 vcc_lo, 0xc2ce8ed0, v56
	v_mul_f32_e32 v43, v43, v78
	v_mul_f32_e32 v46, v46, v78
	;; [unrolled: 1-line block ×3, first 2 shown]
	v_fma_f32 v58, 0x3fb8aa3b, v56, -v57
	v_rndne_f32_e32 v59, v57
	v_mul_f32_e32 v28, v28, v78
	v_mul_f32_e32 v16, v16, v78
	s_delay_alu instid0(VALU_DEP_4) | instskip(NEXT) | instid1(VALU_DEP_4)
	v_dual_mul_f32 v19, v19, v78 :: v_dual_fmac_f32 v58, 0x32a5705f, v56
	v_sub_f32_e32 v57, v57, v59
	v_cvt_i32_f32_e32 v59, v59
	v_mul_f32_e32 v21, v21, v78
	v_mul_f32_e32 v13, v13, v78
	;; [unrolled: 1-line block ×3, first 2 shown]
	v_dual_add_f32 v57, v57, v58 :: v_dual_sub_f32 v58, v70, v73
	v_mul_f32_e32 v14, v14, v78
	v_mul_f32_e32 v0, v0, v78
	;; [unrolled: 1-line block ×3, first 2 shown]
	s_delay_alu instid0(VALU_DEP_4)
	v_exp_f32_e32 v57, v57
	v_mul_f32_e32 v60, 0x3fb8aa3b, v58
	v_cmp_ngt_f32_e64 s4, 0xc2ce8ed0, v58
	v_mul_f32_e32 v4, v4, v78
	v_mul_f32_e32 v6, v6, v78
	v_mul_f32_e32 v1, v1, v78
	v_fma_f32 v61, 0x3fb8aa3b, v58, -v60
	v_rndne_f32_e32 v62, v60
	v_mul_f32_e32 v3, v3, v78
	v_mul_f32_e32 v5, v5, v78
	v_ldexp_f32 v57, v57, v59
	v_fmac_f32_e32 v61, 0x32a5705f, v58
	v_sub_f32_e32 v60, v60, v62
	v_mul_f32_e32 v40, v40, v78
	v_mul_f32_e32 v7, v7, v78
	v_cndmask_b32_e32 v57, 0, v57, vcc_lo
	v_cmp_nlt_f32_e32 vcc_lo, 0x42b17218, v56
	v_dual_add_f32 v60, v60, v61 :: v_dual_mul_f32 v41, v41, v78
	s_delay_alu instid0(VALU_DEP_3) | instskip(NEXT) | instid1(VALU_DEP_2)
	v_cndmask_b32_e32 v84, 0x7f800000, v57, vcc_lo
	v_exp_f32_e32 v59, v60
	v_cvt_i32_f32_e32 v60, v62
	s_waitcnt_depctr 0xfff
	v_ldexp_f32 v59, v59, v60
	s_delay_alu instid0(VALU_DEP_1)
	v_cndmask_b32_e64 v56, 0, v59, s4
	v_cmp_nlt_f32_e64 s4, 0x42b17218, v58
	ds_bpermute_b32 v58, v72, v84
	v_cndmask_b32_e64 v83, 0x7f800000, v56, s4
	ds_bpermute_b32 v56, v72, v83
	v_cmp_eq_u32_e32 vcc_lo, 1, v237
	v_cmp_eq_u32_e64 s4, 0, v237
	v_mul_f32_e32 v45, v45, v78
	s_waitcnt lgkmcnt(0)
	s_delay_alu instid0(VALU_DEP_2) | instskip(SKIP_1) | instid1(VALU_DEP_2)
	v_cndmask_b32_e64 v57, v83, v56, s4
	v_cndmask_b32_e32 v56, v83, v56, vcc_lo
	v_cndmask_b32_e64 v59, v57, v84, s5
	s_delay_alu instid0(VALU_DEP_2) | instskip(SKIP_2) | instid1(VALU_DEP_4)
	v_cndmask_b32_e64 v60, v56, v84, s6
	v_cvt_f16_f32_e32 v57, v57
	v_cvt_f16_f32_e32 v56, v56
	v_cndmask_b32_e64 v59, v59, v58, s4
	s_delay_alu instid0(VALU_DEP_4) | instskip(NEXT) | instid1(VALU_DEP_3)
	v_cndmask_b32_e32 v58, v60, v58, vcc_lo
	v_pack_b32_f16 v56, v57, v56
	s_delay_alu instid0(VALU_DEP_3) | instskip(NEXT) | instid1(VALU_DEP_3)
	v_cvt_f16_f32_e32 v60, v59
	v_cvt_f16_f32_e32 v61, v58
	s_delay_alu instid0(VALU_DEP_1) | instskip(SKIP_1) | instid1(VALU_DEP_1)
	v_pack_b32_f16 v57, v60, v61
	v_sub_f32_e32 v60, v69, v73
	v_dual_mul_f32 v42, v42, v78 :: v_dual_mul_f32 v61, 0x3fb8aa3b, v60
	v_cmp_ngt_f32_e64 s7, 0xc2ce8ed0, v60
	s_delay_alu instid0(VALU_DEP_2) | instskip(SKIP_2) | instid1(VALU_DEP_3)
	v_fma_f32 v62, 0x3fb8aa3b, v60, -v61
	v_rndne_f32_e32 v63, v61
	v_mul_f32_e32 v44, v44, v78
	v_dual_mul_f32 v47, v47, v78 :: v_dual_fmac_f32 v62, 0x32a5705f, v60
	s_delay_alu instid0(VALU_DEP_3) | instskip(NEXT) | instid1(VALU_DEP_1)
	v_sub_f32_e32 v61, v61, v63
	v_add_f32_e32 v61, v61, v62
	v_cvt_i32_f32_e32 v62, v63
	s_delay_alu instid0(VALU_DEP_2) | instskip(SKIP_2) | instid1(VALU_DEP_1)
	v_exp_f32_e32 v61, v61
	s_waitcnt_depctr 0xfff
	v_ldexp_f32 v61, v61, v62
	v_cndmask_b32_e64 v61, 0, v61, s7
	v_cmp_nlt_f32_e64 s7, 0x42b17218, v60
	s_delay_alu instid0(VALU_DEP_1)
	v_cndmask_b32_e64 v85, 0x7f800000, v61, s7
	ds_bpermute_b32 v60, v72, v85
	v_cndmask_b32_e64 v59, v59, v85, s5
	v_cndmask_b32_e64 v58, v58, v85, s6
	v_mul_f32_e32 v33, v33, v78
	s_waitcnt lgkmcnt(0)
	s_delay_alu instid0(VALU_DEP_3) | instskip(NEXT) | instid1(VALU_DEP_3)
	v_cndmask_b32_e64 v59, v59, v60, s4
	v_cndmask_b32_e32 v60, v58, v60, vcc_lo
	s_delay_alu instid0(VALU_DEP_2) | instskip(NEXT) | instid1(VALU_DEP_2)
	v_cvt_f16_f32_e32 v58, v59
	v_cvt_f16_f32_e32 v61, v60
	s_delay_alu instid0(VALU_DEP_1) | instskip(SKIP_1) | instid1(VALU_DEP_1)
	v_pack_b32_f16 v58, v58, v61
	v_sub_f32_e32 v61, v68, v73
	v_dual_mul_f32 v35, v35, v78 :: v_dual_mul_f32 v62, 0x3fb8aa3b, v61
	v_cmp_ngt_f32_e64 s7, 0xc2ce8ed0, v61
	s_delay_alu instid0(VALU_DEP_2) | instskip(SKIP_3) | instid1(VALU_DEP_3)
	v_fma_f32 v63, 0x3fb8aa3b, v61, -v62
	v_rndne_f32_e32 v68, v62
	v_mul_f32_e32 v32, v32, v78
	v_mul_f32_e32 v37, v37, v78
	v_dual_fmac_f32 v63, 0x32a5705f, v61 :: v_dual_sub_f32 v62, v62, v68
	s_delay_alu instid0(VALU_DEP_1) | instskip(SKIP_1) | instid1(VALU_DEP_2)
	v_dual_mul_f32 v39, v39, v78 :: v_dual_add_f32 v62, v62, v63
	v_cvt_i32_f32_e32 v63, v68
	v_exp_f32_e32 v62, v62
	s_waitcnt_depctr 0xfff
	v_ldexp_f32 v62, v62, v63
	s_delay_alu instid0(VALU_DEP_1) | instskip(SKIP_1) | instid1(VALU_DEP_1)
	v_cndmask_b32_e64 v62, 0, v62, s7
	v_cmp_nlt_f32_e64 s7, 0x42b17218, v61
	v_cndmask_b32_e64 v86, 0x7f800000, v62, s7
	ds_bpermute_b32 v61, v72, v86
	v_cndmask_b32_e64 v59, v59, v86, s5
	v_cndmask_b32_e64 v60, v60, v86, s6
	s_waitcnt lgkmcnt(0)
	s_delay_alu instid0(VALU_DEP_1) | instskip(NEXT) | instid1(VALU_DEP_3)
	v_dual_mul_f32 v25, v25, v78 :: v_dual_cndmask_b32 v60, v60, v61
	v_cndmask_b32_e64 v62, v59, v61, s4
	s_delay_alu instid0(VALU_DEP_2) | instskip(NEXT) | instid1(VALU_DEP_2)
	v_cvt_f16_f32_e32 v61, v60
	v_cvt_f16_f32_e32 v59, v62
	s_delay_alu instid0(VALU_DEP_1) | instskip(SKIP_1) | instid1(VALU_DEP_1)
	v_pack_b32_f16 v59, v59, v61
	v_dual_sub_f32 v61, v67, v73 :: v_dual_mul_f32 v36, v36, v78
	v_mul_f32_e32 v63, 0x3fb8aa3b, v61
	v_cmp_ngt_f32_e64 s7, 0xc2ce8ed0, v61
	s_delay_alu instid0(VALU_DEP_2) | instskip(SKIP_2) | instid1(VALU_DEP_3)
	v_fma_f32 v67, 0x3fb8aa3b, v61, -v63
	v_rndne_f32_e32 v68, v63
	v_mul_f32_e32 v38, v38, v78
	v_dual_mul_f32 v24, v24, v78 :: v_dual_fmac_f32 v67, 0x32a5705f, v61
	s_delay_alu instid0(VALU_DEP_3) | instskip(NEXT) | instid1(VALU_DEP_1)
	v_dual_sub_f32 v63, v63, v68 :: v_dual_mul_f32 v26, v26, v78
	v_add_f32_e32 v63, v63, v67
	v_cvt_i32_f32_e32 v67, v68
	s_delay_alu instid0(VALU_DEP_2) | instskip(SKIP_2) | instid1(VALU_DEP_1)
	v_exp_f32_e32 v63, v63
	s_waitcnt_depctr 0xfff
	v_ldexp_f32 v63, v63, v67
	v_cndmask_b32_e64 v63, 0, v63, s7
	v_cmp_nlt_f32_e64 s7, 0x42b17218, v61
	s_delay_alu instid0(VALU_DEP_1) | instskip(NEXT) | instid1(VALU_DEP_1)
	v_cndmask_b32_e64 v87, 0x7f800000, v63, s7
	v_cndmask_b32_e64 v61, v62, v87, s5
	ds_bpermute_b32 v62, v72, v87
	v_cndmask_b32_e64 v60, v60, v87, s6
	s_waitcnt lgkmcnt(0)
	v_cndmask_b32_e64 v61, v61, v62, s4
	s_delay_alu instid0(VALU_DEP_2) | instskip(NEXT) | instid1(VALU_DEP_2)
	v_cndmask_b32_e32 v62, v60, v62, vcc_lo
	v_cvt_f16_f32_e32 v60, v61
	s_delay_alu instid0(VALU_DEP_2) | instskip(NEXT) | instid1(VALU_DEP_1)
	v_cvt_f16_f32_e32 v63, v62
	v_pack_b32_f16 v60, v60, v63
	v_sub_f32_e32 v63, v66, v73
	s_delay_alu instid0(VALU_DEP_1) | instskip(SKIP_1) | instid1(VALU_DEP_2)
	v_dual_mul_f32 v27, v27, v78 :: v_dual_mul_f32 v66, 0x3fb8aa3b, v63
	v_cmp_ngt_f32_e64 s7, 0xc2ce8ed0, v63
	v_fma_f32 v67, 0x3fb8aa3b, v63, -v66
	v_rndne_f32_e32 v68, v66
	v_mul_f32_e32 v29, v29, v78
	s_delay_alu instid0(VALU_DEP_3) | instskip(NEXT) | instid1(VALU_DEP_3)
	v_dual_mul_f32 v30, v30, v78 :: v_dual_fmac_f32 v67, 0x32a5705f, v63
	v_dual_sub_f32 v66, v66, v68 :: v_dual_mul_f32 v31, v31, v78
	s_delay_alu instid0(VALU_DEP_1) | instskip(SKIP_1) | instid1(VALU_DEP_2)
	v_add_f32_e32 v66, v66, v67
	v_cvt_i32_f32_e32 v67, v68
	v_exp_f32_e32 v66, v66
	s_waitcnt_depctr 0xfff
	v_ldexp_f32 v66, v66, v67
	s_delay_alu instid0(VALU_DEP_1) | instskip(SKIP_1) | instid1(VALU_DEP_1)
	v_cndmask_b32_e64 v66, 0, v66, s7
	v_cmp_nlt_f32_e64 s7, 0x42b17218, v63
	v_cndmask_b32_e64 v88, 0x7f800000, v66, s7
	ds_bpermute_b32 v63, v72, v88
	v_cndmask_b32_e64 v61, v61, v88, s5
	v_cndmask_b32_e64 v62, v62, v88, s6
	s_waitcnt lgkmcnt(0)
	s_delay_alu instid0(VALU_DEP_1) | instskip(NEXT) | instid1(VALU_DEP_3)
	v_dual_mul_f32 v17, v17, v78 :: v_dual_cndmask_b32 v62, v62, v63
	v_cndmask_b32_e64 v66, v61, v63, s4
	s_delay_alu instid0(VALU_DEP_2) | instskip(NEXT) | instid1(VALU_DEP_2)
	v_cvt_f16_f32_e32 v63, v62
	v_cvt_f16_f32_e32 v61, v66
	s_delay_alu instid0(VALU_DEP_1) | instskip(SKIP_1) | instid1(VALU_DEP_1)
	v_pack_b32_f16 v61, v61, v63
	v_dual_sub_f32 v63, v65, v73 :: v_dual_mul_f32 v18, v18, v78
	v_mul_f32_e32 v65, 0x3fb8aa3b, v63
	v_cmp_ngt_f32_e64 s7, 0xc2ce8ed0, v63
	s_delay_alu instid0(VALU_DEP_2) | instskip(SKIP_2) | instid1(VALU_DEP_3)
	v_fma_f32 v67, 0x3fb8aa3b, v63, -v65
	v_rndne_f32_e32 v68, v65
	v_mul_f32_e32 v20, v20, v78
	v_dual_mul_f32 v22, v22, v78 :: v_dual_fmac_f32 v67, 0x32a5705f, v63
	s_delay_alu instid0(VALU_DEP_3) | instskip(NEXT) | instid1(VALU_DEP_1)
	v_dual_sub_f32 v65, v65, v68 :: v_dual_mul_f32 v8, v8, v78
	v_add_f32_e32 v65, v65, v67
	v_cvt_i32_f32_e32 v67, v68
	s_delay_alu instid0(VALU_DEP_2) | instskip(SKIP_2) | instid1(VALU_DEP_1)
	v_exp_f32_e32 v65, v65
	s_waitcnt_depctr 0xfff
	v_ldexp_f32 v65, v65, v67
	v_cndmask_b32_e64 v65, 0, v65, s7
	v_cmp_nlt_f32_e64 s7, 0x42b17218, v63
	s_delay_alu instid0(VALU_DEP_1)
	v_cndmask_b32_e64 v89, 0x7f800000, v65, s7
	v_cmp_ngt_f32_e64 s7, 0xc2ce8ed0, v64
	ds_bpermute_b32 v65, v72, v89
	v_cndmask_b32_e64 v63, v66, v89, s5
	v_cndmask_b32_e64 v62, v62, v89, s6
	v_mul_f32_e32 v12, v12, v78
	s_waitcnt lgkmcnt(0)
	s_delay_alu instid0(VALU_DEP_3) | instskip(NEXT) | instid1(VALU_DEP_3)
	v_cndmask_b32_e64 v63, v63, v65, s4
	v_cndmask_b32_e32 v65, v62, v65, vcc_lo
	s_delay_alu instid0(VALU_DEP_2) | instskip(NEXT) | instid1(VALU_DEP_2)
	v_cvt_f16_f32_e32 v62, v63
	v_cvt_f16_f32_e32 v66, v65
	s_delay_alu instid0(VALU_DEP_1) | instskip(SKIP_1) | instid1(VALU_DEP_1)
	v_pack_b32_f16 v62, v62, v66
	v_mul_f32_e32 v66, 0x3fb8aa3b, v64
	v_fma_f32 v67, 0x3fb8aa3b, v64, -v66
	v_rndne_f32_e32 v68, v66
	v_mul_f32_e32 v23, v23, v78
	s_delay_alu instid0(VALU_DEP_3) | instskip(NEXT) | instid1(VALU_DEP_3)
	v_dual_mul_f32 v10, v10, v78 :: v_dual_fmac_f32 v67, 0x32a5705f, v64
	v_dual_sub_f32 v66, v66, v68 :: v_dual_mul_f32 v9, v9, v78
	s_delay_alu instid0(VALU_DEP_1) | instskip(SKIP_1) | instid1(VALU_DEP_2)
	v_add_f32_e32 v66, v66, v67
	v_cvt_i32_f32_e32 v67, v68
	v_exp_f32_e32 v66, v66
	s_waitcnt_depctr 0xfff
	v_ldexp_f32 v66, v66, v67
	s_delay_alu instid0(VALU_DEP_1) | instskip(SKIP_1) | instid1(VALU_DEP_1)
	v_cndmask_b32_e64 v66, 0, v66, s7
	v_cmp_nlt_f32_e64 s7, 0x42b17218, v64
	v_cndmask_b32_e64 v90, 0x7f800000, v66, s7
	ds_load_u16 v66, v240 offset:960
	ds_load_u16 v67, v240 offset:1440
	;; [unrolled: 1-line block ×53, first 2 shown]
	v_cndmask_b32_e64 v64, v65, v90, s6
	ds_bpermute_b32 v65, v72, v90
	v_cndmask_b32_e64 v63, v63, v90, s5
	s_waitcnt lgkmcnt(0)
	v_dual_mul_f32 v11, v11, v78 :: v_dual_cndmask_b32 v64, v64, v65
	s_delay_alu instid0(VALU_DEP_2) | instskip(SKIP_1) | instid1(VALU_DEP_3)
	v_cndmask_b32_e64 v63, v63, v65, s4
	v_add_nc_u32_e32 v65, 0x60, v249
	v_cvt_f16_f32_e32 v64, v64
	s_delay_alu instid0(VALU_DEP_3) | instskip(NEXT) | instid1(VALU_DEP_1)
	v_cvt_f16_f32_e32 v63, v63
	v_pack_b32_f16 v63, v63, v64
	ds_load_u16_d16_hi v115, v240 offset:8400
	ds_load_u16_d16_hi v117, v240 offset:9360
	;; [unrolled: 1-line block ×4, first 2 shown]
	ds_load_u16 v165, v249 offset:1440
	ds_load_u16 v166, v249 offset:1920
	ds_load_u16_d16_hi v68, v249 offset:2192
	ds_load_u16 v167, v249 offset:2400
	ds_load_u16_d16_hi v69, v249 offset:2672
	;; [unrolled: 2-line block ×5, first 2 shown]
	ds_load_u16 v193, v244 offset:960
	ds_load_u16 v194, v244 offset:1440
	ds_load_u16 v195, v244 offset:1920
	ds_load_u16 v196, v244 offset:2400
	ds_load_u16 v197, v244 offset:2880
	ds_load_u16 v198, v244 offset:3360
	ds_load_u16_d16_hi v123, v244 offset:8400
	ds_load_u16_d16_hi v126, v244 offset:9840
	ds_load_u16 v162, v249
	ds_load_u16 v64, v249 offset:32
	ds_load_u16 v191, v249 offset:64
	ds_load_u16 v199, v249 offset:96
	ds_load_u16 v201, v65 offset:960
	v_add_nc_u32_e32 v65, 0x60, v249
	ds_load_u16 v202, v65 offset:1440
	v_add_nc_u32_e32 v65, 0x60, v249
	ds_load_u16 v203, v65 offset:1920
	;; [unrolled: 2-line block ×5, first 2 shown]
	v_add_nc_u32_e32 v65, 0x60, v249
	ds_load_u16_d16_hi v131, v65 offset:8400
	v_add_nc_u32_e32 v65, 0x60, v249
	ds_load_u16_d16_hi v134, v65 offset:9840
	ds_load_u16 v102, v146 offset:1440
	ds_load_u16 v103, v146 offset:1920
	;; [unrolled: 1-line block ×5, first 2 shown]
	ds_load_u16_d16_hi v139, v146 offset:8400
	ds_load_u16_d16_hi v142, v146 offset:9840
	ds_load_u16 v95, v154 offset:1920
	ds_load_u16 v96, v154 offset:2400
	;; [unrolled: 1-line block ×4, first 2 shown]
	ds_load_u16_d16_hi v147, v154 offset:8400
	ds_load_u16_d16_hi v150, v154 offset:9840
	s_waitcnt lgkmcnt(34)
	ds_load_u16_d16_hi v164, v249 offset:1200
	s_waitcnt lgkmcnt(33)
	;; [unrolled: 2-line block ×3, first 2 shown]
	ds_load_u16_d16_hi v201, v249 offset:1296
	ds_load_u16_d16_hi v101, v249 offset:1328
	;; [unrolled: 1-line block ×6, first 2 shown]
	s_waitcnt lgkmcnt(27)
	ds_load_u16_d16_hi v202, v249 offset:1776
	s_waitcnt lgkmcnt(21)
	ds_load_u16_d16_hi v102, v249 offset:1808
	ds_load_u16_d16_hi v94, v249 offset:1840
	ds_load_u16 v112, v184 offset:2400
	ds_load_u16 v113, v184 offset:2880
	;; [unrolled: 1-line block ×3, first 2 shown]
	ds_load_u16_d16_hi v155, v184 offset:8400
	ds_load_u16_d16_hi v158, v184 offset:9840
	;; [unrolled: 1-line block ×7, first 2 shown]
	s_waitcnt lgkmcnt(32)
	ds_load_u16_d16_hi v103, v249 offset:2288
	s_waitcnt lgkmcnt(27)
	ds_load_u16_d16_hi v95, v249 offset:2320
	ds_load_u16 v163, v249 offset:480
	ds_load_u16 v107, v249 offset:192
	ds_load_u16_d16_hi v111, v249 offset:2352
	ds_load_u16_d16_hi v167, v249 offset:2640
	ds_load_u16_d16_hi v196, v249 offset:2704
	ds_load_u16_d16_hi v204, v249 offset:2736
	ds_load_u16_d16_hi v104, v249 offset:2768
	s_waitcnt lgkmcnt(34)
	ds_load_u16_d16_hi v96, v249 offset:2800
	s_waitcnt lgkmcnt(19)
	ds_load_u16_d16_hi v112, v249 offset:2832
	ds_load_u16_d16_hi v168, v249 offset:3120
	;; [unrolled: 1-line block ×6, first 2 shown]
	s_waitcnt lgkmcnt(24)
	ds_load_u16_d16_hi v113, v249 offset:3312
	ds_load_u16_d16_hi v169, v249 offset:3600
	;; [unrolled: 1-line block ×8, first 2 shown]
	s_waitcnt lgkmcnt(21)
	ds_load_u16_d16_hi v163, v249 offset:720
	s_waitcnt lgkmcnt(21)
	ds_load_u16_d16_hi v107, v249 offset:432
	ds_load_u16 v208, v200 offset:480
	ds_load_u16 v209, v200 offset:960
	ds_load_u16 v210, v200 offset:1440
	ds_load_u16 v211, v200 offset:1920
	ds_load_u16 v212, v200 offset:2400
	ds_load_u16 v213, v200 offset:2880
	ds_load_u16 v214, v200 offset:3360
	ds_load_u16_d16_hi v198, v249 offset:3664
	ds_load_u16_d16_hi v206, v249 offset:3696
	;; [unrolled: 1-line block ×5, first 2 shown]
	ds_load_u16 v207, v249 offset:7680
	s_waitcnt lgkmcnt(14)
	v_wmma_f32_16x16x16_f16 v[48:55], v[162:169], v[56:63], v[48:55]
	v_add_nc_u32_e32 v168, 0x60, v249
	s_waitcnt lgkmcnt(12)
	ds_load_u16_d16_hi v208, v249 offset:8400
	ds_load_u16 v65, v240 offset:480
	ds_load_u16 v192, v244 offset:480
	;; [unrolled: 1-line block ×6, first 2 shown]
	s_waitcnt lgkmcnt(5)
	ds_load_u16_d16_hi v65, v249 offset:752
	s_waitcnt lgkmcnt(5)
	ds_load_u16_d16_hi v192, v249 offset:784
	s_waitcnt lgkmcnt(5)
	ds_load_u16_d16_hi v200, v249 offset:816
	s_waitcnt lgkmcnt(5)
	ds_load_u16_d16_hi v100, v249 offset:848
	s_waitcnt lgkmcnt(5)
	ds_load_u16_d16_hi v92, v249 offset:880
	v_wmma_f32_16x16x16_f16 v[0:7], v[107:114], v[56:63], v[0:7]
	s_waitcnt lgkmcnt(4)
	v_wmma_f32_16x16x16_f16 v[40:47], v[64:71], v[56:63], v[40:47]
	s_waitcnt lgkmcnt(3)
	v_wmma_f32_16x16x16_f16 v[32:39], v[191:198], v[56:63], v[32:39]
	ds_load_u16_d16_hi v207, v249 offset:7920
	ds_load_u16_d16_hi v209, v249 offset:8880
	;; [unrolled: 1-line block ×7, first 2 shown]
	ds_load_u16 v114, v240 offset:7680
	s_waitcnt lgkmcnt(0)
	ds_load_u16_d16_hi v114, v240 offset:7920
	ds_load_u16_d16_hi v116, v240 offset:8880
	;; [unrolled: 1-line block ×6, first 2 shown]
	ds_load_u16 v122, v244 offset:7680
	ds_load_u16_d16_hi v124, v244 offset:8880
	v_wmma_f32_16x16x16_f16 v[24:31], v[199:206], v[56:63], v[24:31]
	v_wmma_f32_16x16x16_f16 v[16:23], v[99:106], v[56:63], v[16:23]
	;; [unrolled: 1-line block ×3, first 2 shown]
	v_sub_f32_e32 v56, v82, v73
	s_waitcnt lgkmcnt(1)
	ds_load_u16_d16_hi v122, v244 offset:7920
	ds_load_u16_d16_hi v125, v244 offset:9360
	;; [unrolled: 1-line block ×5, first 2 shown]
	ds_load_u16 v130, v168 offset:7680
	ds_load_u16_d16_hi v132, v168 offset:8880
	ds_load_u16_d16_hi v135, v168 offset:10320
	v_mul_f32_e32 v57, 0x3fb8aa3b, v56
	v_cmp_ngt_f32_e64 s7, 0xc2ce8ed0, v56
	s_waitcnt lgkmcnt(2)
	ds_load_u16_d16_hi v130, v168 offset:7920
	ds_load_u16_d16_hi v133, v168 offset:9360
	;; [unrolled: 1-line block ×4, first 2 shown]
	ds_load_u16 v138, v146 offset:7680
	ds_load_u16_d16_hi v140, v146 offset:8880
	ds_load_u16_d16_hi v143, v146 offset:10320
	;; [unrolled: 1-line block ×3, first 2 shown]
	v_fma_f32 v58, 0x3fb8aa3b, v56, -v57
	v_rndne_f32_e32 v59, v57
	s_waitcnt lgkmcnt(3)
	ds_load_u16_d16_hi v138, v146 offset:7920
	ds_load_u16_d16_hi v141, v146 offset:9360
	;; [unrolled: 1-line block ×3, first 2 shown]
	ds_load_u16 v146, v154 offset:7680
	ds_load_u16_d16_hi v148, v154 offset:8880
	ds_load_u16_d16_hi v151, v154 offset:10320
	;; [unrolled: 1-line block ×3, first 2 shown]
	v_dual_fmac_f32 v58, 0x32a5705f, v56 :: v_dual_sub_f32 v57, v57, v59
	v_cvt_i32_f32_e32 v59, v59
	ds_load_u16 v149, v220 offset:1440
	ds_load_u16 v159, v221 offset:2400
	s_waitcnt lgkmcnt(5)
	ds_load_u16_d16_hi v146, v154 offset:7920
	v_add_f32_e32 v57, v57, v58
	v_sub_f32_e32 v58, v81, v73
	s_waitcnt lgkmcnt(2)
	ds_load_u16_d16_hi v149, v154 offset:9360
	ds_load_u16_d16_hi v152, v154 offset:10800
	ds_load_u16 v154, v184 offset:7680
	ds_load_u16_d16_hi v156, v184 offset:8880
	s_waitcnt lgkmcnt(5)
	ds_load_u16_d16_hi v159, v184 offset:10320
	v_mul_f32_e32 v60, 0x3fb8aa3b, v58
	v_exp_f32_e32 v57, v57
	v_cmp_ngt_f32_e64 s8, 0xc2ce8ed0, v58
	ds_load_u16 v157, v221 offset:1440
	s_waitcnt lgkmcnt(3)
	ds_load_u16_d16_hi v154, v184 offset:7920
	v_fma_f32 v61, 0x3fb8aa3b, v58, -v60
	v_rndne_f32_e32 v62, v60
	v_ldexp_f32 v57, v57, v59
	s_waitcnt lgkmcnt(1)
	ds_load_u16_d16_hi v157, v184 offset:9360
	ds_load_u16_d16_hi v160, v184 offset:10800
	v_fmac_f32_e32 v61, 0x32a5705f, v58
	v_sub_f32_e32 v60, v60, v62
	v_cndmask_b32_e64 v57, 0, v57, s7
	v_cmp_nlt_f32_e64 s7, 0x42b17218, v56
	s_waitcnt lgkmcnt(0)
	s_barrier
	v_add_f32_e32 v60, v60, v61
	buffer_gl0_inv
	v_cndmask_b32_e64 v65, 0x7f800000, v57, s7
	v_exp_f32_e32 v59, v60
	v_cvt_i32_f32_e32 v60, v62
	s_waitcnt_depctr 0xfff
	v_ldexp_f32 v59, v59, v60
	s_delay_alu instid0(VALU_DEP_1)
	v_cndmask_b32_e64 v56, 0, v59, s8
	v_cmp_nlt_f32_e64 s8, 0x42b17218, v58
	ds_bpermute_b32 v58, v72, v65
	v_cndmask_b32_e64 v64, 0x7f800000, v56, s8
	ds_bpermute_b32 v56, v72, v64
	s_waitcnt lgkmcnt(0)
	v_cndmask_b32_e32 v57, v64, v56, vcc_lo
	v_cndmask_b32_e64 v56, v64, v56, s4
	s_delay_alu instid0(VALU_DEP_2) | instskip(NEXT) | instid1(VALU_DEP_2)
	v_cndmask_b32_e64 v60, v57, v65, s6
	v_cndmask_b32_e64 v59, v56, v65, s5
	v_cvt_f16_f32_e32 v56, v56
	v_cvt_f16_f32_e32 v57, v57
	s_delay_alu instid0(VALU_DEP_3) | instskip(SKIP_1) | instid1(VALU_DEP_3)
	v_cndmask_b32_e64 v59, v59, v58, s4
	v_cndmask_b32_e32 v58, v60, v58, vcc_lo
	v_pack_b32_f16 v56, v56, v57
	s_delay_alu instid0(VALU_DEP_3) | instskip(NEXT) | instid1(VALU_DEP_3)
	v_cvt_f16_f32_e32 v60, v59
	v_cvt_f16_f32_e32 v61, v58
	s_delay_alu instid0(VALU_DEP_1) | instskip(SKIP_1) | instid1(VALU_DEP_1)
	v_pack_b32_f16 v57, v60, v61
	v_sub_f32_e32 v60, v80, v73
	v_mul_f32_e32 v61, 0x3fb8aa3b, v60
	v_cmp_ngt_f32_e64 s7, 0xc2ce8ed0, v60
	s_delay_alu instid0(VALU_DEP_2) | instskip(SKIP_1) | instid1(VALU_DEP_1)
	v_fma_f32 v62, 0x3fb8aa3b, v60, -v61
	v_rndne_f32_e32 v63, v61
	v_dual_fmac_f32 v62, 0x32a5705f, v60 :: v_dual_sub_f32 v61, v61, v63
	s_delay_alu instid0(VALU_DEP_1) | instskip(SKIP_1) | instid1(VALU_DEP_2)
	v_add_f32_e32 v61, v61, v62
	v_cvt_i32_f32_e32 v62, v63
	v_exp_f32_e32 v61, v61
	s_waitcnt_depctr 0xfff
	v_ldexp_f32 v61, v61, v62
	s_delay_alu instid0(VALU_DEP_1) | instskip(SKIP_1) | instid1(VALU_DEP_1)
	v_cndmask_b32_e64 v61, 0, v61, s7
	v_cmp_nlt_f32_e64 s7, 0x42b17218, v60
	v_cndmask_b32_e64 v66, 0x7f800000, v61, s7
	ds_bpermute_b32 v60, v72, v66
	v_cndmask_b32_e64 v59, v59, v66, s5
	v_cndmask_b32_e64 v58, v58, v66, s6
	s_waitcnt lgkmcnt(0)
	s_delay_alu instid0(VALU_DEP_2) | instskip(NEXT) | instid1(VALU_DEP_2)
	v_cndmask_b32_e64 v59, v59, v60, s4
	v_cndmask_b32_e32 v60, v58, v60, vcc_lo
	s_delay_alu instid0(VALU_DEP_2) | instskip(NEXT) | instid1(VALU_DEP_2)
	v_cvt_f16_f32_e32 v58, v59
	v_cvt_f16_f32_e32 v61, v60
	s_delay_alu instid0(VALU_DEP_1) | instskip(SKIP_1) | instid1(VALU_DEP_1)
	v_pack_b32_f16 v58, v58, v61
	v_sub_f32_e32 v61, v79, v73
	v_mul_f32_e32 v62, 0x3fb8aa3b, v61
	s_delay_alu instid0(VALU_DEP_1) | instskip(SKIP_1) | instid1(VALU_DEP_1)
	v_fma_f32 v63, 0x3fb8aa3b, v61, -v62
	v_rndne_f32_e32 v67, v62
	v_dual_fmac_f32 v63, 0x32a5705f, v61 :: v_dual_sub_f32 v62, v62, v67
	s_delay_alu instid0(VALU_DEP_1) | instskip(SKIP_2) | instid1(VALU_DEP_3)
	v_add_f32_e32 v62, v62, v63
	v_cvt_i32_f32_e32 v63, v67
	v_cmp_ngt_f32_e64 s7, 0xc2ce8ed0, v61
	v_exp_f32_e32 v62, v62
	s_waitcnt_depctr 0xfff
	v_ldexp_f32 v62, v62, v63
	s_delay_alu instid0(VALU_DEP_1) | instskip(SKIP_1) | instid1(VALU_DEP_1)
	v_cndmask_b32_e64 v62, 0, v62, s7
	v_cmp_nlt_f32_e64 s7, 0x42b17218, v61
	v_cndmask_b32_e64 v67, 0x7f800000, v62, s7
	ds_bpermute_b32 v61, v72, v67
	v_cndmask_b32_e64 v59, v59, v67, s5
	v_cndmask_b32_e64 v60, v60, v67, s6
	s_waitcnt lgkmcnt(0)
	s_delay_alu instid0(VALU_DEP_2) | instskip(NEXT) | instid1(VALU_DEP_2)
	v_cndmask_b32_e64 v62, v59, v61, s4
	v_cndmask_b32_e32 v60, v60, v61, vcc_lo
	s_delay_alu instid0(VALU_DEP_2) | instskip(NEXT) | instid1(VALU_DEP_2)
	v_cvt_f16_f32_e32 v59, v62
	v_cvt_f16_f32_e32 v61, v60
	s_delay_alu instid0(VALU_DEP_1) | instskip(SKIP_1) | instid1(VALU_DEP_1)
	v_pack_b32_f16 v59, v59, v61
	v_sub_f32_e32 v61, v77, v73
	v_mul_f32_e32 v63, 0x3fb8aa3b, v61
	v_cmp_ngt_f32_e64 s7, 0xc2ce8ed0, v61
	s_delay_alu instid0(VALU_DEP_2) | instskip(SKIP_1) | instid1(VALU_DEP_2)
	v_fma_f32 v68, 0x3fb8aa3b, v61, -v63
	v_rndne_f32_e32 v69, v63
	v_fmac_f32_e32 v68, 0x32a5705f, v61
	s_delay_alu instid0(VALU_DEP_2) | instskip(NEXT) | instid1(VALU_DEP_1)
	v_sub_f32_e32 v63, v63, v69
	v_add_f32_e32 v63, v63, v68
	v_cvt_i32_f32_e32 v68, v69
	s_delay_alu instid0(VALU_DEP_2) | instskip(SKIP_2) | instid1(VALU_DEP_1)
	v_exp_f32_e32 v63, v63
	s_waitcnt_depctr 0xfff
	v_ldexp_f32 v63, v63, v68
	v_cndmask_b32_e64 v63, 0, v63, s7
	v_cmp_nlt_f32_e64 s7, 0x42b17218, v61
	s_delay_alu instid0(VALU_DEP_1) | instskip(NEXT) | instid1(VALU_DEP_1)
	v_cndmask_b32_e64 v68, 0x7f800000, v63, s7
	v_cndmask_b32_e64 v61, v62, v68, s5
	ds_bpermute_b32 v62, v72, v68
	v_cndmask_b32_e64 v60, v60, v68, s6
	s_waitcnt lgkmcnt(0)
	v_cndmask_b32_e64 v61, v61, v62, s4
	s_delay_alu instid0(VALU_DEP_2) | instskip(NEXT) | instid1(VALU_DEP_2)
	v_cndmask_b32_e32 v62, v60, v62, vcc_lo
	v_cvt_f16_f32_e32 v60, v61
	s_delay_alu instid0(VALU_DEP_2) | instskip(NEXT) | instid1(VALU_DEP_1)
	v_cvt_f16_f32_e32 v63, v62
	v_pack_b32_f16 v60, v60, v63
	v_sub_f32_e32 v63, v76, v73
	s_delay_alu instid0(VALU_DEP_1) | instskip(SKIP_1) | instid1(VALU_DEP_2)
	v_mul_f32_e32 v69, 0x3fb8aa3b, v63
	v_cmp_ngt_f32_e64 s7, 0xc2ce8ed0, v63
	v_fma_f32 v70, 0x3fb8aa3b, v63, -v69
	v_rndne_f32_e32 v71, v69
	s_delay_alu instid0(VALU_DEP_2) | instskip(NEXT) | instid1(VALU_DEP_2)
	v_fmac_f32_e32 v70, 0x32a5705f, v63
	v_sub_f32_e32 v69, v69, v71
	s_delay_alu instid0(VALU_DEP_1) | instskip(SKIP_1) | instid1(VALU_DEP_2)
	v_add_f32_e32 v69, v69, v70
	v_cvt_i32_f32_e32 v70, v71
	v_exp_f32_e32 v69, v69
	s_waitcnt_depctr 0xfff
	v_ldexp_f32 v69, v69, v70
	s_delay_alu instid0(VALU_DEP_1) | instskip(SKIP_1) | instid1(VALU_DEP_1)
	v_cndmask_b32_e64 v69, 0, v69, s7
	v_cmp_nlt_f32_e64 s7, 0x42b17218, v63
	v_cndmask_b32_e64 v69, 0x7f800000, v69, s7
	ds_bpermute_b32 v63, v72, v69
	v_cndmask_b32_e64 v61, v61, v69, s5
	v_cndmask_b32_e64 v62, v62, v69, s6
	s_waitcnt lgkmcnt(0)
	s_delay_alu instid0(VALU_DEP_1) | instskip(NEXT) | instid1(VALU_DEP_3)
	v_cndmask_b32_e32 v62, v62, v63, vcc_lo
	v_cndmask_b32_e64 v70, v61, v63, s4
	s_delay_alu instid0(VALU_DEP_2) | instskip(NEXT) | instid1(VALU_DEP_2)
	v_cvt_f16_f32_e32 v63, v62
	v_cvt_f16_f32_e32 v61, v70
	s_delay_alu instid0(VALU_DEP_1) | instskip(SKIP_1) | instid1(VALU_DEP_1)
	v_pack_b32_f16 v61, v61, v63
	v_sub_f32_e32 v63, v75, v73
	v_mul_f32_e32 v71, 0x3fb8aa3b, v63
	v_cmp_ngt_f32_e64 s7, 0xc2ce8ed0, v63
	s_delay_alu instid0(VALU_DEP_2) | instskip(SKIP_1) | instid1(VALU_DEP_2)
	v_fma_f32 v75, 0x3fb8aa3b, v63, -v71
	v_rndne_f32_e32 v76, v71
	v_fmac_f32_e32 v75, 0x32a5705f, v63
	s_delay_alu instid0(VALU_DEP_2) | instskip(NEXT) | instid1(VALU_DEP_1)
	v_sub_f32_e32 v71, v71, v76
	v_add_f32_e32 v71, v71, v75
	v_cvt_i32_f32_e32 v75, v76
	s_delay_alu instid0(VALU_DEP_2) | instskip(SKIP_2) | instid1(VALU_DEP_1)
	v_exp_f32_e32 v71, v71
	s_waitcnt_depctr 0xfff
	v_ldexp_f32 v71, v71, v75
	v_cndmask_b32_e64 v71, 0, v71, s7
	v_cmp_nlt_f32_e64 s7, 0x42b17218, v63
	s_delay_alu instid0(VALU_DEP_1) | instskip(NEXT) | instid1(VALU_DEP_1)
	v_cndmask_b32_e64 v71, 0x7f800000, v71, s7
	v_cndmask_b32_e64 v63, v70, v71, s5
	ds_bpermute_b32 v70, v72, v71
	v_cndmask_b32_e64 v62, v62, v71, s6
	s_waitcnt lgkmcnt(0)
	v_cndmask_b32_e64 v63, v63, v70, s4
	s_delay_alu instid0(VALU_DEP_2) | instskip(NEXT) | instid1(VALU_DEP_2)
	v_cndmask_b32_e32 v70, v62, v70, vcc_lo
	v_cvt_f16_f32_e32 v62, v63
	s_delay_alu instid0(VALU_DEP_2) | instskip(NEXT) | instid1(VALU_DEP_1)
	v_cvt_f16_f32_e32 v75, v70
	v_pack_b32_f16 v62, v62, v75
	v_mul_f32_e32 v75, 0x3fb8aa3b, v74
	s_delay_alu instid0(VALU_DEP_1) | instskip(SKIP_1) | instid1(VALU_DEP_1)
	v_fma_f32 v76, 0x3fb8aa3b, v74, -v75
	v_rndne_f32_e32 v77, v75
	v_dual_fmac_f32 v76, 0x32a5705f, v74 :: v_dual_sub_f32 v75, v75, v77
	s_delay_alu instid0(VALU_DEP_1) | instskip(SKIP_2) | instid1(VALU_DEP_3)
	v_add_f32_e32 v75, v75, v76
	v_cvt_i32_f32_e32 v76, v77
	v_cmp_ngt_f32_e64 s7, 0xc2ce8ed0, v74
	v_exp_f32_e32 v75, v75
	s_waitcnt_depctr 0xfff
	v_ldexp_f32 v75, v75, v76
	s_delay_alu instid0(VALU_DEP_1) | instskip(SKIP_1) | instid1(VALU_DEP_1)
	v_cndmask_b32_e64 v75, 0, v75, s7
	v_cmp_nlt_f32_e64 s7, 0x42b17218, v74
	v_cndmask_b32_e64 v74, 0x7f800000, v75, s7
	ds_bpermute_b32 v75, v72, v74
	v_cndmask_b32_e64 v63, v63, v74, s5
	v_cndmask_b32_e64 v70, v70, v74, s6
	s_waitcnt lgkmcnt(0)
	s_delay_alu instid0(VALU_DEP_2) | instskip(NEXT) | instid1(VALU_DEP_2)
	v_cndmask_b32_e64 v63, v63, v75, s4
	v_cndmask_b32_e32 v70, v70, v75, vcc_lo
	s_cselect_b32 s4, -1, 0
	s_delay_alu instid0(SALU_CYCLE_1) | instskip(NEXT) | instid1(VALU_DEP_2)
	s_and_b32 s5, s0, s4
	v_cvt_f16_f32_e32 v63, v63
	s_delay_alu instid0(VALU_DEP_2) | instskip(NEXT) | instid1(VALU_DEP_1)
	v_cvt_f16_f32_e32 v70, v70
	v_pack_b32_f16 v63, v63, v70
	s_delay_alu instid0(VALU_DEP_1)
	v_wmma_f32_16x16x16_f16 v[48:55], v[207:214], v[56:63], v[48:55]
	v_wmma_f32_16x16x16_f16 v[40:47], v[114:121], v[56:63], v[40:47]
	;; [unrolled: 1-line block ×7, first 2 shown]
	v_add_f32_e32 v56, v83, v84
	s_delay_alu instid0(VALU_DEP_1) | instskip(NEXT) | instid1(VALU_DEP_1)
	v_add_f32_e32 v56, v85, v56
	v_add_f32_e32 v56, v86, v56
	s_delay_alu instid0(VALU_DEP_1) | instskip(NEXT) | instid1(VALU_DEP_1)
	v_add_f32_e32 v56, v87, v56
	v_add_f32_e32 v56, v88, v56
	s_delay_alu instid0(VALU_DEP_1) | instskip(NEXT) | instid1(VALU_DEP_1)
	v_add_f32_e32 v56, v89, v56
	v_add_f32_e32 v56, v90, v56
	s_delay_alu instid0(VALU_DEP_1) | instskip(NEXT) | instid1(VALU_DEP_1)
	v_add_f32_e32 v56, v64, v56
	v_add_f32_e32 v56, v65, v56
	s_delay_alu instid0(VALU_DEP_1) | instskip(NEXT) | instid1(VALU_DEP_1)
	v_add_f32_e32 v56, v66, v56
	v_add_f32_e32 v56, v67, v56
	s_delay_alu instid0(VALU_DEP_1) | instskip(NEXT) | instid1(VALU_DEP_1)
	v_add_f32_e32 v56, v68, v56
	v_add_f32_e32 v56, v69, v56
	s_delay_alu instid0(VALU_DEP_1) | instskip(NEXT) | instid1(VALU_DEP_1)
	v_add_f32_e32 v56, v71, v56
	v_add_f32_e32 v56, v74, v56
	s_delay_alu instid0(VALU_DEP_1)
	v_fmac_f32_e32 v56, v224, v78
	ds_bpermute_b32 v57, v72, v56
	s_waitcnt lgkmcnt(0)
	v_add_f32_e32 v56, v56, v57
	s_and_saveexec_b32 s4, s5
	s_cbranch_execz .LBB19_81
; %bb.80:                               ;   in Loop: Header=BB19_12 Depth=1
	scratch_load_b32 v57, off, off offset:536 ; 4-byte Folded Reload
	v_max_f32_e32 v58, v73, v73
	s_waitcnt vmcnt(0)
	v_lshlrev_b32_e32 v57, 2, v57
	global_load_b32 v57, v57, s[82:83]
	s_waitcnt vmcnt(0)
	v_max_f32_e32 v59, v57, v57
	s_delay_alu instid0(VALU_DEP_1) | instskip(NEXT) | instid1(VALU_DEP_1)
	v_max_f32_e32 v58, v58, v59
	v_sub_f32_e32 v59, v73, v58
	v_sub_f32_e32 v57, v57, v58
	s_delay_alu instid0(VALU_DEP_2) | instskip(NEXT) | instid1(VALU_DEP_1)
	v_dual_mov_b32 v73, v58 :: v_dual_mul_f32 v60, 0x3fb8aa3b, v59
	v_fma_f32 v61, 0x3fb8aa3b, v59, -v60
	v_rndne_f32_e32 v62, v60
	s_delay_alu instid0(VALU_DEP_1) | instskip(SKIP_1) | instid1(VALU_DEP_2)
	v_dual_fmac_f32 v61, 0x32a5705f, v59 :: v_dual_sub_f32 v60, v60, v62
	v_cvt_i32_f32_e32 v62, v62
	v_add_f32_e32 v60, v60, v61
	v_cmp_ngt_f32_e32 vcc_lo, 0xc2ce8ed0, v59
	s_delay_alu instid0(VALU_DEP_2) | instskip(SKIP_2) | instid1(VALU_DEP_1)
	v_exp_f32_e32 v60, v60
	s_waitcnt_depctr 0xfff
	v_ldexp_f32 v60, v60, v62
	v_dual_mul_f32 v63, 0x3fb8aa3b, v57 :: v_dual_cndmask_b32 v60, 0, v60
	s_delay_alu instid0(VALU_DEP_1) | instskip(SKIP_2) | instid1(VALU_DEP_2)
	v_fma_f32 v64, 0x3fb8aa3b, v57, -v63
	v_rndne_f32_e32 v65, v63
	v_cmp_nlt_f32_e32 vcc_lo, 0x42b17218, v59
	v_dual_sub_f32 v61, v63, v65 :: v_dual_cndmask_b32 v60, 0x7f800000, v60
	s_delay_alu instid0(VALU_DEP_4) | instskip(SKIP_2) | instid1(VALU_DEP_3)
	v_fmac_f32_e32 v64, 0x32a5705f, v57
	v_cvt_i32_f32_e32 v62, v65
	v_cmp_ngt_f32_e32 vcc_lo, 0xc2ce8ed0, v57
	v_add_f32_e32 v61, v61, v64
	s_delay_alu instid0(VALU_DEP_1) | instskip(SKIP_2) | instid1(VALU_DEP_1)
	v_exp_f32_e32 v61, v61
	s_waitcnt_depctr 0xfff
	v_ldexp_f32 v61, v61, v62
	v_cndmask_b32_e32 v61, 0, v61, vcc_lo
	v_cmp_le_f32_e32 vcc_lo, 0xc1a00000, v59
	v_cndmask_b32_e32 v59, 0, v60, vcc_lo
	v_cmp_nlt_f32_e32 vcc_lo, 0x42b17218, v57
	s_delay_alu instid0(VALU_DEP_2)
	v_dual_mul_f32 v50, v50, v59 :: v_dual_cndmask_b32 v57, 0x7f800000, v61
	v_mul_f32_e32 v52, v52, v59
	v_mul_f32_e32 v48, v48, v59
	;; [unrolled: 1-line block ×4, first 2 shown]
	v_fmac_f32_e32 v57, v56, v59
	v_mul_f32_e32 v51, v51, v59
	v_mul_f32_e32 v54, v54, v59
	v_mul_f32_e32 v55, v55, v59
	v_mul_f32_e32 v40, v40, v59
	v_mul_f32_e32 v41, v41, v59
	v_mul_f32_e32 v42, v42, v59
	v_mul_f32_e32 v43, v43, v59
	v_mul_f32_e32 v44, v44, v59
	v_mul_f32_e32 v45, v45, v59
	v_mul_f32_e32 v46, v46, v59
	v_mul_f32_e32 v47, v47, v59
	v_mul_f32_e32 v32, v32, v59
	v_mul_f32_e32 v33, v33, v59
	v_mul_f32_e32 v34, v34, v59
	v_mul_f32_e32 v35, v35, v59
	v_mul_f32_e32 v36, v36, v59
	v_mul_f32_e32 v37, v37, v59
	v_mul_f32_e32 v38, v38, v59
	v_mul_f32_e32 v39, v39, v59
	v_mul_f32_e32 v24, v24, v59
	v_mul_f32_e32 v25, v25, v59
	v_mul_f32_e32 v26, v26, v59
	v_mul_f32_e32 v27, v27, v59
	v_mul_f32_e32 v28, v28, v59
	v_mul_f32_e32 v29, v29, v59
	v_mul_f32_e32 v30, v30, v59
	v_mul_f32_e32 v31, v31, v59
	v_mul_f32_e32 v16, v16, v59
	v_mul_f32_e32 v17, v17, v59
	v_mul_f32_e32 v18, v18, v59
	v_mul_f32_e32 v19, v19, v59
	v_mul_f32_e32 v20, v20, v59
	v_mul_f32_e32 v21, v21, v59
	v_mul_f32_e32 v22, v22, v59
	v_mul_f32_e32 v23, v23, v59
	v_mul_f32_e32 v8, v8, v59
	v_mul_f32_e32 v9, v9, v59
	v_mul_f32_e32 v10, v10, v59
	v_mul_f32_e32 v11, v11, v59
	v_mul_f32_e32 v12, v12, v59
	v_mul_f32_e32 v13, v13, v59
	v_mul_f32_e32 v14, v14, v59
	v_mul_f32_e32 v15, v15, v59
	v_mul_f32_e32 v0, v0, v59
	v_mul_f32_e32 v1, v1, v59
	v_mul_f32_e32 v2, v2, v59
	v_mul_f32_e32 v3, v3, v59
	v_mul_f32_e32 v4, v4, v59
	v_mul_f32_e32 v5, v5, v59
	v_mul_f32_e32 v6, v6, v59
	v_dual_mul_f32 v7, v7, v59 :: v_dual_mov_b32 v56, v57
.LBB19_81:                              ;   in Loop: Header=BB19_12 Depth=1
	s_or_b32 exec_lo, exec_lo, s4
	s_delay_alu instid0(SALU_CYCLE_1) | instskip(SKIP_4) | instid1(SALU_CYCLE_1)
	s_mov_b32 s4, exec_lo
	s_clause 0x1
	scratch_load_b64 v[63:64], off, off offset:428
	scratch_load_b64 v[64:65], off, off offset:440
	s_and_b32 s5, s4, s2
	s_mov_b32 exec_lo, s5
	s_cbranch_execz .LBB19_83
; %bb.82:                               ;   in Loop: Header=BB19_12 Depth=1
	scratch_load_b32 v57, off, off offset:524 ; 4-byte Folded Reload
	s_waitcnt vmcnt(0)
	v_add_nc_u32_e32 v57, 0, v57
	ds_store_2addr_b32 v57, v73, v56 offset0:56 offset1:57
.LBB19_83:                              ;   in Loop: Header=BB19_12 Depth=1
	s_or_b32 exec_lo, exec_lo, s4
	s_waitcnt vmcnt(0) lgkmcnt(0)
	s_barrier
	buffer_gl0_inv
	s_mov_b32 s4, exec_lo
	s_clause 0xc
	scratch_load_b32 v207, off, off offset:204
	scratch_load_b32 v208, off, off offset:208
	;; [unrolled: 1-line block ×3, first 2 shown]
	scratch_load_b64 v[210:211], off, off offset:216
	scratch_load_b64 v[212:213], off, off offset:224
	;; [unrolled: 1-line block ×5, first 2 shown]
	scratch_load_b32 v241, off, off offset:84
	scratch_load_b32 v178, off, off offset:20
	;; [unrolled: 1-line block ×5, first 2 shown]
	v_dual_mov_b32 v239, v231 :: v_dual_add_nc_u32 v200, 0x1e00, v249
	v_mov_b32_e32 v116, v219
	v_mov_b32_e32 v118, v232
	;; [unrolled: 1-line block ×3, first 2 shown]
	s_and_b32 s5, s4, s1
	s_delay_alu instid0(SALU_CYCLE_1)
	s_xor_b32 s4, s5, s4
	s_mov_b32 exec_lo, s5
	s_cbranch_execz .LBB19_85
; %bb.84:                               ;   in Loop: Header=BB19_12 Depth=1
	s_waitcnt vmcnt(0)
	s_barrier
	buffer_gl0_inv
                                        ; implicit-def: $vgpr72
.LBB19_85:                              ;   in Loop: Header=BB19_12 Depth=1
	s_and_not1_saveexec_b32 s4, s4
	s_cbranch_execz .LBB19_89
; %bb.86:                               ;   in Loop: Header=BB19_12 Depth=1
	scratch_load_b32 v56, off, off offset:528 ; 4-byte Folded Reload
	s_waitcnt vmcnt(0)
	v_add_nc_u32_e32 v60, 0, v56
	ds_load_b64 v[58:59], v60 offset:224
	s_waitcnt lgkmcnt(0)
	s_barrier
	buffer_gl0_inv
	v_max_f32_e32 v57, v58, v58
	ds_bpermute_b32 v56, v72, v58
	s_waitcnt lgkmcnt(0)
	v_max_f32_e32 v56, v56, v56
	s_delay_alu instid0(VALU_DEP_1) | instskip(NEXT) | instid1(VALU_DEP_1)
	v_max_f32_e32 v56, v57, v56
	v_sub_f32_e32 v57, v58, v56
	s_delay_alu instid0(VALU_DEP_1) | instskip(SKIP_1) | instid1(VALU_DEP_2)
	v_mul_f32_e32 v58, 0x3fb8aa3b, v57
	v_cmp_ngt_f32_e32 vcc_lo, 0xc2ce8ed0, v57
	v_fma_f32 v61, 0x3fb8aa3b, v57, -v58
	v_rndne_f32_e32 v62, v58
	s_delay_alu instid0(VALU_DEP_1) | instskip(NEXT) | instid1(VALU_DEP_1)
	v_dual_fmac_f32 v61, 0x32a5705f, v57 :: v_dual_sub_f32 v58, v58, v62
	v_add_f32_e32 v58, v58, v61
	v_cvt_i32_f32_e32 v61, v62
	s_delay_alu instid0(VALU_DEP_2) | instskip(SKIP_2) | instid1(VALU_DEP_1)
	v_exp_f32_e32 v58, v58
	s_waitcnt_depctr 0xfff
	v_ldexp_f32 v58, v58, v61
	v_cndmask_b32_e32 v58, 0, v58, vcc_lo
	v_cmp_nlt_f32_e32 vcc_lo, 0x42b17218, v57
	s_delay_alu instid0(VALU_DEP_2) | instskip(NEXT) | instid1(VALU_DEP_1)
	v_cndmask_b32_e32 v57, 0x7f800000, v58, vcc_lo
	v_mul_f32_e32 v58, v59, v57
	ds_bpermute_b32 v58, v72, v58
	s_waitcnt lgkmcnt(0)
	v_fmac_f32_e32 v58, v59, v57
	ds_store_b64 v60, v[57:58] offset:224
	s_and_saveexec_b32 s5, s2
	s_cbranch_execz .LBB19_88
; %bb.87:                               ;   in Loop: Header=BB19_12 Depth=1
	v_mov_b32_e32 v57, v58
	scratch_load_b64 v[58:59], off, off offset:748 ; 8-byte Folded Reload
	s_waitcnt vmcnt(0)
	global_store_b64 v[58:59], v[56:57], off
.LBB19_88:                              ;   in Loop: Header=BB19_12 Depth=1
	s_or_b32 exec_lo, exec_lo, s5
.LBB19_89:                              ;   in Loop: Header=BB19_12 Depth=1
	s_delay_alu instid0(SALU_CYCLE_1)
	s_or_b32 exec_lo, exec_lo, s4
	v_cvt_f16_f32_e32 v48, v48
	v_cvt_f16_f32_e32 v40, v40
	;; [unrolled: 1-line block ×38, first 2 shown]
	ds_store_b16 v245, v48
	ds_store_b16 v245, v49 offset:4
	ds_store_b16 v245, v50 offset:8
	ds_store_b16 v245, v51 offset:12
	ds_store_b16 v245, v52 offset:16
	ds_store_b16 v245, v53 offset:20
	ds_store_b16 v245, v54 offset:24
	ds_store_b16 v245, v55 offset:28
	v_cvt_f16_f32_e32 v45, v45
	v_cvt_f16_f32_e32 v46, v46
	v_cvt_f16_f32_e32 v47, v47
	ds_store_b16 v245, v40 offset:32
	ds_store_b16 v245, v41 offset:36
	ds_store_b16 v245, v42 offset:40
	ds_store_b16 v245, v43 offset:44
	ds_store_b16 v245, v44 offset:48
	ds_store_b16 v245, v45 offset:52
	ds_store_b16 v245, v46 offset:56
	ds_store_b16 v245, v47 offset:60
	v_cvt_f16_f32_e32 v37, v37
	v_cvt_f16_f32_e32 v38, v38
	v_cvt_f16_f32_e32 v39, v39
	ds_store_b16 v245, v32 offset:64
	;; [unrolled: 11-line block ×6, first 2 shown]
	ds_store_b16 v245, v1 offset:196
	ds_store_b16 v245, v2 offset:200
	;; [unrolled: 1-line block ×7, first 2 shown]
	s_waitcnt vmcnt(0) lgkmcnt(0)
	s_waitcnt_vscnt null, 0x0
	s_barrier
	buffer_gl0_inv
	s_mov_b32 s6, exec_lo
	scratch_load_b32 v10, off, off offset:360 ; 4-byte Folded Reload
	s_and_b32 s4, s6, s0
	s_delay_alu instid0(SALU_CYCLE_1)
	s_mov_b32 exec_lo, s4
	s_cbranch_execz .LBB19_221
; %bb.90:                               ;   in Loop: Header=BB19_12 Depth=1
	s_clause 0x1
	scratch_load_b32 v0, off, off offset:544
	scratch_load_b64 v[1:2], off, off offset:460
	s_waitcnt vmcnt(1)
	v_add_nc_u32_e32 v0, s65, v0
	s_waitcnt vmcnt(0)
	v_or_b32_e32 v1, s103, v1
	s_delay_alu instid0(VALU_DEP_1) | instskip(SKIP_2) | instid1(VALU_DEP_1)
	v_cmp_gt_i32_e32 vcc_lo, s84, v1
	v_mov_b32_e32 v1, 0x47
	v_cmp_gt_i32_e64 s4, s28, v0
	s_and_b32 s4, s4, vcc_lo
	s_delay_alu instid0(SALU_CYCLE_1)
	s_and_saveexec_b32 s5, s4
	s_cbranch_execz .LBB19_92
; %bb.91:                               ;   in Loop: Header=BB19_12 Depth=1
	scratch_load_b32 v1, off, off offset:592 ; 4-byte Folded Reload
	s_waitcnt vmcnt(0)
	v_add_nc_u32_e32 v1, 0, v1
	s_delay_alu instid0(VALU_DEP_1)
	v_add_nc_u32_e32 v3, 0xe0, v1
	scratch_load_b32 v1, off, off offset:596 ; 4-byte Folded Reload
	s_waitcnt vmcnt(0)
	ds_load_2addr_stride64_b32 v[1:2], v1 offset1:15
	ds_load_2addr_stride64_b32 v[3:4], v3 offset1:15
	scratch_load_b64 v[7:8], off, off offset:460 ; 8-byte Folded Reload
	s_waitcnt vmcnt(0)
	v_mad_u64_u32 v[5:6], null, v0, s29, v[7:8]
	scratch_load_b64 v[8:9], off, off offset:468 ; 8-byte Folded Reload
	s_waitcnt vmcnt(0)
	v_mad_u64_u32 v[6:7], null, v5, 56, v[8:9]
	s_waitcnt lgkmcnt(0)
	v_fma_mix_f32 v5, v3, v1, 0 op_sel_hi:[0,1,0]
	v_fma_mix_f32 v8, v3, v1, 0 op_sel:[0,1,0] op_sel_hi:[0,1,0]
	s_delay_alu instid0(VALU_DEP_2) | instskip(NEXT) | instid1(VALU_DEP_4)
	v_fma_mix_f32 v3, v4, v2, v5 op_sel_hi:[0,1,0]
	v_ashrrev_i32_e32 v7, 31, v6
	s_delay_alu instid0(VALU_DEP_3) | instskip(NEXT) | instid1(VALU_DEP_2)
	v_fma_mix_f32 v4, v4, v2, v8 op_sel:[0,1,0] op_sel_hi:[0,1,0]
	v_lshlrev_b64 v[0:1], 3, v[6:7]
	s_delay_alu instid0(VALU_DEP_1) | instskip(NEXT) | instid1(VALU_DEP_1)
	v_add_co_u32 v5, s4, s59, v0
	v_add_co_ci_u32_e64 v6, s4, s77, v1, s4
	v_mov_b32_e32 v1, 0
	global_store_b64 v[5:6], v[3:4], off
.LBB19_92:                              ;   in Loop: Header=BB19_12 Depth=1
	s_or_b32 exec_lo, exec_lo, s5
	s_mov_b32 s5, -1
	s_mov_b32 s7, exec_lo
	v_cmpx_gt_i32_e32 0x47, v1
; %bb.93:                               ;   in Loop: Header=BB19_12 Depth=1
	v_cmp_eq_u32_e64 s4, 0, v1
	s_delay_alu instid0(VALU_DEP_1)
	s_or_not1_b32 s5, s4, exec_lo
; %bb.94:                               ;   in Loop: Header=BB19_12 Depth=1
	s_or_b32 exec_lo, exec_lo, s7
	s_and_saveexec_b32 s7, s5
	s_cbranch_execz .LBB19_167
; %bb.95:                               ;   in Loop: Header=BB19_12 Depth=1
	s_clause 0x1
	scratch_load_b32 v0, off, off offset:624
	scratch_load_b64 v[1:2], off, off offset:560
	s_waitcnt vmcnt(1)
	v_add_nc_u32_e32 v0, s65, v0
	s_waitcnt vmcnt(0)
	v_or_b32_e32 v1, s103, v1
	s_delay_alu instid0(VALU_DEP_1) | instskip(SKIP_2) | instid1(VALU_DEP_1)
	v_cmp_gt_i32_e64 s5, s84, v1
	v_mov_b32_e32 v1, 0x47
	v_cmp_gt_i32_e64 s4, s28, v0
	s_and_b32 s4, s4, s5
	s_delay_alu instid0(SALU_CYCLE_1)
	s_and_saveexec_b32 s5, s4
	s_cbranch_execz .LBB19_97
; %bb.96:                               ;   in Loop: Header=BB19_12 Depth=1
	scratch_load_b32 v1, off, off offset:756 ; 4-byte Folded Reload
	s_waitcnt vmcnt(0)
	v_add_nc_u32_e32 v1, 0, v1
	s_delay_alu instid0(VALU_DEP_1)
	v_add_nc_u32_e32 v3, 0xe0, v1
	scratch_load_b32 v1, off, off offset:760 ; 4-byte Folded Reload
	s_waitcnt vmcnt(0)
	ds_load_2addr_stride64_b32 v[1:2], v1 offset1:15
	ds_load_2addr_stride64_b32 v[3:4], v3 offset1:15
	scratch_load_b64 v[7:8], off, off offset:560 ; 8-byte Folded Reload
	s_waitcnt vmcnt(0)
	v_mad_u64_u32 v[5:6], null, v0, s29, v[7:8]
	scratch_load_b64 v[8:9], off, off offset:468 ; 8-byte Folded Reload
	s_waitcnt vmcnt(0)
	v_mad_u64_u32 v[6:7], null, v5, 56, v[8:9]
	s_waitcnt lgkmcnt(0)
	v_fma_mix_f32 v5, v3, v1, 0 op_sel_hi:[0,1,0]
	v_fma_mix_f32 v8, v3, v1, 0 op_sel:[0,1,0] op_sel_hi:[0,1,0]
	s_delay_alu instid0(VALU_DEP_2) | instskip(NEXT) | instid1(VALU_DEP_4)
	v_fma_mix_f32 v3, v4, v2, v5 op_sel_hi:[0,1,0]
	v_ashrrev_i32_e32 v7, 31, v6
	s_delay_alu instid0(VALU_DEP_3) | instskip(NEXT) | instid1(VALU_DEP_2)
	v_fma_mix_f32 v4, v4, v2, v8 op_sel:[0,1,0] op_sel_hi:[0,1,0]
	v_lshlrev_b64 v[0:1], 3, v[6:7]
	s_delay_alu instid0(VALU_DEP_1) | instskip(NEXT) | instid1(VALU_DEP_1)
	v_add_co_u32 v5, s4, s59, v0
	v_add_co_ci_u32_e64 v6, s4, s77, v1, s4
	v_mov_b32_e32 v1, 0
	global_store_b64 v[5:6], v[3:4], off
.LBB19_97:                              ;   in Loop: Header=BB19_12 Depth=1
	s_or_b32 exec_lo, exec_lo, s5
	s_mov_b32 s5, -1
	s_mov_b32 s8, exec_lo
	v_cmpx_gt_i32_e32 0x47, v1
; %bb.98:                               ;   in Loop: Header=BB19_12 Depth=1
	v_cmp_eq_u32_e64 s4, 0, v1
	s_delay_alu instid0(VALU_DEP_1)
	s_or_not1_b32 s5, s4, exec_lo
; %bb.99:                               ;   in Loop: Header=BB19_12 Depth=1
	s_or_b32 exec_lo, exec_lo, s8
	s_delay_alu instid0(SALU_CYCLE_1)
	s_and_b32 exec_lo, exec_lo, s5
	s_cbranch_execz .LBB19_167
; %bb.100:                              ;   in Loop: Header=BB19_12 Depth=1
	scratch_load_b32 v0, off, off offset:764 ; 4-byte Folded Reload
	s_waitcnt vmcnt(0)
	v_dual_mov_b32 v0, 0x47 :: v_dual_add_nc_u32 v1, s65, v0
	s_delay_alu instid0(VALU_DEP_1) | instskip(NEXT) | instid1(VALU_DEP_1)
	v_cmp_gt_i32_e64 s4, s28, v1
	s_and_b32 s4, s4, vcc_lo
	s_delay_alu instid0(SALU_CYCLE_1)
	s_and_saveexec_b32 s5, s4
	s_cbranch_execz .LBB19_102
; %bb.101:                              ;   in Loop: Header=BB19_12 Depth=1
	s_clause 0x1
	scratch_load_b32 v0, off, off offset:800
	scratch_load_b32 v2, off, off offset:804
	s_waitcnt vmcnt(1)
	v_add_nc_u32_e32 v0, 0, v0
	s_delay_alu instid0(VALU_DEP_1)
	v_add_nc_u32_e32 v0, 0xe0, v0
	s_waitcnt vmcnt(0)
	ds_load_2addr_stride64_b32 v[2:3], v2 offset1:15
	ds_load_2addr_stride64_b32 v[4:5], v0 offset1:15
	scratch_load_b64 v[8:9], off, off offset:460 ; 8-byte Folded Reload
	s_waitcnt vmcnt(0)
	v_mad_u64_u32 v[6:7], null, v1, s29, v[8:9]
	scratch_load_b64 v[7:8], off, off offset:468 ; 8-byte Folded Reload
	s_waitcnt vmcnt(0)
	v_mad_u64_u32 v[0:1], null, v6, 56, v[7:8]
	s_waitcnt lgkmcnt(0)
	v_fma_mix_f32 v6, v4, v2, 0 op_sel_hi:[0,1,0]
	v_fma_mix_f32 v4, v4, v2, 0 op_sel:[0,1,0] op_sel_hi:[0,1,0]
	s_delay_alu instid0(VALU_DEP_2) | instskip(NEXT) | instid1(VALU_DEP_4)
	v_fma_mix_f32 v2, v5, v3, v6 op_sel_hi:[0,1,0]
	v_ashrrev_i32_e32 v1, 31, v0
	s_delay_alu instid0(VALU_DEP_3) | instskip(NEXT) | instid1(VALU_DEP_2)
	v_fma_mix_f32 v3, v5, v3, v4 op_sel:[0,1,0] op_sel_hi:[0,1,0]
	v_lshlrev_b64 v[0:1], 3, v[0:1]
	s_delay_alu instid0(VALU_DEP_1) | instskip(NEXT) | instid1(VALU_DEP_1)
	v_add_co_u32 v4, s4, s59, v0
	v_add_co_ci_u32_e64 v5, s4, s77, v1, s4
	v_mov_b32_e32 v0, 0
	global_store_b64 v[4:5], v[2:3], off
.LBB19_102:                             ;   in Loop: Header=BB19_12 Depth=1
	s_or_b32 exec_lo, exec_lo, s5
	s_mov_b32 s5, -1
	s_mov_b32 s8, exec_lo
	v_cmpx_gt_i32_e32 0x47, v0
; %bb.103:                              ;   in Loop: Header=BB19_12 Depth=1
	v_cmp_eq_u32_e64 s4, 0, v0
	s_delay_alu instid0(VALU_DEP_1)
	s_or_not1_b32 s5, s4, exec_lo
; %bb.104:                              ;   in Loop: Header=BB19_12 Depth=1
	s_or_b32 exec_lo, exec_lo, s8
	s_delay_alu instid0(SALU_CYCLE_1)
	s_and_b32 exec_lo, exec_lo, s5
	s_cbranch_execz .LBB19_167
; %bb.105:                              ;   in Loop: Header=BB19_12 Depth=1
	s_clause 0x1
	scratch_load_b32 v0, off, off offset:832
	scratch_load_b64 v[1:2], off, off offset:792
	s_waitcnt vmcnt(1)
	v_add_nc_u32_e32 v0, s65, v0
	s_waitcnt vmcnt(0)
	v_or_b32_e32 v1, s103, v1
	s_delay_alu instid0(VALU_DEP_1) | instskip(SKIP_2) | instid1(VALU_DEP_1)
	v_cmp_gt_i32_e64 s5, s84, v1
	v_mov_b32_e32 v1, 0x47
	v_cmp_gt_i32_e64 s4, s28, v0
	s_and_b32 s4, s4, s5
	s_delay_alu instid0(SALU_CYCLE_1)
	s_and_saveexec_b32 s5, s4
	s_cbranch_execz .LBB19_107
; %bb.106:                              ;   in Loop: Header=BB19_12 Depth=1
	scratch_load_b32 v1, off, off offset:844 ; 4-byte Folded Reload
	s_waitcnt vmcnt(0)
	v_add_nc_u32_e32 v1, 0, v1
	s_delay_alu instid0(VALU_DEP_1)
	v_add_nc_u32_e32 v3, 0xe0, v1
	scratch_load_b32 v1, off, off offset:848 ; 4-byte Folded Reload
	s_waitcnt vmcnt(0)
	ds_load_2addr_stride64_b32 v[1:2], v1 offset1:15
	ds_load_2addr_stride64_b32 v[3:4], v3 offset1:15
	scratch_load_b64 v[7:8], off, off offset:792 ; 8-byte Folded Reload
	s_waitcnt vmcnt(0)
	v_mad_u64_u32 v[5:6], null, v0, s29, v[7:8]
	scratch_load_b64 v[8:9], off, off offset:468 ; 8-byte Folded Reload
	s_waitcnt vmcnt(0)
	v_mad_u64_u32 v[6:7], null, v5, 56, v[8:9]
	s_waitcnt lgkmcnt(0)
	v_fma_mix_f32 v5, v3, v1, 0 op_sel_hi:[0,1,0]
	v_fma_mix_f32 v8, v3, v1, 0 op_sel:[0,1,0] op_sel_hi:[0,1,0]
	s_delay_alu instid0(VALU_DEP_2) | instskip(NEXT) | instid1(VALU_DEP_4)
	v_fma_mix_f32 v3, v4, v2, v5 op_sel_hi:[0,1,0]
	v_ashrrev_i32_e32 v7, 31, v6
	s_delay_alu instid0(VALU_DEP_3) | instskip(NEXT) | instid1(VALU_DEP_2)
	v_fma_mix_f32 v4, v4, v2, v8 op_sel:[0,1,0] op_sel_hi:[0,1,0]
	v_lshlrev_b64 v[0:1], 3, v[6:7]
	s_delay_alu instid0(VALU_DEP_1) | instskip(NEXT) | instid1(VALU_DEP_1)
	v_add_co_u32 v5, s4, s59, v0
	v_add_co_ci_u32_e64 v6, s4, s77, v1, s4
	v_mov_b32_e32 v1, 0
	global_store_b64 v[5:6], v[3:4], off
.LBB19_107:                             ;   in Loop: Header=BB19_12 Depth=1
	s_or_b32 exec_lo, exec_lo, s5
	s_mov_b32 s5, -1
	s_mov_b32 s8, exec_lo
	v_cmpx_gt_i32_e32 0x47, v1
; %bb.108:                              ;   in Loop: Header=BB19_12 Depth=1
	v_cmp_eq_u32_e64 s4, 0, v1
	s_delay_alu instid0(VALU_DEP_1)
	s_or_not1_b32 s5, s4, exec_lo
; %bb.109:                              ;   in Loop: Header=BB19_12 Depth=1
	s_or_b32 exec_lo, exec_lo, s8
	s_delay_alu instid0(SALU_CYCLE_1)
	s_and_b32 exec_lo, exec_lo, s5
	s_cbranch_execz .LBB19_167
; %bb.110:                              ;   in Loop: Header=BB19_12 Depth=1
	scratch_load_b32 v0, off, off offset:852 ; 4-byte Folded Reload
	s_waitcnt vmcnt(0)
	v_dual_mov_b32 v0, 0x47 :: v_dual_add_nc_u32 v1, s65, v0
	s_delay_alu instid0(VALU_DEP_1) | instskip(NEXT) | instid1(VALU_DEP_1)
	v_cmp_gt_i32_e64 s4, s28, v1
	s_and_b32 s4, s4, vcc_lo
	s_delay_alu instid0(SALU_CYCLE_1)
	s_and_saveexec_b32 s5, s4
	s_cbranch_execz .LBB19_112
; %bb.111:                              ;   in Loop: Header=BB19_12 Depth=1
	s_clause 0x1
	scratch_load_b32 v0, off, off offset:908
	scratch_load_b32 v2, off, off offset:912
	s_waitcnt vmcnt(1)
	v_add_nc_u32_e32 v0, 0, v0
	s_delay_alu instid0(VALU_DEP_1)
	v_add_nc_u32_e32 v0, 0xe0, v0
	s_waitcnt vmcnt(0)
	ds_load_2addr_stride64_b32 v[2:3], v2 offset1:15
	ds_load_2addr_stride64_b32 v[4:5], v0 offset1:15
	scratch_load_b64 v[8:9], off, off offset:460 ; 8-byte Folded Reload
	s_waitcnt vmcnt(0)
	v_mad_u64_u32 v[6:7], null, v1, s29, v[8:9]
	scratch_load_b64 v[7:8], off, off offset:468 ; 8-byte Folded Reload
	s_waitcnt vmcnt(0)
	v_mad_u64_u32 v[0:1], null, v6, 56, v[7:8]
	s_waitcnt lgkmcnt(0)
	v_fma_mix_f32 v6, v4, v2, 0 op_sel_hi:[0,1,0]
	v_fma_mix_f32 v4, v4, v2, 0 op_sel:[0,1,0] op_sel_hi:[0,1,0]
	s_delay_alu instid0(VALU_DEP_2) | instskip(NEXT) | instid1(VALU_DEP_4)
	v_fma_mix_f32 v2, v5, v3, v6 op_sel_hi:[0,1,0]
	v_ashrrev_i32_e32 v1, 31, v0
	s_delay_alu instid0(VALU_DEP_3) | instskip(NEXT) | instid1(VALU_DEP_2)
	v_fma_mix_f32 v3, v5, v3, v4 op_sel:[0,1,0] op_sel_hi:[0,1,0]
	v_lshlrev_b64 v[0:1], 3, v[0:1]
	s_delay_alu instid0(VALU_DEP_1) | instskip(NEXT) | instid1(VALU_DEP_1)
	v_add_co_u32 v4, s4, s59, v0
	v_add_co_ci_u32_e64 v5, s4, s77, v1, s4
	v_mov_b32_e32 v0, 0
	global_store_b64 v[4:5], v[2:3], off
.LBB19_112:                             ;   in Loop: Header=BB19_12 Depth=1
	s_or_b32 exec_lo, exec_lo, s5
	s_mov_b32 s5, -1
	s_mov_b32 s8, exec_lo
	v_cmpx_gt_i32_e32 0x47, v0
; %bb.113:                              ;   in Loop: Header=BB19_12 Depth=1
	v_cmp_eq_u32_e64 s4, 0, v0
	s_delay_alu instid0(VALU_DEP_1)
	s_or_not1_b32 s5, s4, exec_lo
; %bb.114:                              ;   in Loop: Header=BB19_12 Depth=1
	s_or_b32 exec_lo, exec_lo, s8
	s_delay_alu instid0(SALU_CYCLE_1)
	s_and_b32 exec_lo, exec_lo, s5
	s_cbranch_execz .LBB19_167
; %bb.115:                              ;   in Loop: Header=BB19_12 Depth=1
	s_clause 0x1
	scratch_load_b32 v0, off, off offset:928
	scratch_load_b64 v[1:2], off, off offset:900
	s_waitcnt vmcnt(1)
	v_add_nc_u32_e32 v0, s65, v0
	s_waitcnt vmcnt(0)
	v_or_b32_e32 v1, s103, v1
	s_delay_alu instid0(VALU_DEP_1) | instskip(SKIP_2) | instid1(VALU_DEP_1)
	v_cmp_gt_i32_e64 s5, s84, v1
	v_mov_b32_e32 v1, 0x47
	v_cmp_gt_i32_e64 s4, s28, v0
	s_and_b32 s4, s4, s5
	s_delay_alu instid0(SALU_CYCLE_1)
	s_and_saveexec_b32 s5, s4
	s_cbranch_execz .LBB19_117
; %bb.116:                              ;   in Loop: Header=BB19_12 Depth=1
	scratch_load_b32 v1, off, off offset:932 ; 4-byte Folded Reload
	s_waitcnt vmcnt(0)
	v_add_nc_u32_e32 v1, 0, v1
	s_delay_alu instid0(VALU_DEP_1)
	v_add_nc_u32_e32 v3, 0xe0, v1
	scratch_load_b32 v1, off, off offset:936 ; 4-byte Folded Reload
	s_waitcnt vmcnt(0)
	ds_load_2addr_stride64_b32 v[1:2], v1 offset1:15
	ds_load_2addr_stride64_b32 v[3:4], v3 offset1:15
	scratch_load_b64 v[7:8], off, off offset:900 ; 8-byte Folded Reload
	s_waitcnt vmcnt(0)
	v_mad_u64_u32 v[5:6], null, v0, s29, v[7:8]
	scratch_load_b64 v[8:9], off, off offset:468 ; 8-byte Folded Reload
	s_waitcnt vmcnt(0)
	v_mad_u64_u32 v[6:7], null, v5, 56, v[8:9]
	s_waitcnt lgkmcnt(0)
	v_fma_mix_f32 v5, v3, v1, 0 op_sel_hi:[0,1,0]
	v_fma_mix_f32 v8, v3, v1, 0 op_sel:[0,1,0] op_sel_hi:[0,1,0]
	s_delay_alu instid0(VALU_DEP_2) | instskip(NEXT) | instid1(VALU_DEP_4)
	v_fma_mix_f32 v3, v4, v2, v5 op_sel_hi:[0,1,0]
	v_ashrrev_i32_e32 v7, 31, v6
	s_delay_alu instid0(VALU_DEP_3) | instskip(NEXT) | instid1(VALU_DEP_2)
	v_fma_mix_f32 v4, v4, v2, v8 op_sel:[0,1,0] op_sel_hi:[0,1,0]
	v_lshlrev_b64 v[0:1], 3, v[6:7]
	s_delay_alu instid0(VALU_DEP_1) | instskip(NEXT) | instid1(VALU_DEP_1)
	v_add_co_u32 v5, s4, s59, v0
	v_add_co_ci_u32_e64 v6, s4, s77, v1, s4
	v_mov_b32_e32 v1, 0
	global_store_b64 v[5:6], v[3:4], off
.LBB19_117:                             ;   in Loop: Header=BB19_12 Depth=1
	s_or_b32 exec_lo, exec_lo, s5
	s_mov_b32 s5, -1
	s_mov_b32 s8, exec_lo
	v_cmpx_gt_i32_e32 0x47, v1
; %bb.118:                              ;   in Loop: Header=BB19_12 Depth=1
	v_cmp_eq_u32_e64 s4, 0, v1
	s_delay_alu instid0(VALU_DEP_1)
	s_or_not1_b32 s5, s4, exec_lo
; %bb.119:                              ;   in Loop: Header=BB19_12 Depth=1
	s_or_b32 exec_lo, exec_lo, s8
	s_delay_alu instid0(SALU_CYCLE_1)
	s_and_b32 exec_lo, exec_lo, s5
	s_cbranch_execz .LBB19_167
; %bb.120:                              ;   in Loop: Header=BB19_12 Depth=1
	scratch_load_b32 v0, off, off offset:940 ; 4-byte Folded Reload
	s_waitcnt vmcnt(0)
	v_dual_mov_b32 v0, 0x47 :: v_dual_add_nc_u32 v1, s65, v0
	s_delay_alu instid0(VALU_DEP_1) | instskip(NEXT) | instid1(VALU_DEP_1)
	v_cmp_gt_i32_e64 s4, s28, v1
	s_and_b32 s4, s4, vcc_lo
	s_delay_alu instid0(SALU_CYCLE_1)
	s_and_saveexec_b32 s5, s4
	s_cbranch_execz .LBB19_122
; %bb.121:                              ;   in Loop: Header=BB19_12 Depth=1
	s_clause 0x1
	scratch_load_b32 v0, off, off offset:964
	scratch_load_b32 v2, off, off offset:968
	s_waitcnt vmcnt(1)
	v_add_nc_u32_e32 v0, 0, v0
	s_delay_alu instid0(VALU_DEP_1)
	v_add_nc_u32_e32 v0, 0xe0, v0
	s_waitcnt vmcnt(0)
	ds_load_2addr_stride64_b32 v[2:3], v2 offset1:15
	ds_load_2addr_stride64_b32 v[4:5], v0 offset1:15
	scratch_load_b64 v[8:9], off, off offset:460 ; 8-byte Folded Reload
	s_waitcnt vmcnt(0)
	v_mad_u64_u32 v[6:7], null, v1, s29, v[8:9]
	scratch_load_b64 v[7:8], off, off offset:468 ; 8-byte Folded Reload
	s_waitcnt vmcnt(0)
	v_mad_u64_u32 v[0:1], null, v6, 56, v[7:8]
	s_waitcnt lgkmcnt(0)
	v_fma_mix_f32 v6, v4, v2, 0 op_sel_hi:[0,1,0]
	v_fma_mix_f32 v4, v4, v2, 0 op_sel:[0,1,0] op_sel_hi:[0,1,0]
	s_delay_alu instid0(VALU_DEP_2) | instskip(NEXT) | instid1(VALU_DEP_4)
	v_fma_mix_f32 v2, v5, v3, v6 op_sel_hi:[0,1,0]
	v_ashrrev_i32_e32 v1, 31, v0
	s_delay_alu instid0(VALU_DEP_3) | instskip(NEXT) | instid1(VALU_DEP_2)
	v_fma_mix_f32 v3, v5, v3, v4 op_sel:[0,1,0] op_sel_hi:[0,1,0]
	v_lshlrev_b64 v[0:1], 3, v[0:1]
	s_delay_alu instid0(VALU_DEP_1) | instskip(NEXT) | instid1(VALU_DEP_1)
	v_add_co_u32 v4, s4, s59, v0
	v_add_co_ci_u32_e64 v5, s4, s77, v1, s4
	v_mov_b32_e32 v0, 0
	global_store_b64 v[4:5], v[2:3], off
.LBB19_122:                             ;   in Loop: Header=BB19_12 Depth=1
	s_or_b32 exec_lo, exec_lo, s5
	s_mov_b32 s5, -1
	s_mov_b32 s8, exec_lo
	v_cmpx_gt_i32_e32 0x47, v0
; %bb.123:                              ;   in Loop: Header=BB19_12 Depth=1
	v_cmp_eq_u32_e64 s4, 0, v0
	s_delay_alu instid0(VALU_DEP_1)
	s_or_not1_b32 s5, s4, exec_lo
; %bb.124:                              ;   in Loop: Header=BB19_12 Depth=1
	s_or_b32 exec_lo, exec_lo, s8
	s_delay_alu instid0(SALU_CYCLE_1)
	s_and_b32 exec_lo, exec_lo, s5
	s_cbranch_execz .LBB19_167
; %bb.125:                              ;   in Loop: Header=BB19_12 Depth=1
	s_clause 0x1
	scratch_load_b32 v0, off, off offset:984
	scratch_load_b64 v[1:2], off, off offset:956
	s_waitcnt vmcnt(1)
	v_add_nc_u32_e32 v0, s65, v0
	s_waitcnt vmcnt(0)
	v_or_b32_e32 v1, s103, v1
	s_delay_alu instid0(VALU_DEP_1) | instskip(SKIP_2) | instid1(VALU_DEP_1)
	v_cmp_gt_i32_e64 s5, s84, v1
	v_mov_b32_e32 v1, 0x47
	v_cmp_gt_i32_e64 s4, s28, v0
	s_and_b32 s4, s4, s5
	s_delay_alu instid0(SALU_CYCLE_1)
	s_and_saveexec_b32 s5, s4
	s_cbranch_execz .LBB19_127
; %bb.126:                              ;   in Loop: Header=BB19_12 Depth=1
	scratch_load_b32 v1, off, off offset:988 ; 4-byte Folded Reload
	s_waitcnt vmcnt(0)
	v_add_nc_u32_e32 v1, 0, v1
	s_delay_alu instid0(VALU_DEP_1)
	v_add_nc_u32_e32 v3, 0xe0, v1
	scratch_load_b32 v1, off, off offset:992 ; 4-byte Folded Reload
	s_waitcnt vmcnt(0)
	ds_load_2addr_stride64_b32 v[1:2], v1 offset1:15
	ds_load_2addr_stride64_b32 v[3:4], v3 offset1:15
	scratch_load_b64 v[7:8], off, off offset:956 ; 8-byte Folded Reload
	s_waitcnt vmcnt(0)
	v_mad_u64_u32 v[5:6], null, v0, s29, v[7:8]
	scratch_load_b64 v[8:9], off, off offset:468 ; 8-byte Folded Reload
	s_waitcnt vmcnt(0)
	v_mad_u64_u32 v[6:7], null, v5, 56, v[8:9]
	s_waitcnt lgkmcnt(0)
	v_fma_mix_f32 v5, v3, v1, 0 op_sel_hi:[0,1,0]
	v_fma_mix_f32 v8, v3, v1, 0 op_sel:[0,1,0] op_sel_hi:[0,1,0]
	s_delay_alu instid0(VALU_DEP_2) | instskip(NEXT) | instid1(VALU_DEP_4)
	v_fma_mix_f32 v3, v4, v2, v5 op_sel_hi:[0,1,0]
	v_ashrrev_i32_e32 v7, 31, v6
	s_delay_alu instid0(VALU_DEP_3) | instskip(NEXT) | instid1(VALU_DEP_2)
	v_fma_mix_f32 v4, v4, v2, v8 op_sel:[0,1,0] op_sel_hi:[0,1,0]
	v_lshlrev_b64 v[0:1], 3, v[6:7]
	s_delay_alu instid0(VALU_DEP_1) | instskip(NEXT) | instid1(VALU_DEP_1)
	v_add_co_u32 v5, s4, s59, v0
	v_add_co_ci_u32_e64 v6, s4, s77, v1, s4
	v_mov_b32_e32 v1, 0
	global_store_b64 v[5:6], v[3:4], off
.LBB19_127:                             ;   in Loop: Header=BB19_12 Depth=1
	s_or_b32 exec_lo, exec_lo, s5
	s_mov_b32 s5, -1
	s_mov_b32 s8, exec_lo
	v_cmpx_gt_i32_e32 0x47, v1
; %bb.128:                              ;   in Loop: Header=BB19_12 Depth=1
	v_cmp_eq_u32_e64 s4, 0, v1
	s_delay_alu instid0(VALU_DEP_1)
	s_or_not1_b32 s5, s4, exec_lo
; %bb.129:                              ;   in Loop: Header=BB19_12 Depth=1
	s_or_b32 exec_lo, exec_lo, s8
	s_delay_alu instid0(SALU_CYCLE_1)
	s_and_b32 exec_lo, exec_lo, s5
	s_cbranch_execz .LBB19_167
; %bb.130:                              ;   in Loop: Header=BB19_12 Depth=1
	scratch_load_b32 v0, off, off offset:996 ; 4-byte Folded Reload
	s_waitcnt vmcnt(0)
	v_dual_mov_b32 v0, 0x47 :: v_dual_add_nc_u32 v1, s65, v0
	s_delay_alu instid0(VALU_DEP_1) | instskip(NEXT) | instid1(VALU_DEP_1)
	v_cmp_gt_i32_e64 s4, s28, v1
	s_and_b32 s4, s4, vcc_lo
	s_delay_alu instid0(SALU_CYCLE_1)
	s_and_saveexec_b32 s5, s4
	s_cbranch_execz .LBB19_132
; %bb.131:                              ;   in Loop: Header=BB19_12 Depth=1
	s_clause 0x1
	scratch_load_b32 v0, off, off offset:1016
	scratch_load_b32 v2, off, off offset:1020
	s_waitcnt vmcnt(1)
	v_add_nc_u32_e32 v0, 0, v0
	s_delay_alu instid0(VALU_DEP_1)
	v_add_nc_u32_e32 v0, 0xe0, v0
	s_waitcnt vmcnt(0)
	ds_load_2addr_stride64_b32 v[2:3], v2 offset1:15
	ds_load_2addr_stride64_b32 v[4:5], v0 offset1:15
	scratch_load_b64 v[8:9], off, off offset:460 ; 8-byte Folded Reload
	s_waitcnt vmcnt(0)
	v_mad_u64_u32 v[6:7], null, v1, s29, v[8:9]
	scratch_load_b64 v[7:8], off, off offset:468 ; 8-byte Folded Reload
	s_waitcnt vmcnt(0)
	v_mad_u64_u32 v[0:1], null, v6, 56, v[7:8]
	s_waitcnt lgkmcnt(0)
	v_fma_mix_f32 v6, v4, v2, 0 op_sel_hi:[0,1,0]
	v_fma_mix_f32 v4, v4, v2, 0 op_sel:[0,1,0] op_sel_hi:[0,1,0]
	s_delay_alu instid0(VALU_DEP_2) | instskip(NEXT) | instid1(VALU_DEP_4)
	v_fma_mix_f32 v2, v5, v3, v6 op_sel_hi:[0,1,0]
	v_ashrrev_i32_e32 v1, 31, v0
	s_delay_alu instid0(VALU_DEP_3) | instskip(NEXT) | instid1(VALU_DEP_2)
	v_fma_mix_f32 v3, v5, v3, v4 op_sel:[0,1,0] op_sel_hi:[0,1,0]
	v_lshlrev_b64 v[0:1], 3, v[0:1]
	s_delay_alu instid0(VALU_DEP_1) | instskip(NEXT) | instid1(VALU_DEP_1)
	v_add_co_u32 v4, s4, s59, v0
	v_add_co_ci_u32_e64 v5, s4, s77, v1, s4
	v_mov_b32_e32 v0, 0
	global_store_b64 v[4:5], v[2:3], off
.LBB19_132:                             ;   in Loop: Header=BB19_12 Depth=1
	s_or_b32 exec_lo, exec_lo, s5
	s_mov_b32 s5, -1
	s_mov_b32 s8, exec_lo
	v_cmpx_gt_i32_e32 0x47, v0
; %bb.133:                              ;   in Loop: Header=BB19_12 Depth=1
	v_cmp_eq_u32_e64 s4, 0, v0
	s_delay_alu instid0(VALU_DEP_1)
	s_or_not1_b32 s5, s4, exec_lo
; %bb.134:                              ;   in Loop: Header=BB19_12 Depth=1
	s_or_b32 exec_lo, exec_lo, s8
	s_delay_alu instid0(SALU_CYCLE_1)
	s_and_b32 exec_lo, exec_lo, s5
	s_cbranch_execz .LBB19_167
; %bb.135:                              ;   in Loop: Header=BB19_12 Depth=1
	s_clause 0x1
	scratch_load_b32 v0, off, off offset:1024
	scratch_load_b64 v[1:2], off, off offset:1008
	s_waitcnt vmcnt(1)
	v_add_nc_u32_e32 v0, s65, v0
	s_waitcnt vmcnt(0)
	v_or_b32_e32 v1, s103, v1
	s_delay_alu instid0(VALU_DEP_1) | instskip(SKIP_2) | instid1(VALU_DEP_1)
	v_cmp_gt_i32_e64 s5, s84, v1
	v_mov_b32_e32 v1, 0x47
	v_cmp_gt_i32_e64 s4, s28, v0
	s_and_b32 s4, s4, s5
	s_delay_alu instid0(SALU_CYCLE_1)
	s_and_saveexec_b32 s5, s4
	s_cbranch_execz .LBB19_137
; %bb.136:                              ;   in Loop: Header=BB19_12 Depth=1
	scratch_load_b32 v1, off, off offset:1028 ; 4-byte Folded Reload
	s_waitcnt vmcnt(0)
	v_add_nc_u32_e32 v1, 0, v1
	s_delay_alu instid0(VALU_DEP_1)
	v_add_nc_u32_e32 v3, 0xe0, v1
	scratch_load_b32 v1, off, off offset:1032 ; 4-byte Folded Reload
	s_waitcnt vmcnt(0)
	ds_load_2addr_stride64_b32 v[1:2], v1 offset1:15
	ds_load_2addr_stride64_b32 v[3:4], v3 offset1:15
	scratch_load_b64 v[7:8], off, off offset:1008 ; 8-byte Folded Reload
	s_waitcnt vmcnt(0)
	v_mad_u64_u32 v[5:6], null, v0, s29, v[7:8]
	scratch_load_b64 v[8:9], off, off offset:468 ; 8-byte Folded Reload
	s_waitcnt vmcnt(0)
	v_mad_u64_u32 v[6:7], null, v5, 56, v[8:9]
	s_waitcnt lgkmcnt(0)
	v_fma_mix_f32 v5, v3, v1, 0 op_sel_hi:[0,1,0]
	v_fma_mix_f32 v8, v3, v1, 0 op_sel:[0,1,0] op_sel_hi:[0,1,0]
	s_delay_alu instid0(VALU_DEP_2) | instskip(NEXT) | instid1(VALU_DEP_4)
	v_fma_mix_f32 v3, v4, v2, v5 op_sel_hi:[0,1,0]
	v_ashrrev_i32_e32 v7, 31, v6
	s_delay_alu instid0(VALU_DEP_3) | instskip(NEXT) | instid1(VALU_DEP_2)
	v_fma_mix_f32 v4, v4, v2, v8 op_sel:[0,1,0] op_sel_hi:[0,1,0]
	v_lshlrev_b64 v[0:1], 3, v[6:7]
	s_delay_alu instid0(VALU_DEP_1) | instskip(NEXT) | instid1(VALU_DEP_1)
	v_add_co_u32 v5, s4, s59, v0
	v_add_co_ci_u32_e64 v6, s4, s77, v1, s4
	v_mov_b32_e32 v1, 0
	global_store_b64 v[5:6], v[3:4], off
.LBB19_137:                             ;   in Loop: Header=BB19_12 Depth=1
	s_or_b32 exec_lo, exec_lo, s5
	s_mov_b32 s5, -1
	s_mov_b32 s8, exec_lo
	v_cmpx_gt_i32_e32 0x47, v1
; %bb.138:                              ;   in Loop: Header=BB19_12 Depth=1
	v_cmp_eq_u32_e64 s4, 0, v1
	s_delay_alu instid0(VALU_DEP_1)
	s_or_not1_b32 s5, s4, exec_lo
; %bb.139:                              ;   in Loop: Header=BB19_12 Depth=1
	s_or_b32 exec_lo, exec_lo, s8
	s_delay_alu instid0(SALU_CYCLE_1)
	s_and_b32 exec_lo, exec_lo, s5
	s_cbranch_execz .LBB19_167
; %bb.140:                              ;   in Loop: Header=BB19_12 Depth=1
	scratch_load_b32 v0, off, off offset:1036 ; 4-byte Folded Reload
	s_waitcnt vmcnt(0)
	v_dual_mov_b32 v0, 0x47 :: v_dual_add_nc_u32 v1, s65, v0
	s_delay_alu instid0(VALU_DEP_1) | instskip(NEXT) | instid1(VALU_DEP_1)
	v_cmp_gt_i32_e64 s4, s28, v1
	s_and_b32 s4, s4, vcc_lo
	s_delay_alu instid0(SALU_CYCLE_1)
	s_and_saveexec_b32 s5, s4
	s_cbranch_execz .LBB19_142
; %bb.141:                              ;   in Loop: Header=BB19_12 Depth=1
	s_clause 0x1
	scratch_load_b32 v0, off, off offset:1048
	scratch_load_b32 v2, off, off offset:1052
	s_waitcnt vmcnt(1)
	v_add_nc_u32_e32 v0, 0, v0
	s_delay_alu instid0(VALU_DEP_1)
	v_add_nc_u32_e32 v0, 0xe0, v0
	s_waitcnt vmcnt(0)
	ds_load_2addr_stride64_b32 v[2:3], v2 offset1:15
	ds_load_2addr_stride64_b32 v[4:5], v0 offset1:15
	scratch_load_b64 v[8:9], off, off offset:460 ; 8-byte Folded Reload
	s_waitcnt vmcnt(0)
	v_mad_u64_u32 v[6:7], null, v1, s29, v[8:9]
	scratch_load_b64 v[7:8], off, off offset:468 ; 8-byte Folded Reload
	s_waitcnt vmcnt(0)
	v_mad_u64_u32 v[0:1], null, v6, 56, v[7:8]
	s_waitcnt lgkmcnt(0)
	v_fma_mix_f32 v6, v4, v2, 0 op_sel_hi:[0,1,0]
	v_fma_mix_f32 v4, v4, v2, 0 op_sel:[0,1,0] op_sel_hi:[0,1,0]
	s_delay_alu instid0(VALU_DEP_2) | instskip(NEXT) | instid1(VALU_DEP_4)
	v_fma_mix_f32 v2, v5, v3, v6 op_sel_hi:[0,1,0]
	v_ashrrev_i32_e32 v1, 31, v0
	s_delay_alu instid0(VALU_DEP_3) | instskip(NEXT) | instid1(VALU_DEP_2)
	v_fma_mix_f32 v3, v5, v3, v4 op_sel:[0,1,0] op_sel_hi:[0,1,0]
	v_lshlrev_b64 v[0:1], 3, v[0:1]
	s_delay_alu instid0(VALU_DEP_1) | instskip(NEXT) | instid1(VALU_DEP_1)
	v_add_co_u32 v4, s4, s59, v0
	v_add_co_ci_u32_e64 v5, s4, s77, v1, s4
	v_mov_b32_e32 v0, 0
	global_store_b64 v[4:5], v[2:3], off
.LBB19_142:                             ;   in Loop: Header=BB19_12 Depth=1
	s_or_b32 exec_lo, exec_lo, s5
	s_mov_b32 s5, -1
	s_mov_b32 s8, exec_lo
	v_cmpx_gt_i32_e32 0x47, v0
; %bb.143:                              ;   in Loop: Header=BB19_12 Depth=1
	v_cmp_eq_u32_e64 s4, 0, v0
	s_delay_alu instid0(VALU_DEP_1)
	s_or_not1_b32 s5, s4, exec_lo
; %bb.144:                              ;   in Loop: Header=BB19_12 Depth=1
	s_or_b32 exec_lo, exec_lo, s8
	s_delay_alu instid0(SALU_CYCLE_1)
	s_and_b32 exec_lo, exec_lo, s5
	s_cbranch_execz .LBB19_167
; %bb.145:                              ;   in Loop: Header=BB19_12 Depth=1
	s_clause 0x1
	scratch_load_b32 v0, off, off offset:1056
	scratch_load_b64 v[1:2], off, off offset:1040
	s_waitcnt vmcnt(1)
	v_add_nc_u32_e32 v0, s65, v0
	s_waitcnt vmcnt(0)
	v_or_b32_e32 v1, s103, v1
	s_delay_alu instid0(VALU_DEP_1) | instskip(SKIP_2) | instid1(VALU_DEP_1)
	v_cmp_gt_i32_e64 s5, s84, v1
	v_mov_b32_e32 v1, 0x47
	v_cmp_gt_i32_e64 s4, s28, v0
	s_and_b32 s4, s4, s5
	s_delay_alu instid0(SALU_CYCLE_1)
	s_and_saveexec_b32 s5, s4
	s_cbranch_execz .LBB19_147
; %bb.146:                              ;   in Loop: Header=BB19_12 Depth=1
	scratch_load_b32 v1, off, off offset:1060 ; 4-byte Folded Reload
	s_waitcnt vmcnt(0)
	v_add_nc_u32_e32 v1, 0, v1
	s_delay_alu instid0(VALU_DEP_1)
	v_add_nc_u32_e32 v3, 0xe0, v1
	scratch_load_b32 v1, off, off offset:1064 ; 4-byte Folded Reload
	s_waitcnt vmcnt(0)
	ds_load_2addr_stride64_b32 v[1:2], v1 offset1:15
	ds_load_2addr_stride64_b32 v[3:4], v3 offset1:15
	scratch_load_b64 v[7:8], off, off offset:1040 ; 8-byte Folded Reload
	s_waitcnt vmcnt(0)
	v_mad_u64_u32 v[5:6], null, v0, s29, v[7:8]
	scratch_load_b64 v[8:9], off, off offset:468 ; 8-byte Folded Reload
	s_waitcnt vmcnt(0)
	v_mad_u64_u32 v[6:7], null, v5, 56, v[8:9]
	s_waitcnt lgkmcnt(0)
	v_fma_mix_f32 v5, v3, v1, 0 op_sel_hi:[0,1,0]
	v_fma_mix_f32 v8, v3, v1, 0 op_sel:[0,1,0] op_sel_hi:[0,1,0]
	s_delay_alu instid0(VALU_DEP_2) | instskip(NEXT) | instid1(VALU_DEP_4)
	v_fma_mix_f32 v3, v4, v2, v5 op_sel_hi:[0,1,0]
	v_ashrrev_i32_e32 v7, 31, v6
	s_delay_alu instid0(VALU_DEP_3) | instskip(NEXT) | instid1(VALU_DEP_2)
	v_fma_mix_f32 v4, v4, v2, v8 op_sel:[0,1,0] op_sel_hi:[0,1,0]
	v_lshlrev_b64 v[0:1], 3, v[6:7]
	s_delay_alu instid0(VALU_DEP_1) | instskip(NEXT) | instid1(VALU_DEP_1)
	v_add_co_u32 v5, s4, s59, v0
	v_add_co_ci_u32_e64 v6, s4, s77, v1, s4
	v_mov_b32_e32 v1, 0
	global_store_b64 v[5:6], v[3:4], off
.LBB19_147:                             ;   in Loop: Header=BB19_12 Depth=1
	s_or_b32 exec_lo, exec_lo, s5
	s_mov_b32 s5, -1
	s_mov_b32 s8, exec_lo
	v_cmpx_gt_i32_e32 0x47, v1
; %bb.148:                              ;   in Loop: Header=BB19_12 Depth=1
	v_cmp_eq_u32_e64 s4, 0, v1
	s_delay_alu instid0(VALU_DEP_1)
	s_or_not1_b32 s5, s4, exec_lo
; %bb.149:                              ;   in Loop: Header=BB19_12 Depth=1
	s_or_b32 exec_lo, exec_lo, s8
	s_delay_alu instid0(SALU_CYCLE_1)
	s_and_b32 exec_lo, exec_lo, s5
	s_cbranch_execz .LBB19_167
; %bb.150:                              ;   in Loop: Header=BB19_12 Depth=1
	scratch_load_b32 v0, off, off offset:1068 ; 4-byte Folded Reload
	s_waitcnt vmcnt(0)
	v_dual_mov_b32 v0, 0x47 :: v_dual_add_nc_u32 v1, s65, v0
	s_delay_alu instid0(VALU_DEP_1) | instskip(NEXT) | instid1(VALU_DEP_1)
	v_cmp_gt_i32_e64 s4, s28, v1
	s_and_b32 s4, s4, vcc_lo
	s_delay_alu instid0(SALU_CYCLE_1)
	s_and_saveexec_b32 s5, s4
	s_cbranch_execz .LBB19_152
; %bb.151:                              ;   in Loop: Header=BB19_12 Depth=1
	s_clause 0x1
	scratch_load_b32 v0, off, off offset:1080
	scratch_load_b32 v2, off, off offset:1084
	s_waitcnt vmcnt(1)
	v_add_nc_u32_e32 v0, 0, v0
	s_delay_alu instid0(VALU_DEP_1)
	v_add_nc_u32_e32 v0, 0xe0, v0
	s_waitcnt vmcnt(0)
	ds_load_2addr_stride64_b32 v[2:3], v2 offset1:15
	ds_load_2addr_stride64_b32 v[4:5], v0 offset1:15
	scratch_load_b64 v[8:9], off, off offset:460 ; 8-byte Folded Reload
	s_waitcnt vmcnt(0)
	v_mad_u64_u32 v[6:7], null, v1, s29, v[8:9]
	scratch_load_b64 v[7:8], off, off offset:468 ; 8-byte Folded Reload
	s_waitcnt vmcnt(0)
	v_mad_u64_u32 v[0:1], null, v6, 56, v[7:8]
	s_waitcnt lgkmcnt(0)
	v_fma_mix_f32 v6, v4, v2, 0 op_sel_hi:[0,1,0]
	v_fma_mix_f32 v4, v4, v2, 0 op_sel:[0,1,0] op_sel_hi:[0,1,0]
	s_delay_alu instid0(VALU_DEP_2) | instskip(NEXT) | instid1(VALU_DEP_4)
	v_fma_mix_f32 v2, v5, v3, v6 op_sel_hi:[0,1,0]
	v_ashrrev_i32_e32 v1, 31, v0
	s_delay_alu instid0(VALU_DEP_3) | instskip(NEXT) | instid1(VALU_DEP_2)
	v_fma_mix_f32 v3, v5, v3, v4 op_sel:[0,1,0] op_sel_hi:[0,1,0]
	v_lshlrev_b64 v[0:1], 3, v[0:1]
	s_delay_alu instid0(VALU_DEP_1) | instskip(NEXT) | instid1(VALU_DEP_1)
	v_add_co_u32 v4, s4, s59, v0
	v_add_co_ci_u32_e64 v5, s4, s77, v1, s4
	v_mov_b32_e32 v0, 0
	global_store_b64 v[4:5], v[2:3], off
.LBB19_152:                             ;   in Loop: Header=BB19_12 Depth=1
	s_or_b32 exec_lo, exec_lo, s5
	s_mov_b32 s5, -1
	s_mov_b32 s8, exec_lo
	v_cmpx_gt_i32_e32 0x47, v0
; %bb.153:                              ;   in Loop: Header=BB19_12 Depth=1
	v_cmp_eq_u32_e64 s4, 0, v0
	s_delay_alu instid0(VALU_DEP_1)
	s_or_not1_b32 s5, s4, exec_lo
; %bb.154:                              ;   in Loop: Header=BB19_12 Depth=1
	s_or_b32 exec_lo, exec_lo, s8
	s_delay_alu instid0(SALU_CYCLE_1)
	s_and_b32 exec_lo, exec_lo, s5
	s_cbranch_execz .LBB19_167
; %bb.155:                              ;   in Loop: Header=BB19_12 Depth=1
	s_clause 0x1
	scratch_load_b32 v0, off, off offset:1088
	scratch_load_b64 v[1:2], off, off offset:1072
	s_waitcnt vmcnt(1)
	v_add_nc_u32_e32 v0, s65, v0
	s_waitcnt vmcnt(0)
	v_or_b32_e32 v1, s103, v1
	s_delay_alu instid0(VALU_DEP_1) | instskip(SKIP_2) | instid1(VALU_DEP_1)
	v_cmp_gt_i32_e64 s5, s84, v1
	v_mov_b32_e32 v1, 0x47
	v_cmp_gt_i32_e64 s4, s28, v0
	s_and_b32 s4, s4, s5
	s_delay_alu instid0(SALU_CYCLE_1)
	s_and_saveexec_b32 s5, s4
	s_cbranch_execz .LBB19_157
; %bb.156:                              ;   in Loop: Header=BB19_12 Depth=1
	scratch_load_b32 v1, off, off offset:1092 ; 4-byte Folded Reload
	s_waitcnt vmcnt(0)
	v_add_nc_u32_e32 v1, 0, v1
	s_delay_alu instid0(VALU_DEP_1)
	v_add_nc_u32_e32 v3, 0xe0, v1
	scratch_load_b32 v1, off, off offset:1096 ; 4-byte Folded Reload
	s_waitcnt vmcnt(0)
	ds_load_2addr_stride64_b32 v[1:2], v1 offset1:15
	ds_load_2addr_stride64_b32 v[3:4], v3 offset1:15
	scratch_load_b64 v[7:8], off, off offset:1072 ; 8-byte Folded Reload
	s_waitcnt vmcnt(0)
	v_mad_u64_u32 v[5:6], null, v0, s29, v[7:8]
	scratch_load_b64 v[8:9], off, off offset:468 ; 8-byte Folded Reload
	s_waitcnt vmcnt(0)
	v_mad_u64_u32 v[6:7], null, v5, 56, v[8:9]
	s_waitcnt lgkmcnt(0)
	v_fma_mix_f32 v5, v3, v1, 0 op_sel_hi:[0,1,0]
	v_fma_mix_f32 v8, v3, v1, 0 op_sel:[0,1,0] op_sel_hi:[0,1,0]
	s_delay_alu instid0(VALU_DEP_2) | instskip(NEXT) | instid1(VALU_DEP_4)
	v_fma_mix_f32 v3, v4, v2, v5 op_sel_hi:[0,1,0]
	v_ashrrev_i32_e32 v7, 31, v6
	s_delay_alu instid0(VALU_DEP_3) | instskip(NEXT) | instid1(VALU_DEP_2)
	v_fma_mix_f32 v4, v4, v2, v8 op_sel:[0,1,0] op_sel_hi:[0,1,0]
	v_lshlrev_b64 v[0:1], 3, v[6:7]
	s_delay_alu instid0(VALU_DEP_1) | instskip(NEXT) | instid1(VALU_DEP_1)
	v_add_co_u32 v5, s4, s59, v0
	v_add_co_ci_u32_e64 v6, s4, s77, v1, s4
	v_mov_b32_e32 v1, 0
	global_store_b64 v[5:6], v[3:4], off
.LBB19_157:                             ;   in Loop: Header=BB19_12 Depth=1
	s_or_b32 exec_lo, exec_lo, s5
	s_mov_b32 s5, -1
	s_mov_b32 s8, exec_lo
	v_cmpx_gt_i32_e32 0x47, v1
; %bb.158:                              ;   in Loop: Header=BB19_12 Depth=1
	v_cmp_eq_u32_e64 s4, 0, v1
	s_delay_alu instid0(VALU_DEP_1)
	s_or_not1_b32 s5, s4, exec_lo
; %bb.159:                              ;   in Loop: Header=BB19_12 Depth=1
	s_or_b32 exec_lo, exec_lo, s8
	s_delay_alu instid0(SALU_CYCLE_1)
	s_and_b32 exec_lo, exec_lo, s5
	s_cbranch_execz .LBB19_167
; %bb.160:                              ;   in Loop: Header=BB19_12 Depth=1
	scratch_load_b32 v0, off, off offset:1100 ; 4-byte Folded Reload
	s_waitcnt vmcnt(0)
	v_dual_mov_b32 v0, 0x47 :: v_dual_add_nc_u32 v1, s65, v0
	s_delay_alu instid0(VALU_DEP_1) | instskip(NEXT) | instid1(VALU_DEP_1)
	v_cmp_gt_i32_e64 s4, s28, v1
	s_and_b32 s5, s4, vcc_lo
	s_delay_alu instid0(SALU_CYCLE_1)
	s_and_saveexec_b32 s4, s5
	s_cbranch_execz .LBB19_162
; %bb.161:                              ;   in Loop: Header=BB19_12 Depth=1
	s_clause 0x1
	scratch_load_b32 v0, off, off offset:1112
	scratch_load_b32 v2, off, off offset:1116
	s_waitcnt vmcnt(1)
	v_add_nc_u32_e32 v0, 0, v0
	s_delay_alu instid0(VALU_DEP_1)
	v_add_nc_u32_e32 v0, 0xe0, v0
	s_waitcnt vmcnt(0)
	ds_load_2addr_stride64_b32 v[2:3], v2 offset1:15
	ds_load_2addr_stride64_b32 v[4:5], v0 offset1:15
	scratch_load_b64 v[8:9], off, off offset:460 ; 8-byte Folded Reload
	s_waitcnt vmcnt(0)
	v_mad_u64_u32 v[6:7], null, v1, s29, v[8:9]
	scratch_load_b64 v[7:8], off, off offset:468 ; 8-byte Folded Reload
	s_waitcnt vmcnt(0)
	v_mad_u64_u32 v[0:1], null, v6, 56, v[7:8]
	s_waitcnt lgkmcnt(0)
	v_fma_mix_f32 v6, v4, v2, 0 op_sel_hi:[0,1,0]
	v_fma_mix_f32 v4, v4, v2, 0 op_sel:[0,1,0] op_sel_hi:[0,1,0]
	s_delay_alu instid0(VALU_DEP_2) | instskip(NEXT) | instid1(VALU_DEP_4)
	v_fma_mix_f32 v2, v5, v3, v6 op_sel_hi:[0,1,0]
	v_ashrrev_i32_e32 v1, 31, v0
	s_delay_alu instid0(VALU_DEP_3) | instskip(NEXT) | instid1(VALU_DEP_2)
	v_fma_mix_f32 v3, v5, v3, v4 op_sel:[0,1,0] op_sel_hi:[0,1,0]
	v_lshlrev_b64 v[0:1], 3, v[0:1]
	s_delay_alu instid0(VALU_DEP_1) | instskip(NEXT) | instid1(VALU_DEP_2)
	v_add_co_u32 v4, vcc_lo, s59, v0
	v_add_co_ci_u32_e32 v5, vcc_lo, s77, v1, vcc_lo
	v_mov_b32_e32 v0, 0
	global_store_b64 v[4:5], v[2:3], off
.LBB19_162:                             ;   in Loop: Header=BB19_12 Depth=1
	s_or_b32 exec_lo, exec_lo, s4
	s_mov_b32 s4, -1
	s_mov_b32 s5, exec_lo
	v_cmpx_gt_i32_e32 0x47, v0
; %bb.163:                              ;   in Loop: Header=BB19_12 Depth=1
	v_cmp_eq_u32_e32 vcc_lo, 0, v0
	s_or_not1_b32 s4, vcc_lo, exec_lo
; %bb.164:                              ;   in Loop: Header=BB19_12 Depth=1
	s_or_b32 exec_lo, exec_lo, s5
	s_delay_alu instid0(SALU_CYCLE_1)
	s_and_b32 exec_lo, exec_lo, s4
	s_cbranch_execz .LBB19_167
; %bb.165:                              ;   in Loop: Header=BB19_12 Depth=1
	s_clause 0x1
	scratch_load_b32 v0, off, off offset:1120
	scratch_load_b64 v[1:2], off, off offset:1104
	s_waitcnt vmcnt(1)
	v_add_nc_u32_e32 v0, s65, v0
	s_waitcnt vmcnt(0)
	v_or_b32_e32 v1, s103, v1
	s_delay_alu instid0(VALU_DEP_2) | instskip(NEXT) | instid1(VALU_DEP_2)
	v_cmp_gt_i32_e32 vcc_lo, s28, v0
	v_cmp_gt_i32_e64 s4, s84, v1
	s_delay_alu instid0(VALU_DEP_1) | instskip(NEXT) | instid1(SALU_CYCLE_1)
	s_and_b32 s4, vcc_lo, s4
	s_and_b32 exec_lo, exec_lo, s4
	s_cbranch_execz .LBB19_167
; %bb.166:                              ;   in Loop: Header=BB19_12 Depth=1
	scratch_load_b32 v1, off, off offset:1124 ; 4-byte Folded Reload
	s_waitcnt vmcnt(0)
	v_add_nc_u32_e32 v1, 0, v1
	s_delay_alu instid0(VALU_DEP_1)
	v_add_nc_u32_e32 v3, 0xe0, v1
	scratch_load_b32 v1, off, off offset:1128 ; 4-byte Folded Reload
	s_waitcnt vmcnt(0)
	ds_load_2addr_stride64_b32 v[1:2], v1 offset1:15
	ds_load_2addr_stride64_b32 v[3:4], v3 offset1:15
	scratch_load_b64 v[7:8], off, off offset:1104 ; 8-byte Folded Reload
	s_waitcnt vmcnt(0)
	v_mad_u64_u32 v[5:6], null, v0, s29, v[7:8]
	scratch_load_b64 v[8:9], off, off offset:468 ; 8-byte Folded Reload
	s_waitcnt vmcnt(0)
	v_mad_u64_u32 v[6:7], null, v5, 56, v[8:9]
	s_waitcnt lgkmcnt(0)
	v_fma_mix_f32 v5, v3, v1, 0 op_sel_hi:[0,1,0]
	v_fma_mix_f32 v8, v3, v1, 0 op_sel:[0,1,0] op_sel_hi:[0,1,0]
	s_delay_alu instid0(VALU_DEP_2) | instskip(NEXT) | instid1(VALU_DEP_4)
	v_fma_mix_f32 v3, v4, v2, v5 op_sel_hi:[0,1,0]
	v_ashrrev_i32_e32 v7, 31, v6
	s_delay_alu instid0(VALU_DEP_3) | instskip(NEXT) | instid1(VALU_DEP_2)
	v_fma_mix_f32 v4, v4, v2, v8 op_sel:[0,1,0] op_sel_hi:[0,1,0]
	v_lshlrev_b64 v[0:1], 3, v[6:7]
	s_delay_alu instid0(VALU_DEP_1) | instskip(NEXT) | instid1(VALU_DEP_2)
	v_add_co_u32 v0, vcc_lo, s59, v0
	v_add_co_ci_u32_e32 v1, vcc_lo, s77, v1, vcc_lo
	global_store_b64 v[0:1], v[3:4], off
.LBB19_167:                             ;   in Loop: Header=BB19_12 Depth=1
	s_or_b32 exec_lo, exec_lo, s7
	s_clause 0x1
	scratch_load_b32 v0, off, off offset:540
	scratch_load_b64 v[1:2], off, off offset:448
	s_waitcnt vmcnt(1)
	v_add_nc_u32_e32 v0, s65, v0
	s_waitcnt vmcnt(0)
	v_or_b32_e32 v1, s103, v1
	s_delay_alu instid0(VALU_DEP_1) | instskip(SKIP_2) | instid1(VALU_DEP_1)
	v_cmp_gt_i32_e32 vcc_lo, s84, v1
	v_mov_b32_e32 v1, 0x47
	v_cmp_gt_i32_e64 s4, s28, v0
	s_and_b32 s4, s4, vcc_lo
	s_delay_alu instid0(SALU_CYCLE_1)
	s_and_saveexec_b32 s5, s4
	s_cbranch_execz .LBB19_169
; %bb.168:                              ;   in Loop: Header=BB19_12 Depth=1
	s_clause 0x2
	scratch_load_b32 v1, off, off offset:600
	scratch_load_b32 v2, off, off offset:604
	scratch_load_b64 v[5:6], off, off offset:448
	s_waitcnt vmcnt(2)
	v_add_nc_u32_e32 v1, 0, v1
	s_waitcnt vmcnt(1)
	v_add_nc_u32_e32 v3, 0x80, v2
	s_delay_alu instid0(VALU_DEP_2)
	v_add_nc_u32_e32 v4, 0xe0, v1
	s_waitcnt vmcnt(0)
	v_mad_u64_u32 v[1:2], null, v0, s29, v[5:6]
	ds_load_2addr_stride64_b32 v[2:3], v3 offset1:15
	ds_load_2addr_stride64_b32 v[4:5], v4 offset1:15
	scratch_load_b32 v6, off, off offset:552 ; 4-byte Folded Reload
	v_mul_lo_u32 v0, v1, 56
	s_delay_alu instid0(VALU_DEP_1) | instskip(SKIP_2) | instid1(VALU_DEP_1)
	v_ashrrev_i32_e32 v1, 31, v0
	s_waitcnt vmcnt(0)
	v_add_co_u32 v0, s4, v0, v6
	v_add_co_ci_u32_e64 v1, s4, 0, v1, s4
	s_waitcnt lgkmcnt(0)
	v_fma_mix_f32 v6, v4, v2, 0 op_sel_hi:[0,1,0]
	v_fma_mix_f32 v4, v4, v2, 0 op_sel:[0,1,0] op_sel_hi:[0,1,0]
	s_delay_alu instid0(VALU_DEP_3) | instskip(NEXT) | instid1(VALU_DEP_3)
	v_lshlrev_b64 v[0:1], 3, v[0:1]
	v_fma_mix_f32 v2, v5, v3, v6 op_sel_hi:[0,1,0]
	s_delay_alu instid0(VALU_DEP_3) | instskip(NEXT) | instid1(VALU_DEP_3)
	v_fma_mix_f32 v3, v5, v3, v4 op_sel:[0,1,0] op_sel_hi:[0,1,0]
	v_add_co_u32 v4, s4, s59, v0
	s_delay_alu instid0(VALU_DEP_1)
	v_add_co_ci_u32_e64 v5, s4, s77, v1, s4
	v_mov_b32_e32 v1, 0
	global_store_b64 v[4:5], v[2:3], off offset:256
.LBB19_169:                             ;   in Loop: Header=BB19_12 Depth=1
	s_or_b32 exec_lo, exec_lo, s5
	s_mov_b32 s7, -1
	s_mov_b32 s5, exec_lo
	v_cmpx_gt_i32_e32 0x47, v1
; %bb.170:                              ;   in Loop: Header=BB19_12 Depth=1
	v_cmp_eq_u32_e64 s4, 0, v1
	s_delay_alu instid0(VALU_DEP_1)
	s_or_not1_b32 s7, s4, exec_lo
; %bb.171:                              ;   in Loop: Header=BB19_12 Depth=1
	s_or_b32 exec_lo, exec_lo, s5
	s_and_saveexec_b32 s5, s7
	s_cbranch_execz .LBB19_204
; %bb.172:                              ;   in Loop: Header=BB19_12 Depth=1
	scratch_load_b32 v0, off, off offset:608 ; 4-byte Folded Reload
	s_waitcnt vmcnt(0)
	v_dual_mov_b32 v0, 0x47 :: v_dual_add_nc_u32 v1, s65, v0
	s_delay_alu instid0(VALU_DEP_1) | instskip(NEXT) | instid1(VALU_DEP_1)
	v_cmp_gt_i32_e64 s4, s28, v1
	s_and_b32 s4, s4, vcc_lo
	s_delay_alu instid0(SALU_CYCLE_1)
	s_and_saveexec_b32 s7, s4
	s_cbranch_execz .LBB19_174
; %bb.173:                              ;   in Loop: Header=BB19_12 Depth=1
	s_clause 0x2
	scratch_load_b32 v0, off, off offset:768
	scratch_load_b32 v2, off, off offset:772
	scratch_load_b64 v[6:7], off, off offset:448
	s_waitcnt vmcnt(2)
	v_add_nc_u32_e32 v0, 0, v0
	s_waitcnt vmcnt(1)
	v_add_nc_u32_e32 v4, 0x80, v2
	s_waitcnt vmcnt(0)
	v_mad_u64_u32 v[2:3], null, v1, s29, v[6:7]
	v_add_nc_u32_e32 v5, 0xe0, v0
	ds_load_2addr_stride64_b32 v[0:1], v4 offset1:15
	ds_load_2addr_stride64_b32 v[3:4], v5 offset1:15
	scratch_load_b32 v5, off, off offset:552 ; 4-byte Folded Reload
	v_mul_lo_u32 v2, v2, 56
	s_delay_alu instid0(VALU_DEP_1)
	v_ashrrev_i32_e32 v6, 31, v2
	s_waitcnt lgkmcnt(0)
	v_fma_mix_f32 v7, v3, v0, 0 op_sel_hi:[0,1,0]
	v_fma_mix_f32 v0, v3, v0, 0 op_sel:[0,1,0] op_sel_hi:[0,1,0]
	s_waitcnt vmcnt(0)
	v_add_co_u32 v5, s4, v2, v5
	s_delay_alu instid0(VALU_DEP_1) | instskip(NEXT) | instid1(VALU_DEP_1)
	v_add_co_ci_u32_e64 v6, s4, 0, v6, s4
	v_lshlrev_b64 v[2:3], 3, v[5:6]
	v_fma_mix_f32 v5, v4, v1, v7 op_sel_hi:[0,1,0]
	v_fma_mix_f32 v6, v4, v1, v0 op_sel:[0,1,0] op_sel_hi:[0,1,0]
	v_mov_b32_e32 v0, 0
	s_delay_alu instid0(VALU_DEP_4) | instskip(NEXT) | instid1(VALU_DEP_1)
	v_add_co_u32 v1, s4, s59, v2
	v_add_co_ci_u32_e64 v2, s4, s77, v3, s4
	global_store_b64 v[1:2], v[5:6], off offset:256
.LBB19_174:                             ;   in Loop: Header=BB19_12 Depth=1
	s_or_b32 exec_lo, exec_lo, s7
	s_mov_b32 s7, -1
	s_mov_b32 s8, exec_lo
	v_cmpx_gt_i32_e32 0x47, v0
; %bb.175:                              ;   in Loop: Header=BB19_12 Depth=1
	v_cmp_eq_u32_e64 s4, 0, v0
	s_delay_alu instid0(VALU_DEP_1)
	s_or_not1_b32 s7, s4, exec_lo
; %bb.176:                              ;   in Loop: Header=BB19_12 Depth=1
	s_or_b32 exec_lo, exec_lo, s8
	s_delay_alu instid0(SALU_CYCLE_1)
	s_and_b32 exec_lo, exec_lo, s7
	s_cbranch_execz .LBB19_204
; %bb.177:                              ;   in Loop: Header=BB19_12 Depth=1
	scratch_load_b32 v0, off, off offset:776 ; 4-byte Folded Reload
	s_waitcnt vmcnt(0)
	v_dual_mov_b32 v0, 0x47 :: v_dual_add_nc_u32 v1, s65, v0
	s_delay_alu instid0(VALU_DEP_1) | instskip(NEXT) | instid1(VALU_DEP_1)
	v_cmp_gt_i32_e64 s4, s28, v1
	s_and_b32 s4, s4, vcc_lo
	s_delay_alu instid0(SALU_CYCLE_1)
	s_and_saveexec_b32 s7, s4
	s_cbranch_execz .LBB19_179
; %bb.178:                              ;   in Loop: Header=BB19_12 Depth=1
	s_clause 0x2
	scratch_load_b32 v0, off, off offset:808
	scratch_load_b32 v2, off, off offset:812
	scratch_load_b64 v[6:7], off, off offset:448
	s_waitcnt vmcnt(2)
	v_add_nc_u32_e32 v0, 0, v0
	s_waitcnt vmcnt(1)
	v_add_nc_u32_e32 v4, 0x80, v2
	s_waitcnt vmcnt(0)
	v_mad_u64_u32 v[2:3], null, v1, s29, v[6:7]
	v_add_nc_u32_e32 v5, 0xe0, v0
	ds_load_2addr_stride64_b32 v[0:1], v4 offset1:15
	ds_load_2addr_stride64_b32 v[3:4], v5 offset1:15
	scratch_load_b32 v5, off, off offset:552 ; 4-byte Folded Reload
	v_mul_lo_u32 v2, v2, 56
	s_delay_alu instid0(VALU_DEP_1)
	v_ashrrev_i32_e32 v6, 31, v2
	s_waitcnt lgkmcnt(0)
	v_fma_mix_f32 v7, v3, v0, 0 op_sel_hi:[0,1,0]
	v_fma_mix_f32 v0, v3, v0, 0 op_sel:[0,1,0] op_sel_hi:[0,1,0]
	s_waitcnt vmcnt(0)
	v_add_co_u32 v5, s4, v2, v5
	s_delay_alu instid0(VALU_DEP_1) | instskip(NEXT) | instid1(VALU_DEP_1)
	v_add_co_ci_u32_e64 v6, s4, 0, v6, s4
	v_lshlrev_b64 v[2:3], 3, v[5:6]
	v_fma_mix_f32 v5, v4, v1, v7 op_sel_hi:[0,1,0]
	v_fma_mix_f32 v6, v4, v1, v0 op_sel:[0,1,0] op_sel_hi:[0,1,0]
	v_mov_b32_e32 v0, 0
	s_delay_alu instid0(VALU_DEP_4) | instskip(NEXT) | instid1(VALU_DEP_1)
	v_add_co_u32 v1, s4, s59, v2
	v_add_co_ci_u32_e64 v2, s4, s77, v3, s4
	global_store_b64 v[1:2], v[5:6], off offset:256
.LBB19_179:                             ;   in Loop: Header=BB19_12 Depth=1
	s_or_b32 exec_lo, exec_lo, s7
	s_mov_b32 s7, -1
	s_mov_b32 s8, exec_lo
	v_cmpx_gt_i32_e32 0x47, v0
; %bb.180:                              ;   in Loop: Header=BB19_12 Depth=1
	v_cmp_eq_u32_e64 s4, 0, v0
	s_delay_alu instid0(VALU_DEP_1)
	s_or_not1_b32 s7, s4, exec_lo
; %bb.181:                              ;   in Loop: Header=BB19_12 Depth=1
	s_or_b32 exec_lo, exec_lo, s8
	s_delay_alu instid0(SALU_CYCLE_1)
	s_and_b32 exec_lo, exec_lo, s7
	;; [unrolled: 57-line block ×6, first 2 shown]
	s_cbranch_execz .LBB19_204
; %bb.202:                              ;   in Loop: Header=BB19_12 Depth=1
	scratch_load_b32 v0, off, off offset:980 ; 4-byte Folded Reload
	s_waitcnt vmcnt(0)
	v_add_nc_u32_e32 v0, s65, v0
	s_delay_alu instid0(VALU_DEP_1) | instskip(NEXT) | instid1(VALU_DEP_1)
	v_cmp_gt_i32_e64 s4, s28, v0
	s_and_b32 s4, s4, vcc_lo
	s_delay_alu instid0(SALU_CYCLE_1)
	s_and_b32 exec_lo, exec_lo, s4
	s_cbranch_execz .LBB19_204
; %bb.203:                              ;   in Loop: Header=BB19_12 Depth=1
	s_clause 0x2
	scratch_load_b32 v1, off, off offset:1000
	scratch_load_b32 v2, off, off offset:1004
	scratch_load_b64 v[5:6], off, off offset:448
	s_waitcnt vmcnt(2)
	v_add_nc_u32_e32 v1, 0, v1
	s_waitcnt vmcnt(1)
	v_add_nc_u32_e32 v3, 0x80, v2
	s_delay_alu instid0(VALU_DEP_2)
	v_add_nc_u32_e32 v4, 0xe0, v1
	s_waitcnt vmcnt(0)
	v_mad_u64_u32 v[1:2], null, v0, s29, v[5:6]
	ds_load_2addr_stride64_b32 v[2:3], v3 offset1:15
	ds_load_2addr_stride64_b32 v[4:5], v4 offset1:15
	scratch_load_b32 v6, off, off offset:552 ; 4-byte Folded Reload
	v_mul_lo_u32 v0, v1, 56
	s_delay_alu instid0(VALU_DEP_1) | instskip(SKIP_2) | instid1(VALU_DEP_2)
	v_ashrrev_i32_e32 v1, 31, v0
	s_waitcnt vmcnt(0)
	v_add_co_u32 v0, vcc_lo, v0, v6
	v_add_co_ci_u32_e32 v1, vcc_lo, 0, v1, vcc_lo
	s_waitcnt lgkmcnt(0)
	v_fma_mix_f32 v6, v4, v2, 0 op_sel_hi:[0,1,0]
	v_fma_mix_f32 v4, v4, v2, 0 op_sel:[0,1,0] op_sel_hi:[0,1,0]
	s_delay_alu instid0(VALU_DEP_3) | instskip(NEXT) | instid1(VALU_DEP_3)
	v_lshlrev_b64 v[0:1], 3, v[0:1]
	v_fma_mix_f32 v2, v5, v3, v6 op_sel_hi:[0,1,0]
	s_delay_alu instid0(VALU_DEP_3) | instskip(NEXT) | instid1(VALU_DEP_3)
	v_fma_mix_f32 v3, v5, v3, v4 op_sel:[0,1,0] op_sel_hi:[0,1,0]
	v_add_co_u32 v0, vcc_lo, s59, v0
	s_delay_alu instid0(VALU_DEP_4)
	v_add_co_ci_u32_e32 v1, vcc_lo, s77, v1, vcc_lo
	global_store_b64 v[0:1], v[2:3], off offset:256
.LBB19_204:                             ;   in Loop: Header=BB19_12 Depth=1
	s_or_b32 exec_lo, exec_lo, s5
	scratch_load_b32 v0, off, off offset:532 ; 4-byte Folded Reload
	s_waitcnt vmcnt(0)
	v_dual_mov_b32 v0, 0x47 :: v_dual_add_nc_u32 v1, s65, v0
	s_delay_alu instid0(VALU_DEP_1) | instskip(SKIP_1) | instid1(SALU_CYCLE_1)
	v_cmp_gt_i32_e32 vcc_lo, s28, v1
	s_and_b32 s5, vcc_lo, s3
	s_and_saveexec_b32 s4, s5
	s_cbranch_execz .LBB19_206
; %bb.205:                              ;   in Loop: Header=BB19_12 Depth=1
	s_clause 0x2
	scratch_load_b32 v0, off, off offset:612
	scratch_load_b32 v2, off, off offset:616
	scratch_load_b64 v[6:7], off, off offset:340
	s_waitcnt vmcnt(2)
	v_add_nc_u32_e32 v0, 0, v0
	s_waitcnt vmcnt(1)
	v_add_nc_u32_e32 v4, 0xc0, v2
	s_waitcnt vmcnt(0)
	v_mad_u64_u32 v[2:3], null, v1, s29, v[6:7]
	v_add_nc_u32_e32 v5, 0xe0, v0
	ds_load_2addr_stride64_b32 v[0:1], v4 offset1:15
	ds_load_2addr_stride64_b32 v[3:4], v5 offset1:15
	scratch_load_b32 v5, off, off offset:556 ; 4-byte Folded Reload
	v_mul_lo_u32 v2, v2, 56
	s_delay_alu instid0(VALU_DEP_1) | instskip(NEXT) | instid1(VALU_DEP_1)
	v_ashrrev_i32_e32 v6, 31, v2
	v_or_b32_e32 v6, 0, v6
	s_waitcnt lgkmcnt(0)
	v_fma_mix_f32 v7, v3, v0, 0 op_sel_hi:[0,1,0]
	v_fma_mix_f32 v0, v3, v0, 0 op_sel:[0,1,0] op_sel_hi:[0,1,0]
	s_waitcnt vmcnt(0)
	v_or_b32_e32 v5, v2, v5
	s_delay_alu instid0(VALU_DEP_1) | instskip(SKIP_3) | instid1(VALU_DEP_4)
	v_lshlrev_b64 v[2:3], 3, v[5:6]
	v_fma_mix_f32 v5, v4, v1, v7 op_sel_hi:[0,1,0]
	v_fma_mix_f32 v6, v4, v1, v0 op_sel:[0,1,0] op_sel_hi:[0,1,0]
	v_mov_b32_e32 v0, 0
	v_add_co_u32 v1, vcc_lo, s59, v2
	v_add_co_ci_u32_e32 v2, vcc_lo, s77, v3, vcc_lo
	global_store_b64 v[1:2], v[5:6], off offset:384
.LBB19_206:                             ;   in Loop: Header=BB19_12 Depth=1
	s_or_b32 exec_lo, exec_lo, s4
	s_mov_b32 s4, -1
	s_mov_b32 s5, exec_lo
	v_cmpx_gt_i32_e32 0x47, v0
; %bb.207:                              ;   in Loop: Header=BB19_12 Depth=1
	v_cmp_eq_u32_e32 vcc_lo, 0, v0
	s_or_not1_b32 s4, vcc_lo, exec_lo
; %bb.208:                              ;   in Loop: Header=BB19_12 Depth=1
	s_or_b32 exec_lo, exec_lo, s5
	s_delay_alu instid0(SALU_CYCLE_1)
	s_and_b32 exec_lo, exec_lo, s4
	s_cbranch_execz .LBB19_221
; %bb.209:                              ;   in Loop: Header=BB19_12 Depth=1
	scratch_load_b32 v0, off, off offset:620 ; 4-byte Folded Reload
	s_waitcnt vmcnt(0)
	v_dual_mov_b32 v0, 0x47 :: v_dual_add_nc_u32 v1, s65, v0
	s_delay_alu instid0(VALU_DEP_1) | instskip(SKIP_1) | instid1(SALU_CYCLE_1)
	v_cmp_gt_i32_e32 vcc_lo, s28, v1
	s_and_b32 s5, vcc_lo, s3
	s_and_saveexec_b32 s4, s5
	s_cbranch_execz .LBB19_211
; %bb.210:                              ;   in Loop: Header=BB19_12 Depth=1
	s_clause 0x2
	scratch_load_b32 v0, off, off offset:780
	scratch_load_b32 v2, off, off offset:784
	scratch_load_b64 v[6:7], off, off offset:340
	s_waitcnt vmcnt(2)
	v_add_nc_u32_e32 v0, 0, v0
	s_waitcnt vmcnt(1)
	v_add_nc_u32_e32 v4, 0xc0, v2
	s_waitcnt vmcnt(0)
	v_mad_u64_u32 v[2:3], null, v1, s29, v[6:7]
	v_add_nc_u32_e32 v5, 0xe0, v0
	ds_load_2addr_stride64_b32 v[0:1], v4 offset1:15
	ds_load_2addr_stride64_b32 v[3:4], v5 offset1:15
	scratch_load_b32 v5, off, off offset:556 ; 4-byte Folded Reload
	v_mul_lo_u32 v2, v2, 56
	s_delay_alu instid0(VALU_DEP_1) | instskip(NEXT) | instid1(VALU_DEP_1)
	v_ashrrev_i32_e32 v6, 31, v2
	v_or_b32_e32 v6, 0, v6
	s_waitcnt lgkmcnt(0)
	v_fma_mix_f32 v7, v3, v0, 0 op_sel_hi:[0,1,0]
	v_fma_mix_f32 v0, v3, v0, 0 op_sel:[0,1,0] op_sel_hi:[0,1,0]
	s_waitcnt vmcnt(0)
	v_or_b32_e32 v5, v2, v5
	s_delay_alu instid0(VALU_DEP_1) | instskip(SKIP_3) | instid1(VALU_DEP_4)
	v_lshlrev_b64 v[2:3], 3, v[5:6]
	v_fma_mix_f32 v5, v4, v1, v7 op_sel_hi:[0,1,0]
	v_fma_mix_f32 v6, v4, v1, v0 op_sel:[0,1,0] op_sel_hi:[0,1,0]
	v_mov_b32_e32 v0, 0
	v_add_co_u32 v1, vcc_lo, s59, v2
	v_add_co_ci_u32_e32 v2, vcc_lo, s77, v3, vcc_lo
	global_store_b64 v[1:2], v[5:6], off offset:384
.LBB19_211:                             ;   in Loop: Header=BB19_12 Depth=1
	s_or_b32 exec_lo, exec_lo, s4
	s_mov_b32 s4, -1
	s_mov_b32 s5, exec_lo
	v_cmpx_gt_i32_e32 0x47, v0
; %bb.212:                              ;   in Loop: Header=BB19_12 Depth=1
	v_cmp_eq_u32_e32 vcc_lo, 0, v0
	s_or_not1_b32 s4, vcc_lo, exec_lo
; %bb.213:                              ;   in Loop: Header=BB19_12 Depth=1
	s_or_b32 exec_lo, exec_lo, s5
	s_delay_alu instid0(SALU_CYCLE_1)
	s_and_b32 exec_lo, exec_lo, s4
	s_cbranch_execz .LBB19_221
; %bb.214:                              ;   in Loop: Header=BB19_12 Depth=1
	;; [unrolled: 54-line block ×3, first 2 shown]
	scratch_load_b32 v0, off, off offset:828 ; 4-byte Folded Reload
	s_waitcnt vmcnt(0)
	v_add_nc_u32_e32 v0, s65, v0
	s_delay_alu instid0(VALU_DEP_1) | instskip(SKIP_1) | instid1(SALU_CYCLE_1)
	v_cmp_gt_i32_e32 vcc_lo, s28, v0
	s_and_b32 s3, vcc_lo, s3
	s_and_b32 exec_lo, exec_lo, s3
	s_cbranch_execz .LBB19_221
; %bb.220:                              ;   in Loop: Header=BB19_12 Depth=1
	s_clause 0x2
	scratch_load_b32 v1, off, off offset:868
	scratch_load_b32 v2, off, off offset:872
	scratch_load_b64 v[5:6], off, off offset:340
	s_waitcnt vmcnt(2)
	v_add_nc_u32_e32 v1, 0, v1
	s_waitcnt vmcnt(1)
	v_add_nc_u32_e32 v3, 0xc0, v2
	s_delay_alu instid0(VALU_DEP_2)
	v_add_nc_u32_e32 v4, 0xe0, v1
	s_waitcnt vmcnt(0)
	v_mad_u64_u32 v[1:2], null, v0, s29, v[5:6]
	ds_load_2addr_stride64_b32 v[2:3], v3 offset1:15
	ds_load_2addr_stride64_b32 v[4:5], v4 offset1:15
	scratch_load_b32 v6, off, off offset:556 ; 4-byte Folded Reload
	v_mul_lo_u32 v0, v1, 56
	s_delay_alu instid0(VALU_DEP_1) | instskip(NEXT) | instid1(VALU_DEP_1)
	v_ashrrev_i32_e32 v1, 31, v0
	v_or_b32_e32 v1, 0, v1
	s_waitcnt vmcnt(0)
	v_or_b32_e32 v0, v0, v6
	s_waitcnt lgkmcnt(0)
	v_fma_mix_f32 v6, v4, v2, 0 op_sel_hi:[0,1,0]
	v_fma_mix_f32 v4, v4, v2, 0 op_sel:[0,1,0] op_sel_hi:[0,1,0]
	s_delay_alu instid0(VALU_DEP_3) | instskip(NEXT) | instid1(VALU_DEP_3)
	v_lshlrev_b64 v[0:1], 3, v[0:1]
	v_fma_mix_f32 v2, v5, v3, v6 op_sel_hi:[0,1,0]
	s_delay_alu instid0(VALU_DEP_3) | instskip(NEXT) | instid1(VALU_DEP_3)
	v_fma_mix_f32 v3, v5, v3, v4 op_sel:[0,1,0] op_sel_hi:[0,1,0]
	v_add_co_u32 v0, vcc_lo, s59, v0
	s_delay_alu instid0(VALU_DEP_4)
	v_add_co_ci_u32_e32 v1, vcc_lo, s77, v1, vcc_lo
	global_store_b64 v[0:1], v[2:3], off offset:384
.LBB19_221:                             ;   in Loop: Header=BB19_12 Depth=1
	s_or_b32 exec_lo, exec_lo, s6
	s_waitcnt vmcnt(0)
	s_waitcnt_vscnt null, 0x0
	s_barrier
	s_branch .LBB19_11
.LBB19_222:                             ;   in Loop: Header=BB19_12 Depth=1
	scratch_load_b32 v0, off, off offset:364 ; 4-byte Folded Reload
	s_lshl_b32 s33, s76, 3
	v_cmp_gt_i32_e32 vcc_lo, s84, v10
	s_xor_b32 s4, vcc_lo, -1
	s_waitcnt vmcnt(0)
	v_add_nc_u32_e32 v0, s33, v0
	s_delay_alu instid0(VALU_DEP_1) | instskip(NEXT) | instid1(VALU_DEP_1)
	v_cmp_le_i32_e64 s3, s28, v0
	s_or_b32 s3, s3, s4
	s_delay_alu instid0(SALU_CYCLE_1) | instskip(NEXT) | instid1(SALU_CYCLE_1)
	s_and_saveexec_b32 s5, s3
	s_xor_b32 s3, exec_lo, s5
	s_cbranch_execz .LBB19_224
; %bb.223:                              ;   in Loop: Header=BB19_12 Depth=1
	ds_store_b32 v175, v174
                                        ; implicit-def: $vgpr0
.LBB19_224:                             ;   in Loop: Header=BB19_12 Depth=1
	s_and_not1_saveexec_b32 s3, s3
	s_cbranch_execz .LBB19_226
; %bb.225:                              ;   in Loop: Header=BB19_12 Depth=1
	v_mad_u64_u32 v[1:2], null, v0, s69, v[64:65]
	s_delay_alu instid0(VALU_DEP_1) | instskip(NEXT) | instid1(VALU_DEP_1)
	v_ashrrev_i32_e32 v2, 31, v1
	v_lshlrev_b64 v[0:1], 3, v[1:2]
	s_delay_alu instid0(VALU_DEP_1) | instskip(NEXT) | instid1(VALU_DEP_2)
	v_add_co_u32 v0, vcc_lo, s19, v0
	v_add_co_ci_u32_e32 v1, vcc_lo, s96, v1, vcc_lo
	global_load_b64 v[0:1], v[0:1], off
	s_waitcnt vmcnt(0)
	v_cvt_f16_f32_e32 v0, v0
	v_cvt_f16_f32_e32 v1, v1
	s_delay_alu instid0(VALU_DEP_1) | instskip(NEXT) | instid1(VALU_DEP_1)
	v_pack_b32_f16 v0, v0, v1
	v_pk_mul_f16 v0, v216, v0
	ds_store_b32 v175, v0
.LBB19_226:                             ;   in Loop: Header=BB19_12 Depth=1
	s_or_b32 exec_lo, exec_lo, s3
	scratch_load_b32 v0, off, off offset:392 ; 4-byte Folded Reload
	s_waitcnt vmcnt(0)
	v_add_nc_u32_e32 v0, s33, v0
	s_delay_alu instid0(VALU_DEP_1) | instskip(SKIP_1) | instid1(SALU_CYCLE_1)
	v_cmp_le_i32_e32 vcc_lo, s28, v0
	s_or_b32 s3, vcc_lo, s4
	s_and_saveexec_b32 s5, s3
	s_delay_alu instid0(SALU_CYCLE_1)
	s_xor_b32 s3, exec_lo, s5
	s_cbranch_execz .LBB19_228
; %bb.227:                              ;   in Loop: Header=BB19_12 Depth=1
	ds_store_b32 v175, v174 offset:960
                                        ; implicit-def: $vgpr0
.LBB19_228:                             ;   in Loop: Header=BB19_12 Depth=1
	s_and_not1_saveexec_b32 s3, s3
	s_cbranch_execz .LBB19_230
; %bb.229:                              ;   in Loop: Header=BB19_12 Depth=1
	v_mad_u64_u32 v[1:2], null, v0, s69, v[64:65]
	s_delay_alu instid0(VALU_DEP_1) | instskip(NEXT) | instid1(VALU_DEP_1)
	v_ashrrev_i32_e32 v2, 31, v1
	v_lshlrev_b64 v[0:1], 3, v[1:2]
	s_delay_alu instid0(VALU_DEP_1) | instskip(NEXT) | instid1(VALU_DEP_2)
	v_add_co_u32 v0, vcc_lo, s19, v0
	v_add_co_ci_u32_e32 v1, vcc_lo, s96, v1, vcc_lo
	global_load_b64 v[0:1], v[0:1], off
	s_waitcnt vmcnt(0)
	v_cvt_f16_f32_e32 v0, v0
	v_cvt_f16_f32_e32 v1, v1
	s_delay_alu instid0(VALU_DEP_1) | instskip(NEXT) | instid1(VALU_DEP_1)
	v_pack_b32_f16 v0, v0, v1
	v_pk_mul_f16 v0, v216, v0
	ds_store_b32 v175, v0 offset:960
.LBB19_230:                             ;   in Loop: Header=BB19_12 Depth=1
	s_or_b32 exec_lo, exec_lo, s3
	scratch_load_b32 v0, off, off offset:396 ; 4-byte Folded Reload
	s_waitcnt vmcnt(0)
	v_add_nc_u32_e32 v0, s33, v0
	s_delay_alu instid0(VALU_DEP_1) | instskip(SKIP_1) | instid1(SALU_CYCLE_1)
	v_cmp_le_i32_e32 vcc_lo, s28, v0
	s_or_b32 s3, vcc_lo, s4
	s_and_saveexec_b32 s5, s3
	s_delay_alu instid0(SALU_CYCLE_1)
	s_xor_b32 s3, exec_lo, s5
	s_cbranch_execz .LBB19_232
; %bb.231:                              ;   in Loop: Header=BB19_12 Depth=1
	ds_store_b32 v175, v174 offset:1920
                                        ; implicit-def: $vgpr0
.LBB19_232:                             ;   in Loop: Header=BB19_12 Depth=1
	s_and_not1_saveexec_b32 s3, s3
	s_cbranch_execz .LBB19_234
; %bb.233:                              ;   in Loop: Header=BB19_12 Depth=1
	v_mad_u64_u32 v[1:2], null, v0, s69, v[64:65]
	s_delay_alu instid0(VALU_DEP_1) | instskip(NEXT) | instid1(VALU_DEP_1)
	v_ashrrev_i32_e32 v2, 31, v1
	v_lshlrev_b64 v[0:1], 3, v[1:2]
	s_delay_alu instid0(VALU_DEP_1) | instskip(NEXT) | instid1(VALU_DEP_2)
	v_add_co_u32 v0, vcc_lo, s19, v0
	v_add_co_ci_u32_e32 v1, vcc_lo, s96, v1, vcc_lo
	global_load_b64 v[0:1], v[0:1], off
	s_waitcnt vmcnt(0)
	v_cvt_f16_f32_e32 v0, v0
	v_cvt_f16_f32_e32 v1, v1
	s_delay_alu instid0(VALU_DEP_1) | instskip(NEXT) | instid1(VALU_DEP_1)
	v_pack_b32_f16 v0, v0, v1
	v_pk_mul_f16 v0, v216, v0
	ds_store_b32 v175, v0 offset:1920
.LBB19_234:                             ;   in Loop: Header=BB19_12 Depth=1
	;; [unrolled: 34-line block ×7, first 2 shown]
	s_or_b32 exec_lo, exec_lo, s3
	v_or_b32_e32 v1, s103, v179
	v_add_nc_u32_e32 v0, s33, v218
	s_delay_alu instid0(VALU_DEP_2) | instskip(NEXT) | instid1(VALU_DEP_2)
	v_cmp_gt_i32_e32 vcc_lo, s84, v1
	v_cmp_le_i32_e64 s3, s28, v0
	s_xor_b32 s4, vcc_lo, -1
	s_delay_alu instid0(VALU_DEP_1) | instid1(SALU_CYCLE_1)
	s_or_b32 s3, s3, s4
	s_delay_alu instid0(SALU_CYCLE_1) | instskip(NEXT) | instid1(SALU_CYCLE_1)
	s_and_saveexec_b32 s5, s3
	s_xor_b32 s3, exec_lo, s5
	s_cbranch_execz .LBB19_256
; %bb.255:                              ;   in Loop: Header=BB19_12 Depth=1
	ds_store_b32 v180, v174 offset:128
                                        ; implicit-def: $vgpr0
.LBB19_256:                             ;   in Loop: Header=BB19_12 Depth=1
	s_and_not1_saveexec_b32 s3, s3
	s_cbranch_execz .LBB19_258
; %bb.257:                              ;   in Loop: Header=BB19_12 Depth=1
	v_mad_u64_u32 v[1:2], null, v0, s69, v[63:64]
	s_delay_alu instid0(VALU_DEP_1) | instskip(NEXT) | instid1(VALU_DEP_1)
	v_ashrrev_i32_e32 v2, 31, v1
	v_lshlrev_b64 v[0:1], 3, v[1:2]
	s_delay_alu instid0(VALU_DEP_1) | instskip(NEXT) | instid1(VALU_DEP_2)
	v_add_co_u32 v0, vcc_lo, s19, v0
	v_add_co_ci_u32_e32 v1, vcc_lo, s96, v1, vcc_lo
	global_load_b64 v[0:1], v[0:1], off
	s_waitcnt vmcnt(0)
	v_cvt_f16_f32_e32 v0, v0
	v_cvt_f16_f32_e32 v1, v1
	s_delay_alu instid0(VALU_DEP_1) | instskip(NEXT) | instid1(VALU_DEP_1)
	v_pack_b32_f16 v0, v0, v1
	v_pk_mul_f16 v0, v216, v0
	ds_store_b32 v180, v0 offset:128
.LBB19_258:                             ;   in Loop: Header=BB19_12 Depth=1
	s_or_b32 exec_lo, exec_lo, s3
	v_add_nc_u32_e32 v0, s33, v217
	s_delay_alu instid0(VALU_DEP_1) | instskip(SKIP_1) | instid1(SALU_CYCLE_1)
	v_cmp_le_i32_e32 vcc_lo, s28, v0
	s_or_b32 s3, vcc_lo, s4
	s_and_saveexec_b32 s5, s3
	s_delay_alu instid0(SALU_CYCLE_1)
	s_xor_b32 s3, exec_lo, s5
	s_cbranch_execz .LBB19_260
; %bb.259:                              ;   in Loop: Header=BB19_12 Depth=1
	ds_store_b32 v180, v174 offset:2048
                                        ; implicit-def: $vgpr0
.LBB19_260:                             ;   in Loop: Header=BB19_12 Depth=1
	s_and_not1_saveexec_b32 s3, s3
	s_cbranch_execz .LBB19_262
; %bb.261:                              ;   in Loop: Header=BB19_12 Depth=1
	v_mad_u64_u32 v[1:2], null, v0, s69, v[63:64]
	s_delay_alu instid0(VALU_DEP_1) | instskip(NEXT) | instid1(VALU_DEP_1)
	v_ashrrev_i32_e32 v2, 31, v1
	v_lshlrev_b64 v[0:1], 3, v[1:2]
	s_delay_alu instid0(VALU_DEP_1) | instskip(NEXT) | instid1(VALU_DEP_2)
	v_add_co_u32 v0, vcc_lo, s19, v0
	v_add_co_ci_u32_e32 v1, vcc_lo, s96, v1, vcc_lo
	global_load_b64 v[0:1], v[0:1], off
	s_waitcnt vmcnt(0)
	v_cvt_f16_f32_e32 v0, v0
	v_cvt_f16_f32_e32 v1, v1
	s_delay_alu instid0(VALU_DEP_1) | instskip(NEXT) | instid1(VALU_DEP_1)
	v_pack_b32_f16 v0, v0, v1
	v_pk_mul_f16 v0, v216, v0
	ds_store_b32 v180, v0 offset:2048
.LBB19_262:                             ;   in Loop: Header=BB19_12 Depth=1
	s_or_b32 exec_lo, exec_lo, s3
	v_add_nc_u32_e32 v0, s33, v227
	s_delay_alu instid0(VALU_DEP_1) | instskip(SKIP_1) | instid1(SALU_CYCLE_1)
	v_cmp_le_i32_e32 vcc_lo, s28, v0
	s_or_b32 s3, vcc_lo, s4
	s_and_saveexec_b32 s5, s3
	s_delay_alu instid0(SALU_CYCLE_1)
	;; [unrolled: 32-line block ×3, first 2 shown]
	s_xor_b32 s3, exec_lo, s4
	s_cbranch_execz .LBB19_268
; %bb.267:                              ;   in Loop: Header=BB19_12 Depth=1
	ds_store_b32 v180, v174 offset:5888
                                        ; implicit-def: $vgpr0
.LBB19_268:                             ;   in Loop: Header=BB19_12 Depth=1
	s_and_not1_saveexec_b32 s3, s3
	s_cbranch_execz .LBB19_270
; %bb.269:                              ;   in Loop: Header=BB19_12 Depth=1
	v_mad_u64_u32 v[1:2], null, v0, s69, v[63:64]
	s_delay_alu instid0(VALU_DEP_1) | instskip(NEXT) | instid1(VALU_DEP_1)
	v_ashrrev_i32_e32 v2, 31, v1
	v_lshlrev_b64 v[0:1], 3, v[1:2]
	s_delay_alu instid0(VALU_DEP_1) | instskip(NEXT) | instid1(VALU_DEP_2)
	v_add_co_u32 v0, vcc_lo, s19, v0
	v_add_co_ci_u32_e32 v1, vcc_lo, s96, v1, vcc_lo
	global_load_b64 v[0:1], v[0:1], off
	s_waitcnt vmcnt(0)
	v_cvt_f16_f32_e32 v0, v0
	v_cvt_f16_f32_e32 v1, v1
	s_delay_alu instid0(VALU_DEP_1) | instskip(NEXT) | instid1(VALU_DEP_1)
	v_pack_b32_f16 v0, v0, v1
	v_pk_mul_f16 v0, v216, v0
	ds_store_b32 v180, v0 offset:5888
.LBB19_270:                             ;   in Loop: Header=BB19_12 Depth=1
	s_or_b32 exec_lo, exec_lo, s3
	scratch_load_b64 v[0:1], off, off offset:340 ; 8-byte Folded Reload
	s_waitcnt vmcnt(0)
	v_or_b32_e32 v1, s103, v0
	v_add_nc_u32_e32 v0, s33, v186
	s_delay_alu instid0(VALU_DEP_2) | instskip(NEXT) | instid1(VALU_DEP_2)
	v_cmp_gt_i32_e64 s3, s84, v1
	v_cmp_le_i32_e32 vcc_lo, s28, v0
	s_delay_alu instid0(VALU_DEP_2) | instskip(NEXT) | instid1(SALU_CYCLE_1)
	s_xor_b32 s4, s3, -1
	s_or_b32 s5, vcc_lo, s4
	s_delay_alu instid0(SALU_CYCLE_1) | instskip(NEXT) | instid1(SALU_CYCLE_1)
	s_and_saveexec_b32 s6, s5
	s_xor_b32 s5, exec_lo, s6
	s_cbranch_execz .LBB19_272
; %bb.271:                              ;   in Loop: Header=BB19_12 Depth=1
	ds_store_b32 v189, v174 offset:192
                                        ; implicit-def: $vgpr0
.LBB19_272:                             ;   in Loop: Header=BB19_12 Depth=1
	s_and_not1_saveexec_b32 s5, s5
	s_cbranch_execz .LBB19_274
; %bb.273:                              ;   in Loop: Header=BB19_12 Depth=1
	scratch_load_b64 v[3:4], off, off offset:380 ; 8-byte Folded Reload
	s_waitcnt vmcnt(0)
	v_mad_u64_u32 v[1:2], null, v0, s69, v[3:4]
	s_delay_alu instid0(VALU_DEP_1) | instskip(NEXT) | instid1(VALU_DEP_1)
	v_ashrrev_i32_e32 v2, 31, v1
	v_lshlrev_b64 v[0:1], 3, v[1:2]
	s_delay_alu instid0(VALU_DEP_1) | instskip(NEXT) | instid1(VALU_DEP_2)
	v_add_co_u32 v0, vcc_lo, s19, v0
	v_add_co_ci_u32_e32 v1, vcc_lo, s96, v1, vcc_lo
	global_load_b64 v[0:1], v[0:1], off
	s_waitcnt vmcnt(0)
	v_cvt_f16_f32_e32 v0, v0
	v_cvt_f16_f32_e32 v1, v1
	s_delay_alu instid0(VALU_DEP_1) | instskip(NEXT) | instid1(VALU_DEP_1)
	v_pack_b32_f16 v0, v0, v1
	v_pk_mul_f16 v0, v216, v0
	ds_store_b32 v189, v0 offset:192
.LBB19_274:                             ;   in Loop: Header=BB19_12 Depth=1
	s_or_b32 exec_lo, exec_lo, s5
	scratch_load_b32 v0, off, off offset:376 ; 4-byte Folded Reload
	s_waitcnt vmcnt(0)
	v_add_nc_u32_e32 v0, s33, v0
	s_delay_alu instid0(VALU_DEP_1) | instskip(SKIP_1) | instid1(SALU_CYCLE_1)
	v_cmp_le_i32_e32 vcc_lo, s28, v0
	s_or_b32 s4, vcc_lo, s4
	s_and_saveexec_b32 s5, s4
	s_delay_alu instid0(SALU_CYCLE_1)
	s_xor_b32 s4, exec_lo, s5
	s_cbranch_execz .LBB19_276
; %bb.275:                              ;   in Loop: Header=BB19_12 Depth=1
	ds_store_b32 v189, v174 offset:4032
                                        ; implicit-def: $vgpr0
.LBB19_276:                             ;   in Loop: Header=BB19_12 Depth=1
	s_and_not1_saveexec_b32 s4, s4
	s_cbranch_execz .LBB19_278
; %bb.277:                              ;   in Loop: Header=BB19_12 Depth=1
	scratch_load_b64 v[3:4], off, off offset:380 ; 8-byte Folded Reload
	s_waitcnt vmcnt(0)
	v_mad_u64_u32 v[1:2], null, v0, s69, v[3:4]
	s_delay_alu instid0(VALU_DEP_1) | instskip(NEXT) | instid1(VALU_DEP_1)
	v_ashrrev_i32_e32 v2, 31, v1
	v_lshlrev_b64 v[0:1], 3, v[1:2]
	s_delay_alu instid0(VALU_DEP_1) | instskip(NEXT) | instid1(VALU_DEP_2)
	v_add_co_u32 v0, vcc_lo, s19, v0
	v_add_co_ci_u32_e32 v1, vcc_lo, s96, v1, vcc_lo
	global_load_b64 v[0:1], v[0:1], off
	s_waitcnt vmcnt(0)
	v_cvt_f16_f32_e32 v0, v0
	v_cvt_f16_f32_e32 v1, v1
	s_delay_alu instid0(VALU_DEP_1) | instskip(NEXT) | instid1(VALU_DEP_1)
	v_pack_b32_f16 v0, v0, v1
	v_pk_mul_f16 v0, v216, v0
	ds_store_b32 v189, v0 offset:4032
.LBB19_278:                             ;   in Loop: Header=BB19_12 Depth=1
	s_or_b32 exec_lo, exec_lo, s4
	s_clause 0x1
	scratch_load_b32 v0, off, off offset:388
	scratch_load_b32 v1, off, off offset:372
	s_waitcnt vmcnt(0) lgkmcnt(0)
	s_waitcnt_vscnt null, 0x0
	s_barrier
	buffer_gl0_inv
	s_cmp_gt_i32 s9, 1
	v_dual_mov_b32 v219, v238 :: v_dual_add_nc_u32 v0, v1, v0
	ds_load_b128 v[80:83], v0
	ds_load_b128 v[84:87], v0 offset:16
	ds_load_b128 v[64:67], v0 offset:32
	;; [unrolled: 1-line block ×13, first 2 shown]
	s_waitcnt lgkmcnt(0)
	s_barrier
	buffer_gl0_inv
	s_cbranch_scc1 .LBB19_280
; %bb.279:                              ;   in Loop: Header=BB19_12 Depth=1
	v_dual_mov_b32 v231, v116 :: v_dual_add_nc_u32 v0, s33, v214
	v_dual_mov_b32 v144, 32 :: v_dual_add_nc_u32 v1, s33, v116
	s_mov_b32 s86, 0
	s_delay_alu instid0(VALU_DEP_2) | instskip(SKIP_1) | instid1(VALU_DEP_2)
	v_mul_hi_u32 v2, s56, v0
	s_mov_b32 s4, 0xfeffffff
	v_mul_hi_u32 v3, s56, v1
	s_delay_alu instid0(VALU_DEP_2) | instskip(NEXT) | instid1(VALU_DEP_2)
	v_add_nc_u32_e32 v2, v0, v2
	v_add_nc_u32_e32 v3, v1, v3
	s_delay_alu instid0(VALU_DEP_2) | instskip(NEXT) | instid1(VALU_DEP_2)
	v_lshrrev_b32_e32 v2, s57, v2
	v_lshrrev_b32_e32 v3, s57, v3
	s_delay_alu instid0(VALU_DEP_2) | instskip(NEXT) | instid1(VALU_DEP_2)
	v_mul_lo_u32 v2, v2, s28
	v_mul_lo_u32 v3, v3, s28
	s_delay_alu instid0(VALU_DEP_2) | instskip(NEXT) | instid1(VALU_DEP_2)
	v_sub_nc_u32_e32 v0, v0, v2
	v_sub_nc_u32_e32 v1, v1, v3
	s_delay_alu instid0(VALU_DEP_2)
	v_mad_i64_i32 v[130:131], null, v0, s58, 0
	scratch_load_b32 v0, off, off offset:336 ; 4-byte Folded Reload
	v_mad_i64_i32 v[128:129], null, v1, s58, 0
	s_waitcnt vmcnt(0)
	v_xor_b32_e32 v143, 16, v0
	s_branch .LBB19_281
.LBB19_280:                             ;   in Loop: Header=BB19_12 Depth=1
	v_mov_b32_e32 v231, v116
	s_mov_b32 s86, -1
                                        ; implicit-def: $sgpr4
                                        ; implicit-def: $vgpr130_vgpr131
                                        ; implicit-def: $vgpr128_vgpr129
                                        ; implicit-def: $vgpr143
                                        ; implicit-def: $vgpr144
.LBB19_281:                             ;   in Loop: Header=BB19_12 Depth=1
	s_delay_alu instid0(SALU_CYCLE_1)
	v_dual_mov_b32 v7, s86 :: v_dual_mov_b32 v6, s86
	v_dual_mov_b32 v5, s86 :: v_dual_mov_b32 v4, s86
	;; [unrolled: 1-line block ×29, first 2 shown]
	s_and_not1_b32 vcc_lo, exec_lo, s86
	s_cbranch_vccnz .LBB19_285
; %bb.282:                              ;   in Loop: Header=BB19_12 Depth=1
	s_clause 0x2
	scratch_load_b32 v4, off, off offset:336
	scratch_load_b64 v[5:6], off, off offset:352
	scratch_load_b32 v114, off, off offset:628
	v_dual_mov_b32 v238, v118 :: v_dual_add_nc_u32 v1, s33, v231
	v_dual_mov_b32 v235, v214 :: v_dual_add_nc_u32 v0, s33, v214
	s_add_i32 s86, s9, -1
	v_readlane_b32 s8, v255, 7
	s_delay_alu instid0(VALU_DEP_3)
	v_mul_hi_u32 v3, s56, v1
	s_add_u32 s4, s15, s13
	v_mul_hi_u32 v2, s56, v0
	s_addc_u32 s5, s74, s16
	v_mov_b32_e32 v142, 0
	s_add_u32 s76, s4, 0xc0
	s_addc_u32 s96, s5, 0
	s_add_u32 s6, s17, s18
	v_add_nc_u32_e32 v3, v1, v3
	s_delay_alu instid0(VALU_DEP_3) | instskip(SKIP_2) | instid1(VALU_DEP_3)
	v_dual_mov_b32 v9, v142 :: v_dual_add_nc_u32 v2, v0, v2
	s_addc_u32 s7, s12, s14
	v_dual_mov_b32 v8, 0 :: v_dual_mov_b32 v11, v142
	v_lshrrev_b32_e32 v3, s57, v3
	s_delay_alu instid0(VALU_DEP_3) | instskip(SKIP_2) | instid1(VALU_DEP_3)
	v_lshrrev_b32_e32 v2, s57, v2
	v_dual_mov_b32 v10, v142 :: v_dual_mov_b32 v145, 0xfeffffff
	v_dual_mov_b32 v12, v142 :: v_dual_add_nc_u32 v217, 0x80, v249
	v_mul_lo_u32 v2, v2, s28
	v_mul_lo_u32 v3, v3, s28
	v_mov_b32_e32 v14, v142
	v_dual_mov_b32 v16, 0 :: v_dual_mov_b32 v17, v142
	v_mov_b32_e32 v18, v142
	v_dual_mov_b32 v19, v142 :: v_dual_mov_b32 v24, 0
	v_sub_nc_u32_e32 v112, v0, v2
	v_sub_nc_u32_e32 v113, v1, v3
	v_mov_b32_e32 v20, v142
	v_dual_mov_b32 v21, v142 :: v_dual_mov_b32 v32, 0
	s_delay_alu instid0(VALU_DEP_4) | instskip(NEXT) | instid1(VALU_DEP_4)
	v_mad_i64_i32 v[130:131], null, v112, s58, 0
	v_mad_i64_i32 v[128:129], null, v113, s58, 0
	v_mov_b32_e32 v22, v142
	v_dual_mov_b32 v23, v142 :: v_dual_mov_b32 v40, 0
	v_dual_mov_b32 v25, v142 :: v_dual_mov_b32 v48, 0
	v_mov_b32_e32 v26, v142
	v_mov_b32_e32 v27, v142
	;; [unrolled: 1-line block ×3, first 2 shown]
	v_dual_mov_b32 v29, v142 :: v_dual_mov_b32 v144, 32
	v_mov_b32_e32 v30, v142
	v_dual_mov_b32 v31, v142 :: v_dual_add_nc_u32 v218, 0xa0, v249
	v_mov_b32_e32 v33, v142
	v_mov_b32_e32 v34, v142
	;; [unrolled: 1-line block ×22, first 2 shown]
	s_mov_b32 s65, s86
	v_readlane_b32 s9, v255, 8
	v_mov_b32_e32 v15, v142
	s_waitcnt vmcnt(2)
	v_xor_b32_e32 v143, 16, v4
	s_waitcnt vmcnt(1)
	v_mad_i64_i32 v[0:1], null, s8, v112, v[5:6]
	v_mad_i64_i32 v[2:3], null, s8, v113, v[5:6]
	scratch_load_b32 v5, off, off offset:676 ; 4-byte Folded Reload
	v_cmp_gt_i32_e32 vcc_lo, 32, v143
	v_mov_b32_e32 v13, v142
	v_mov_b32_e32 v6, v142
	scratch_load_b32 v112, off, off offset:684 ; 4-byte Folded Reload
	v_cndmask_b32_e32 v4, v4, v143, vcc_lo
	s_delay_alu instid0(VALU_DEP_1)
	v_lshlrev_b32_e32 v146, 2, v4
	v_mov_b32_e32 v4, v142
	s_waitcnt vmcnt(1)
	v_add_co_u32 v132, vcc_lo, v5, v0
	scratch_load_b32 v0, off, off offset:680 ; 4-byte Folded Reload
	s_waitcnt vmcnt(0)
	v_add_co_ci_u32_e32 v133, vcc_lo, v0, v1, vcc_lo
	v_add_co_u32 v134, vcc_lo, v5, v2
	v_add_co_ci_u32_e32 v135, vcc_lo, v0, v3, vcc_lo
	scratch_load_b32 v0, off, off offset:652 ; 4-byte Folded Reload
	v_mov_b32_e32 v1, v142
	v_mov_b32_e32 v2, v142
	;; [unrolled: 1-line block ×4, first 2 shown]
	s_waitcnt vmcnt(0)
	v_add_co_u32 v136, vcc_lo, v0, s6
	scratch_load_b32 v0, off, off offset:656 ; 4-byte Folded Reload
	s_waitcnt vmcnt(0)
	v_add_co_ci_u32_e32 v137, vcc_lo, s7, v0, vcc_lo
	v_add_co_u32 v147, vcc_lo, v114, s13
	scratch_load_b32 v114, off, off offset:632 ; 4-byte Folded Reload
	v_mov_b32_e32 v0, 0
	s_waitcnt vmcnt(0)
	v_add_co_ci_u32_e32 v148, vcc_lo, s16, v114, vcc_lo
	v_add_co_u32 v149, vcc_lo, v112, s4
	scratch_load_b32 v112, off, off offset:688 ; 4-byte Folded Reload
	s_waitcnt vmcnt(0)
	v_add_co_ci_u32_e32 v150, vcc_lo, s5, v112, vcc_lo
	scratch_load_b32 v112, off, off offset:692 ; 4-byte Folded Reload
	s_waitcnt vmcnt(0)
	v_add_co_u32 v151, vcc_lo, v112, s4
	scratch_load_b32 v112, off, off offset:696 ; 4-byte Folded Reload
	s_waitcnt vmcnt(0)
	v_add_co_ci_u32_e32 v152, vcc_lo, s5, v112, vcc_lo
	scratch_load_b32 v112, off, off offset:700 ; 4-byte Folded Reload
	s_waitcnt vmcnt(0)
	;; [unrolled: 6-line block ×9, first 2 shown]
	v_add_co_u32 v167, vcc_lo, v112, s6
	s_clause 0x5
	scratch_load_b32 v112, off, off offset:744
	scratch_load_b64 v[138:139], off, off offset:644
	scratch_load_b64 v[140:141], off, off offset:636
	scratch_load_b32 v223, off, off offset:328
	scratch_load_b32 v224, off, off offset:332
	;; [unrolled: 1-line block ×3, first 2 shown]
	s_waitcnt vmcnt(5)
	v_add_co_ci_u32_e32 v168, vcc_lo, s7, v112, vcc_lo
.LBB19_283:                             ;   Parent Loop BB19_12 Depth=1
                                        ; =>  This Inner Loop Header: Depth=2
	global_load_b32 v113, v[132:133], off
	global_load_b32 v114, v[134:135], off
	v_add_nc_u32_e32 v112, v209, v178
	v_add_nc_u32_e32 v169, v199, v207
	v_cmp_eq_u32_e64 s4, 0, v237
	v_cmp_eq_u32_e64 s5, 0, v234
	;; [unrolled: 1-line block ×3, first 2 shown]
	v_add_nc_u32_e32 v112, 0x3c00, v112
	s_add_i32 s65, s65, -1
	s_delay_alu instid0(SALU_CYCLE_1)
	s_cmp_lg_u32 s65, 0
	s_waitcnt vmcnt(0)
	ds_store_2addr_b32 v112, v113, v114 offset1:144
	global_load_b128 v[112:115], v[136:137], off
	v_add_co_u32 v136, s12, v136, s80
	s_waitcnt vmcnt(0)
	ds_store_b128 v233, v[112:115]
	v_add_co_u32 v112, vcc_lo, v157, v224
	v_add_co_ci_u32_e32 v113, vcc_lo, 0, v158, vcc_lo
	v_add_co_u32 v157, s13, v157, s80
	global_load_b128 v[112:115], v[112:113], off
	s_waitcnt vmcnt(0)
	ds_store_b128 v242, v[112:115]
	v_add_co_u32 v112, vcc_lo, v159, v224
	v_add_co_ci_u32_e32 v113, vcc_lo, 0, v160, vcc_lo
	v_add_co_u32 v159, s14, v159, s80
	global_load_b128 v[112:115], v[112:113], off
	;; [unrolled: 6-line block ×6, first 2 shown]
	s_waitcnt vmcnt(0)
	ds_store_b128 v228, v[112:115]
	s_waitcnt lgkmcnt(0)
	s_barrier
	buffer_gl0_inv
	v_dual_mov_b32 v230, s27 :: v_dual_mov_b32 v227, s24
	ds_load_b128 v[112:115], v169
	ds_load_b128 v[116:119], v169 offset:16
	ds_load_b128 v[120:123], v169 offset:7680
	;; [unrolled: 1-line block ×3, first 2 shown]
	v_dual_mov_b32 v229, s26 :: v_dual_mov_b32 v228, s25
	v_dual_mov_b32 v225, s22 :: v_dual_mov_b32 v226, s23
	;; [unrolled: 1-line block ×3, first 2 shown]
	s_waitcnt lgkmcnt(2)
	s_delay_alu instid0(VALU_DEP_1)
	v_wmma_f32_16x16x16_f16 v[191:198], v[112:119], v[80:87], v[223:230]
	s_waitcnt lgkmcnt(0)
	v_wmma_f32_16x16x16_f16 v[199:206], v[120:127], v[80:87], v[223:230]
	s_clause 0x1
	scratch_load_b32 v224, off, off offset:332
	scratch_load_b32 v223, off, off offset:328
	ds_load_b128 v[112:115], v169 offset:32
	ds_load_b128 v[116:119], v169 offset:48
	s_waitcnt lgkmcnt(0)
	v_wmma_f32_16x16x16_f16 v[191:198], v[112:119], v[64:71], v[191:198]
	ds_load_b128 v[112:115], v169 offset:7712
	ds_load_b128 v[116:119], v169 offset:7728
	s_waitcnt lgkmcnt(0)
	v_wmma_f32_16x16x16_f16 v[199:206], v[112:119], v[64:71], v[199:206]
	;; [unrolled: 4-line block ×11, first 2 shown]
	ds_load_b128 v[112:115], v169 offset:7872
	ds_load_b128 v[116:119], v169 offset:7888
	s_waitcnt vmcnt(0) lgkmcnt(0)
	s_barrier
	buffer_gl0_inv
	ds_load_u16 v121, v232 offset:68
	ds_load_u16 v122, v232 offset:72
	ds_load_u16 v123, v232 offset:76
	ds_load_u16 v124, v232 offset:80
	scratch_load_b32 v228, off, off offset:16 ; 4-byte Folded Reload
	v_wmma_f32_16x16x16_f16 v[199:206], v[112:119], v[96:103], v[199:206]
	ds_load_u16 v112, v248 offset:15360
	ds_load_u16 v113, v248 offset:15364
	s_waitcnt lgkmcnt(5)
	v_cvt_f32_f16_e32 v121, v121
	s_waitcnt lgkmcnt(4)
	v_cvt_f32_f16_e32 v122, v122
	;; [unrolled: 2-line block ×3, first 2 shown]
	s_waitcnt lgkmcnt(2)
	v_cvt_f32_f16_e64 v169, v124
	ds_load_u16 v124, v232 offset:84
	v_dual_add_f32 v126, v200, v121 :: v_dual_add_f32 v125, v201, v122
	v_add_nc_u32_e32 v201, 0x60, v249
	s_waitcnt lgkmcnt(2)
	v_cvt_f32_f16_e32 v112, v112
	s_waitcnt lgkmcnt(1)
	v_cvt_f32_f16_e32 v114, v113
	ds_load_u16 v113, v248 offset:15368
	s_waitcnt lgkmcnt(1)
	v_cvt_f32_f16_e64 v170, v124
	ds_load_u16 v124, v232 offset:88
	v_add_f32_e32 v122, v204, v170
	scratch_load_b32 v204, off, off offset:12 ; 4-byte Folded Reload
	s_waitcnt lgkmcnt(1)
	v_cvt_f32_f16_e32 v115, v113
	ds_load_u16 v113, v248 offset:15372
	s_waitcnt lgkmcnt(1)
	v_cvt_f32_f16_e64 v171, v124
	ds_load_u16 v124, v232 offset:92
	v_dual_add_f32 v121, v205, v171 :: v_dual_add_nc_u32 v200, 0x1e00, v249
	s_waitcnt lgkmcnt(1)
	v_cvt_f32_f16_e32 v116, v113
	ds_load_u16 v113, v248 offset:15376
	s_waitcnt lgkmcnt(1)
	v_cvt_f32_f16_e64 v172, v124
	v_dual_add_f32 v124, v202, v123 :: v_dual_add_f32 v123, v203, v169
	v_add_co_u32 v169, vcc_lo, v147, s15
	v_add_co_ci_u32_e32 v170, vcc_lo, s74, v148, vcc_lo
	s_waitcnt lgkmcnt(0)
	v_cvt_f32_f16_e32 v117, v113
	ds_load_u16 v113, v248 offset:15380
	s_waitcnt lgkmcnt(0)
	v_cvt_f32_f16_e32 v118, v113
	ds_load_u16 v113, v248 offset:15384
	s_waitcnt lgkmcnt(0)
	v_cvt_f32_f16_e32 v119, v113
	ds_load_u16 v113, v248 offset:15388
	s_waitcnt lgkmcnt(0)
	v_cvt_f32_f16_e32 v120, v113
	v_dual_add_f32 v113, v191, v112 :: v_dual_add_f32 v112, v192, v114
	v_dual_add_f32 v114, v193, v115 :: v_dual_add_f32 v115, v194, v116
	;; [unrolled: 1-line block ×3, first 2 shown]
	s_delay_alu instid0(VALU_DEP_4) | instskip(SKIP_4) | instid1(VALU_DEP_1)
	v_dual_add_f32 v118, v197, v119 :: v_dual_add_f32 v119, v198, v120
	ds_load_u16 v120, v232 offset:64
	v_dual_mov_b32 v178, v145 :: v_dual_add_f32 v145, 0x40051340, v113
	s_waitcnt lgkmcnt(0)
	v_cvt_f32_f16_e32 v120, v120
	v_add_f32_e32 v127, v199, v120
	v_add_f32_e32 v120, v206, v172
	scratch_load_b32 v199, off, off offset:324 ; 4-byte Folded Reload
	global_load_b128 v[169:172], v[169:170], off
	s_waitcnt vmcnt(0)
	ds_store_b128 v233, v[169:172]
	v_add_co_u32 v169, vcc_lo, v140, v224
	v_add_co_ci_u32_e32 v170, vcc_lo, 0, v141, vcc_lo
	s_delay_alu instid0(VALU_DEP_2) | instskip(NEXT) | instid1(VALU_DEP_2)
	v_add_co_u32 v169, vcc_lo, v169, s76
	v_add_co_ci_u32_e32 v170, vcc_lo, s96, v170, vcc_lo
	global_load_b128 v[169:172], v[169:170], off offset:-64
	s_waitcnt vmcnt(0)
	ds_store_b128 v242, v[169:172]
	v_add_co_u32 v169, vcc_lo, v138, v224
	v_add_co_ci_u32_e32 v170, vcc_lo, 0, v139, vcc_lo
	s_delay_alu instid0(VALU_DEP_2) | instskip(NEXT) | instid1(VALU_DEP_2)
	v_add_co_u32 v169, vcc_lo, v169, s76
	v_add_co_ci_u32_e32 v170, vcc_lo, s96, v170, vcc_lo
	global_load_b128 v[169:172], v[169:170], off offset:-64
	s_waitcnt vmcnt(0)
	ds_store_b128 v208, v[169:172]
	v_add_co_u32 v169, vcc_lo, v149, v223
	v_add_co_ci_u32_e32 v170, vcc_lo, 0, v150, vcc_lo
	global_load_b128 v[169:172], v[169:170], off
	s_waitcnt vmcnt(0)
	ds_store_b128 v243, v[169:172]
	v_add_co_u32 v169, vcc_lo, v151, v223
	v_add_co_ci_u32_e32 v170, vcc_lo, 0, v152, vcc_lo
	global_load_b128 v[169:172], v[169:170], off
	;; [unrolled: 5-line block ×3, first 2 shown]
	s_waitcnt vmcnt(0)
	ds_store_b128 v204, v[169:172]
	v_add_co_u32 v169, vcc_lo, v155, v223
	v_add_co_u32 v155, s11, v155, s78
	v_add_co_ci_u32_e32 v170, vcc_lo, 0, v156, vcc_lo
	v_cmp_eq_u32_e32 vcc_lo, 1, v237
	global_load_b128 v[169:172], v[169:170], off
	s_waitcnt vmcnt(0)
	ds_store_b128 v228, v[169:172]
	v_add_f32_e32 v169, 0x40051340, v112
	s_waitcnt lgkmcnt(0)
	s_barrier
	buffer_gl0_inv
	ds_load_u16 v191, v249
	ds_load_u16 v192, v249 offset:480
	ds_load_u16 v193, v249 offset:960
	;; [unrolled: 1-line block ×7, first 2 shown]
	v_max3_f32 v145, v178, v145, v169
	v_dual_add_f32 v169, 0x40051340, v114 :: v_dual_add_f32 v170, 0x40051340, v115
	s_waitcnt lgkmcnt(7)
	ds_load_u16_d16_hi v191, v249 offset:240
	s_waitcnt lgkmcnt(7)
	ds_load_u16_d16_hi v192, v249 offset:720
	;; [unrolled: 2-line block ×8, first 2 shown]
	v_max3_f32 v145, v145, v169, v170
	v_dual_add_f32 v169, 0x40051340, v116 :: v_dual_add_f32 v170, 0x40051340, v117
	s_delay_alu instid0(VALU_DEP_1) | instskip(SKIP_1) | instid1(VALU_DEP_1)
	v_max3_f32 v145, v145, v169, v170
	v_dual_add_f32 v169, 0x40051340, v118 :: v_dual_add_f32 v170, 0x40051340, v119
	v_max3_f32 v145, v145, v169, v170
	v_dual_add_f32 v169, 0x40051340, v127 :: v_dual_add_f32 v170, 0x40051340, v126
	s_delay_alu instid0(VALU_DEP_1) | instskip(SKIP_1) | instid1(VALU_DEP_1)
	v_max3_f32 v145, v145, v169, v170
	v_dual_add_f32 v169, 0x40051340, v125 :: v_dual_add_f32 v170, 0x40051340, v124
	;; [unrolled: 5-line block ×3, first 2 shown]
	v_max3_f32 v145, v145, v169, v170
	ds_bpermute_b32 v169, v146, v145
	s_waitcnt lgkmcnt(0)
	v_max_f32_e32 v169, v169, v169
	s_delay_alu instid0(VALU_DEP_1) | instskip(NEXT) | instid1(VALU_DEP_1)
	v_max_f32_e32 v145, v145, v169
	v_sub_f32_e32 v113, v113, v145
	v_sub_f32_e32 v112, v112, v145
	;; [unrolled: 1-line block ×4, first 2 shown]
	s_delay_alu instid0(VALU_DEP_4)
	v_mul_f32_e32 v169, 0x3fb8aa3b, v113
	v_cmp_ngt_f32_e64 s7, 0xc2ce8ed0, v113
	v_cmp_nlt_f32_e64 s8, 0x42b17218, v113
	v_cmp_ngt_f32_e64 s9, 0xc2ce8ed0, v112
	v_cmp_nlt_f32_e64 s10, 0x42b17218, v112
	v_fma_f32 v170, 0x3fb8aa3b, v113, -v169
	s_delay_alu instid0(VALU_DEP_1) | instskip(SKIP_1) | instid1(VALU_DEP_1)
	v_fmac_f32_e32 v170, 0x32a5705f, v113
	v_mul_f32_e32 v113, 0x3fb8aa3b, v112
	v_fma_f32 v171, 0x3fb8aa3b, v112, -v113
	s_delay_alu instid0(VALU_DEP_1) | instskip(SKIP_1) | instid1(VALU_DEP_1)
	v_fmac_f32_e32 v171, 0x32a5705f, v112
	v_rndne_f32_e32 v112, v169
	v_sub_f32_e32 v169, v169, v112
	v_cvt_i32_f32_e32 v112, v112
	s_delay_alu instid0(VALU_DEP_2) | instskip(SKIP_1) | instid1(VALU_DEP_2)
	v_add_f32_e32 v169, v169, v170
	v_rndne_f32_e32 v170, v113
	v_exp_f32_e32 v169, v169
	s_delay_alu instid0(VALU_DEP_1) | instskip(NEXT) | instid1(VALU_DEP_1)
	v_sub_f32_e32 v113, v113, v170
	v_add_f32_e32 v113, v113, v171
	s_waitcnt_depctr 0xfff
	v_ldexp_f32 v112, v169, v112
	v_exp_f32_e32 v113, v113
	v_cvt_i32_f32_e32 v169, v170
	s_delay_alu instid0(VALU_DEP_2)
	v_cndmask_b32_e64 v112, 0, v112, s7
	v_cmp_ngt_f32_e64 s7, 0xc2ce8ed0, v114
	s_waitcnt_depctr 0xfff
	v_ldexp_f32 v113, v113, v169
	v_cndmask_b32_e64 v169, 0x7f800000, v112, s8
	v_cmp_nlt_f32_e64 s8, 0x42b17218, v114
	s_delay_alu instid0(VALU_DEP_3)
	v_cndmask_b32_e64 v113, 0, v113, s9
	ds_bpermute_b32 v112, v146, v169
	v_cndmask_b32_e64 v170, 0x7f800000, v113, s10
	ds_bpermute_b32 v171, v146, v170
	s_waitcnt lgkmcnt(1)
	v_cndmask_b32_e32 v113, v169, v112, vcc_lo
	v_cndmask_b32_e64 v112, v169, v112, s4
	s_delay_alu instid0(VALU_DEP_2) | instskip(NEXT) | instid1(VALU_DEP_2)
	v_cndmask_b32_e64 v173, v113, v170, s6
	v_cndmask_b32_e64 v172, v112, v170, s5
	v_cvt_f16_f32_e32 v112, v112
	v_cvt_f16_f32_e32 v113, v113
	s_waitcnt lgkmcnt(0)
	v_cndmask_b32_e32 v173, v173, v171, vcc_lo
	v_cndmask_b32_e64 v172, v172, v171, s4
	s_delay_alu instid0(VALU_DEP_3) | instskip(NEXT) | instid1(VALU_DEP_3)
	v_pack_b32_f16 v112, v112, v113
	v_cvt_f16_f32_e64 v174, v173
	s_delay_alu instid0(VALU_DEP_3) | instskip(NEXT) | instid1(VALU_DEP_1)
	v_cvt_f16_f32_e64 v171, v172
	v_pack_b32_f16 v113, v171, v174
	v_mul_f32_e32 v171, 0x3fb8aa3b, v114
	s_delay_alu instid0(VALU_DEP_1) | instskip(NEXT) | instid1(VALU_DEP_1)
	v_fma_f32 v174, 0x3fb8aa3b, v114, -v171
	v_fmac_f32_e32 v174, 0x32a5705f, v114
	v_rndne_f32_e32 v114, v171
	s_delay_alu instid0(VALU_DEP_1) | instskip(SKIP_1) | instid1(VALU_DEP_2)
	v_sub_f32_e32 v171, v171, v114
	v_cvt_i32_f32_e32 v114, v114
	v_add_f32_e32 v171, v171, v174
	s_delay_alu instid0(VALU_DEP_1) | instskip(SKIP_2) | instid1(VALU_DEP_1)
	v_exp_f32_e32 v171, v171
	s_waitcnt_depctr 0xfff
	v_ldexp_f32 v114, v171, v114
	v_cndmask_b32_e64 v114, 0, v114, s7
	v_cmp_ngt_f32_e64 s7, 0xc2ce8ed0, v115
	s_delay_alu instid0(VALU_DEP_2) | instskip(SKIP_1) | instid1(VALU_DEP_2)
	v_cndmask_b32_e64 v171, 0x7f800000, v114, s8
	v_cmp_nlt_f32_e64 s8, 0x42b17218, v115
	v_cndmask_b32_e64 v114, v172, v171, s5
	v_cndmask_b32_e64 v172, v173, v171, s6
	ds_bpermute_b32 v173, v146, v171
	s_waitcnt lgkmcnt(0)
	v_cndmask_b32_e64 v174, v114, v173, s4
	v_cndmask_b32_e32 v173, v172, v173, vcc_lo
	s_delay_alu instid0(VALU_DEP_2) | instskip(NEXT) | instid1(VALU_DEP_2)
	v_cvt_f16_f32_e64 v114, v174
	v_cvt_f16_f32_e64 v172, v173
	s_delay_alu instid0(VALU_DEP_1)
	v_pack_b32_f16 v114, v114, v172
	v_mul_f32_e32 v172, 0x3fb8aa3b, v115
	v_sub_f32_e32 v116, v116, v145
	v_sub_f32_e32 v117, v117, v145
	;; [unrolled: 1-line block ×4, first 2 shown]
	v_fma_f32 v175, 0x3fb8aa3b, v115, -v172
	v_sub_f32_e32 v178, v178, v145
	s_delay_alu instid0(VALU_DEP_2) | instskip(SKIP_1) | instid1(VALU_DEP_3)
	v_dual_sub_f32 v120, v120, v145 :: v_dual_fmac_f32 v175, 0x32a5705f, v115
	v_rndne_f32_e32 v115, v172
	v_cmp_le_f32_e64 s9, 0xc1a00000, v178
	s_delay_alu instid0(VALU_DEP_2) | instskip(SKIP_1) | instid1(VALU_DEP_2)
	v_sub_f32_e32 v172, v172, v115
	v_cvt_i32_f32_e32 v115, v115
	v_add_f32_e32 v172, v172, v175
	s_delay_alu instid0(VALU_DEP_1) | instskip(SKIP_2) | instid1(VALU_DEP_1)
	v_exp_f32_e32 v172, v172
	s_waitcnt_depctr 0xfff
	v_ldexp_f32 v115, v172, v115
	v_cndmask_b32_e64 v115, 0, v115, s7
	v_cmp_ngt_f32_e64 s7, 0xc2ce8ed0, v116
	s_delay_alu instid0(VALU_DEP_2) | instskip(SKIP_1) | instid1(VALU_DEP_2)
	v_cndmask_b32_e64 v172, 0x7f800000, v115, s8
	v_cmp_nlt_f32_e64 s8, 0x42b17218, v116
	v_cndmask_b32_e64 v115, v174, v172, s5
	ds_bpermute_b32 v174, v146, v172
	v_cndmask_b32_e64 v173, v173, v172, s6
	s_waitcnt lgkmcnt(0)
	v_cndmask_b32_e64 v175, v115, v174, s4
	s_delay_alu instid0(VALU_DEP_2) | instskip(NEXT) | instid1(VALU_DEP_2)
	v_cndmask_b32_e32 v174, v173, v174, vcc_lo
	v_cvt_f16_f32_e64 v115, v175
	s_delay_alu instid0(VALU_DEP_2) | instskip(NEXT) | instid1(VALU_DEP_1)
	v_cvt_f16_f32_e64 v173, v174
	v_pack_b32_f16 v115, v115, v173
	v_mul_f32_e32 v173, 0x3fb8aa3b, v116
	s_delay_alu instid0(VALU_DEP_1) | instskip(NEXT) | instid1(VALU_DEP_1)
	v_fma_f32 v179, 0x3fb8aa3b, v116, -v173
	v_fmac_f32_e32 v179, 0x32a5705f, v116
	v_rndne_f32_e32 v116, v173
	s_delay_alu instid0(VALU_DEP_1) | instskip(SKIP_1) | instid1(VALU_DEP_2)
	v_sub_f32_e32 v173, v173, v116
	v_cvt_i32_f32_e32 v116, v116
	v_add_f32_e32 v173, v173, v179
	s_delay_alu instid0(VALU_DEP_1) | instskip(SKIP_2) | instid1(VALU_DEP_1)
	v_exp_f32_e32 v173, v173
	s_waitcnt_depctr 0xfff
	v_ldexp_f32 v116, v173, v116
	v_cndmask_b32_e64 v116, 0, v116, s7
	v_cmp_ngt_f32_e64 s7, 0xc2ce8ed0, v117
	s_delay_alu instid0(VALU_DEP_2) | instskip(SKIP_1) | instid1(VALU_DEP_2)
	v_cndmask_b32_e64 v173, 0x7f800000, v116, s8
	v_cmp_nlt_f32_e64 s8, 0x42b17218, v117
	v_cndmask_b32_e64 v116, v175, v173, s5
	ds_bpermute_b32 v175, v146, v173
	v_cndmask_b32_e64 v174, v174, v173, s6
	s_waitcnt lgkmcnt(0)
	v_cndmask_b32_e64 v179, v116, v175, s4
	s_delay_alu instid0(VALU_DEP_2) | instskip(NEXT) | instid1(VALU_DEP_2)
	v_cndmask_b32_e32 v175, v174, v175, vcc_lo
	v_cvt_f16_f32_e64 v116, v179
	s_delay_alu instid0(VALU_DEP_2) | instskip(NEXT) | instid1(VALU_DEP_1)
	v_cvt_f16_f32_e64 v174, v175
	v_pack_b32_f16 v116, v116, v174
	v_mul_f32_e32 v174, 0x3fb8aa3b, v117
	s_delay_alu instid0(VALU_DEP_1) | instskip(NEXT) | instid1(VALU_DEP_1)
	v_fma_f32 v180, 0x3fb8aa3b, v117, -v174
	v_fmac_f32_e32 v180, 0x32a5705f, v117
	v_rndne_f32_e32 v117, v174
	s_delay_alu instid0(VALU_DEP_1) | instskip(SKIP_1) | instid1(VALU_DEP_2)
	;; [unrolled: 29-line block ×4, first 2 shown]
	v_sub_f32_e32 v180, v180, v119
	v_cvt_i32_f32_e32 v119, v119
	v_add_f32_e32 v180, v180, v182
	s_delay_alu instid0(VALU_DEP_1) | instskip(SKIP_2) | instid1(VALU_DEP_1)
	v_exp_f32_e32 v180, v180
	s_waitcnt_depctr 0xfff
	v_ldexp_f32 v119, v180, v119
	v_cndmask_b32_e64 v119, 0, v119, s7
	v_cmp_ngt_f32_e64 s7, 0xc2ce8ed0, v178
	s_delay_alu instid0(VALU_DEP_2)
	v_cndmask_b32_e64 v205, 0x7f800000, v119, s8
	v_cmp_nlt_f32_e64 s8, 0x42b17218, v178
	ds_bpermute_b32 v180, v146, v205
	v_cndmask_b32_e64 v119, v181, v205, s5
	v_cndmask_b32_e64 v179, v179, v205, s6
	s_waitcnt lgkmcnt(0)
	s_delay_alu instid0(VALU_DEP_2) | instskip(NEXT) | instid1(VALU_DEP_2)
	v_cndmask_b32_e64 v119, v119, v180, s4
	v_cndmask_b32_e32 v179, v179, v180, vcc_lo
	s_delay_alu instid0(VALU_DEP_2) | instskip(NEXT) | instid1(VALU_DEP_2)
	v_cvt_f16_f32_e32 v119, v119
	v_cvt_f16_f32_e64 v179, v179
	s_delay_alu instid0(VALU_DEP_1) | instskip(SKIP_1) | instid1(VALU_DEP_1)
	v_pack_b32_f16 v119, v119, v179
	v_mul_f32_e32 v179, 0x3fb8aa3b, v178
	v_fma_f32 v180, 0x3fb8aa3b, v178, -v179
	s_delay_alu instid0(VALU_DEP_1) | instskip(SKIP_1) | instid1(VALU_DEP_1)
	v_fmac_f32_e32 v180, 0x32a5705f, v178
	v_rndne_f32_e32 v178, v179
	v_sub_f32_e32 v179, v179, v178
	v_cvt_i32_f32_e32 v178, v178
	s_delay_alu instid0(VALU_DEP_2) | instskip(NEXT) | instid1(VALU_DEP_1)
	v_add_f32_e32 v179, v179, v180
	v_exp_f32_e32 v179, v179
	s_waitcnt_depctr 0xfff
	v_ldexp_f32 v178, v179, v178
	s_delay_alu instid0(VALU_DEP_1) | instskip(NEXT) | instid1(VALU_DEP_1)
	v_cndmask_b32_e64 v178, 0, v178, s7
	v_cndmask_b32_e64 v178, 0x7f800000, v178, s8
	s_delay_alu instid0(VALU_DEP_1) | instskip(NEXT) | instid1(VALU_DEP_1)
	v_cndmask_b32_e64 v186, 0, v178, s9
	v_mul_f32_e32 v34, v34, v186
	v_mul_f32_e32 v48, v48, v186
	;; [unrolled: 1-line block ×13, first 2 shown]
	v_wmma_f32_16x16x16_f16 v[48:55], v[191:198], v[112:119], v[48:55]
	ds_load_u16 v191, v249 offset:32
	ds_load_u16 v192, v240 offset:480
	;; [unrolled: 1-line block ×8, first 2 shown]
	s_waitcnt lgkmcnt(7)
	ds_load_u16_d16_hi v191, v249 offset:272
	s_waitcnt lgkmcnt(7)
	ds_load_u16_d16_hi v192, v249 offset:752
	;; [unrolled: 2-line block ×8, first 2 shown]
	v_mul_f32_e32 v44, v44, v186
	v_mul_f32_e32 v45, v45, v186
	;; [unrolled: 1-line block ×19, first 2 shown]
	s_waitcnt lgkmcnt(0)
	v_wmma_f32_16x16x16_f16 v[40:47], v[191:198], v[112:119], v[40:47]
	ds_load_u16 v191, v249 offset:64
	ds_load_u16 v192, v244 offset:480
	;; [unrolled: 1-line block ×8, first 2 shown]
	s_waitcnt lgkmcnt(7)
	ds_load_u16_d16_hi v191, v249 offset:304
	s_waitcnt lgkmcnt(7)
	ds_load_u16_d16_hi v192, v249 offset:784
	;; [unrolled: 2-line block ×8, first 2 shown]
	v_mul_f32_e32 v16, v16, v186
	v_mul_f32_e32 v17, v17, v186
	;; [unrolled: 1-line block ×19, first 2 shown]
	s_waitcnt lgkmcnt(0)
	v_wmma_f32_16x16x16_f16 v[32:39], v[191:198], v[112:119], v[32:39]
	ds_load_u16 v191, v249 offset:96
	ds_load_u16 v192, v201 offset:480
	;; [unrolled: 1-line block ×8, first 2 shown]
	s_waitcnt lgkmcnt(7)
	ds_load_u16_d16_hi v191, v249 offset:336
	s_waitcnt lgkmcnt(7)
	ds_load_u16_d16_hi v192, v249 offset:816
	;; [unrolled: 2-line block ×8, first 2 shown]
	v_mul_f32_e32 v3, v3, v186
	v_mul_f32_e32 v4, v4, v186
	;; [unrolled: 1-line block ×5, first 2 shown]
	s_waitcnt lgkmcnt(0)
	v_wmma_f32_16x16x16_f16 v[24:31], v[191:198], v[112:119], v[24:31]
	ds_load_u16 v191, v249 offset:128
	ds_load_u16 v192, v217 offset:480
	ds_load_u16 v193, v217 offset:960
	ds_load_u16 v194, v217 offset:1440
	ds_load_u16 v195, v217 offset:1920
	ds_load_u16 v196, v217 offset:2400
	ds_load_u16 v197, v217 offset:2880
	ds_load_u16 v198, v217 offset:3360
	s_waitcnt lgkmcnt(7)
	ds_load_u16_d16_hi v191, v249 offset:368
	s_waitcnt lgkmcnt(7)
	ds_load_u16_d16_hi v192, v249 offset:848
	s_waitcnt lgkmcnt(7)
	ds_load_u16_d16_hi v193, v249 offset:1328
	s_waitcnt lgkmcnt(7)
	ds_load_u16_d16_hi v194, v249 offset:1808
	s_waitcnt lgkmcnt(7)
	ds_load_u16_d16_hi v195, v249 offset:2288
	s_waitcnt lgkmcnt(7)
	ds_load_u16_d16_hi v196, v249 offset:2768
	s_waitcnt lgkmcnt(7)
	ds_load_u16_d16_hi v197, v249 offset:3248
	s_waitcnt lgkmcnt(7)
	ds_load_u16_d16_hi v198, v249 offset:3728
	s_waitcnt lgkmcnt(0)
	v_wmma_f32_16x16x16_f16 v[16:23], v[191:198], v[112:119], v[16:23]
	ds_load_u16 v191, v249 offset:160
	ds_load_u16 v192, v218 offset:480
	ds_load_u16 v193, v218 offset:960
	ds_load_u16 v194, v218 offset:1440
	ds_load_u16 v195, v218 offset:1920
	ds_load_u16 v196, v218 offset:2400
	ds_load_u16 v197, v218 offset:2880
	ds_load_u16 v198, v218 offset:3360
	s_waitcnt lgkmcnt(7)
	ds_load_u16_d16_hi v191, v249 offset:400
	s_waitcnt lgkmcnt(7)
	ds_load_u16_d16_hi v192, v249 offset:880
	s_waitcnt lgkmcnt(7)
	ds_load_u16_d16_hi v193, v249 offset:1360
	s_waitcnt lgkmcnt(7)
	ds_load_u16_d16_hi v194, v249 offset:1840
	s_waitcnt lgkmcnt(7)
	ds_load_u16_d16_hi v195, v249 offset:2320
	s_waitcnt lgkmcnt(7)
	ds_load_u16_d16_hi v196, v249 offset:2800
	s_waitcnt lgkmcnt(7)
	ds_load_u16_d16_hi v197, v249 offset:3280
	s_waitcnt lgkmcnt(7)
	ds_load_u16_d16_hi v198, v249 offset:3760
	;; [unrolled: 26-line block ×3, first 2 shown]
	s_waitcnt lgkmcnt(0)
	v_wmma_f32_16x16x16_f16 v[0:7], v[191:198], v[112:119], v[0:7]
	v_sub_f32_e32 v112, v127, v145
	s_delay_alu instid0(VALU_DEP_1) | instskip(SKIP_2) | instid1(VALU_DEP_3)
	v_mul_f32_e32 v113, 0x3fb8aa3b, v112
	v_cmp_ngt_f32_e64 s7, 0xc2ce8ed0, v112
	v_cmp_nlt_f32_e64 s8, 0x42b17218, v112
	v_fma_f32 v114, 0x3fb8aa3b, v112, -v113
	s_delay_alu instid0(VALU_DEP_1) | instskip(SKIP_1) | instid1(VALU_DEP_1)
	v_fmac_f32_e32 v114, 0x32a5705f, v112
	v_sub_f32_e32 v112, v126, v145
	v_mul_f32_e32 v115, 0x3fb8aa3b, v112
	v_cmp_ngt_f32_e64 s9, 0xc2ce8ed0, v112
	v_cmp_nlt_f32_e64 s10, 0x42b17218, v112
	s_delay_alu instid0(VALU_DEP_3) | instskip(NEXT) | instid1(VALU_DEP_1)
	v_fma_f32 v116, 0x3fb8aa3b, v112, -v115
	v_fmac_f32_e32 v116, 0x32a5705f, v112
	v_rndne_f32_e32 v112, v113
	s_delay_alu instid0(VALU_DEP_1) | instskip(SKIP_1) | instid1(VALU_DEP_2)
	v_sub_f32_e32 v113, v113, v112
	v_cvt_i32_f32_e32 v112, v112
	v_add_f32_e32 v113, v113, v114
	v_rndne_f32_e32 v114, v115
	s_delay_alu instid0(VALU_DEP_2) | instskip(NEXT) | instid1(VALU_DEP_1)
	v_exp_f32_e32 v113, v113
	v_sub_f32_e32 v115, v115, v114
	s_delay_alu instid0(VALU_DEP_1) | instskip(SKIP_4) | instid1(VALU_DEP_2)
	v_add_f32_e32 v115, v115, v116
	s_waitcnt_depctr 0xfff
	v_ldexp_f32 v112, v113, v112
	v_cvt_i32_f32_e32 v113, v114
	v_exp_f32_e32 v114, v115
	v_cndmask_b32_e64 v112, 0, v112, s7
	s_delay_alu instid0(VALU_DEP_1)
	v_cndmask_b32_e64 v178, 0x7f800000, v112, s8
	s_waitcnt_depctr 0xfff
	v_ldexp_f32 v113, v114, v113
	ds_bpermute_b32 v112, v146, v178
	v_cndmask_b32_e64 v113, 0, v113, s9
	v_add_co_u32 v151, s9, v151, s78
	s_delay_alu instid0(VALU_DEP_2)
	v_cndmask_b32_e64 v179, 0x7f800000, v113, s10
	v_add_co_u32 v153, s10, v153, s78
	ds_bpermute_b32 v114, v146, v179
	s_waitcnt lgkmcnt(1)
	v_cndmask_b32_e32 v113, v178, v112, vcc_lo
	v_cndmask_b32_e64 v112, v178, v112, s4
	s_delay_alu instid0(VALU_DEP_2) | instskip(NEXT) | instid1(VALU_DEP_2)
	v_cndmask_b32_e64 v116, v113, v179, s6
	v_cndmask_b32_e64 v115, v112, v179, s5
	v_cvt_f16_f32_e32 v112, v112
	v_cvt_f16_f32_e32 v113, v113
	s_waitcnt lgkmcnt(0)
	s_delay_alu instid0(VALU_DEP_3) | instskip(SKIP_1) | instid1(VALU_DEP_3)
	v_cndmask_b32_e64 v115, v115, v114, s4
	v_cndmask_b32_e32 v114, v116, v114, vcc_lo
	v_pack_b32_f16 v112, v112, v113
	s_delay_alu instid0(VALU_DEP_3) | instskip(NEXT) | instid1(VALU_DEP_3)
	v_cvt_f16_f32_e32 v116, v115
	v_cvt_f16_f32_e32 v117, v114
	s_delay_alu instid0(VALU_DEP_1) | instskip(SKIP_1) | instid1(VALU_DEP_1)
	v_pack_b32_f16 v113, v116, v117
	v_sub_f32_e32 v116, v125, v145
	v_mul_f32_e32 v117, 0x3fb8aa3b, v116
	v_cmp_ngt_f32_e64 s7, 0xc2ce8ed0, v116
	v_cmp_nlt_f32_e64 s8, 0x42b17218, v116
	s_delay_alu instid0(VALU_DEP_3) | instskip(NEXT) | instid1(VALU_DEP_1)
	v_fma_f32 v118, 0x3fb8aa3b, v116, -v117
	v_fmac_f32_e32 v118, 0x32a5705f, v116
	v_rndne_f32_e32 v116, v117
	s_delay_alu instid0(VALU_DEP_1) | instskip(SKIP_1) | instid1(VALU_DEP_2)
	v_sub_f32_e32 v117, v117, v116
	v_cvt_i32_f32_e32 v116, v116
	v_add_f32_e32 v117, v117, v118
	s_delay_alu instid0(VALU_DEP_1) | instskip(SKIP_2) | instid1(VALU_DEP_1)
	v_exp_f32_e32 v117, v117
	s_waitcnt_depctr 0xfff
	v_ldexp_f32 v116, v117, v116
	v_cndmask_b32_e64 v116, 0, v116, s7
	s_delay_alu instid0(VALU_DEP_1) | instskip(SKIP_4) | instid1(VALU_DEP_2)
	v_cndmask_b32_e64 v180, 0x7f800000, v116, s8
	ds_bpermute_b32 v116, v146, v180
	v_cndmask_b32_e64 v115, v115, v180, s5
	v_cndmask_b32_e64 v114, v114, v180, s6
	s_waitcnt lgkmcnt(0)
	v_cndmask_b32_e64 v115, v115, v116, s4
	s_delay_alu instid0(VALU_DEP_2) | instskip(NEXT) | instid1(VALU_DEP_2)
	v_cndmask_b32_e32 v116, v114, v116, vcc_lo
	v_cvt_f16_f32_e32 v114, v115
	s_delay_alu instid0(VALU_DEP_2) | instskip(NEXT) | instid1(VALU_DEP_1)
	v_cvt_f16_f32_e32 v117, v116
	v_pack_b32_f16 v114, v114, v117
	v_sub_f32_e32 v117, v124, v145
	s_delay_alu instid0(VALU_DEP_1) | instskip(SKIP_2) | instid1(VALU_DEP_3)
	v_mul_f32_e32 v118, 0x3fb8aa3b, v117
	v_cmp_ngt_f32_e64 s7, 0xc2ce8ed0, v117
	v_cmp_nlt_f32_e64 s8, 0x42b17218, v117
	v_fma_f32 v119, 0x3fb8aa3b, v117, -v118
	s_delay_alu instid0(VALU_DEP_1) | instskip(SKIP_1) | instid1(VALU_DEP_1)
	v_fmac_f32_e32 v119, 0x32a5705f, v117
	v_rndne_f32_e32 v117, v118
	v_sub_f32_e32 v118, v118, v117
	v_cvt_i32_f32_e32 v117, v117
	s_delay_alu instid0(VALU_DEP_2) | instskip(NEXT) | instid1(VALU_DEP_1)
	v_add_f32_e32 v118, v118, v119
	v_exp_f32_e32 v118, v118
	s_waitcnt_depctr 0xfff
	v_ldexp_f32 v117, v118, v117
	s_delay_alu instid0(VALU_DEP_1) | instskip(NEXT) | instid1(VALU_DEP_1)
	v_cndmask_b32_e64 v117, 0, v117, s7
	v_cndmask_b32_e64 v181, 0x7f800000, v117, s8
	ds_bpermute_b32 v117, v146, v181
	v_cndmask_b32_e64 v115, v115, v181, s5
	v_cndmask_b32_e64 v116, v116, v181, s6
	s_waitcnt lgkmcnt(0)
	s_delay_alu instid0(VALU_DEP_2) | instskip(NEXT) | instid1(VALU_DEP_2)
	v_cndmask_b32_e64 v118, v115, v117, s4
	v_cndmask_b32_e32 v116, v116, v117, vcc_lo
	s_delay_alu instid0(VALU_DEP_2) | instskip(NEXT) | instid1(VALU_DEP_2)
	v_cvt_f16_f32_e32 v115, v118
	v_cvt_f16_f32_e32 v117, v116
	s_delay_alu instid0(VALU_DEP_1) | instskip(SKIP_1) | instid1(VALU_DEP_1)
	v_pack_b32_f16 v115, v115, v117
	v_sub_f32_e32 v117, v123, v145
	v_mul_f32_e32 v119, 0x3fb8aa3b, v117
	v_cmp_ngt_f32_e64 s7, 0xc2ce8ed0, v117
	v_cmp_nlt_f32_e64 s8, 0x42b17218, v117
	s_delay_alu instid0(VALU_DEP_3) | instskip(NEXT) | instid1(VALU_DEP_1)
	v_fma_f32 v123, 0x3fb8aa3b, v117, -v119
	v_fmac_f32_e32 v123, 0x32a5705f, v117
	v_rndne_f32_e32 v117, v119
	s_delay_alu instid0(VALU_DEP_1) | instskip(SKIP_1) | instid1(VALU_DEP_2)
	v_sub_f32_e32 v119, v119, v117
	v_cvt_i32_f32_e32 v117, v117
	v_add_f32_e32 v119, v119, v123
	s_delay_alu instid0(VALU_DEP_1) | instskip(SKIP_2) | instid1(VALU_DEP_1)
	v_exp_f32_e32 v119, v119
	s_waitcnt_depctr 0xfff
	v_ldexp_f32 v117, v119, v117
	v_cndmask_b32_e64 v117, 0, v117, s7
	s_delay_alu instid0(VALU_DEP_1) | instskip(NEXT) | instid1(VALU_DEP_1)
	v_cndmask_b32_e64 v182, 0x7f800000, v117, s8
	v_cndmask_b32_e64 v117, v118, v182, s5
	ds_bpermute_b32 v118, v146, v182
	v_cndmask_b32_e64 v116, v116, v182, s6
	s_waitcnt lgkmcnt(0)
	v_cndmask_b32_e64 v117, v117, v118, s4
	s_delay_alu instid0(VALU_DEP_2) | instskip(NEXT) | instid1(VALU_DEP_2)
	v_cndmask_b32_e32 v118, v116, v118, vcc_lo
	v_cvt_f16_f32_e32 v116, v117
	s_delay_alu instid0(VALU_DEP_2) | instskip(NEXT) | instid1(VALU_DEP_1)
	v_cvt_f16_f32_e32 v119, v118
	v_pack_b32_f16 v116, v116, v119
	v_sub_f32_e32 v119, v122, v145
	s_delay_alu instid0(VALU_DEP_1) | instskip(SKIP_2) | instid1(VALU_DEP_3)
	v_mul_f32_e32 v122, 0x3fb8aa3b, v119
	v_cmp_ngt_f32_e64 s7, 0xc2ce8ed0, v119
	v_cmp_nlt_f32_e64 s8, 0x42b17218, v119
	v_fma_f32 v123, 0x3fb8aa3b, v119, -v122
	s_delay_alu instid0(VALU_DEP_1) | instskip(SKIP_1) | instid1(VALU_DEP_1)
	v_fmac_f32_e32 v123, 0x32a5705f, v119
	v_rndne_f32_e32 v119, v122
	v_sub_f32_e32 v122, v122, v119
	v_cvt_i32_f32_e32 v119, v119
	s_delay_alu instid0(VALU_DEP_2) | instskip(NEXT) | instid1(VALU_DEP_1)
	v_add_f32_e32 v122, v122, v123
	v_exp_f32_e32 v122, v122
	s_waitcnt_depctr 0xfff
	v_ldexp_f32 v119, v122, v119
	s_delay_alu instid0(VALU_DEP_1) | instskip(NEXT) | instid1(VALU_DEP_1)
	v_cndmask_b32_e64 v119, 0, v119, s7
	v_cndmask_b32_e64 v183, 0x7f800000, v119, s8
	ds_bpermute_b32 v119, v146, v183
	v_cndmask_b32_e64 v117, v117, v183, s5
	v_cndmask_b32_e64 v118, v118, v183, s6
	s_waitcnt lgkmcnt(0)
	s_delay_alu instid0(VALU_DEP_2) | instskip(NEXT) | instid1(VALU_DEP_2)
	v_cndmask_b32_e64 v122, v117, v119, s4
	v_cndmask_b32_e32 v118, v118, v119, vcc_lo
	s_delay_alu instid0(VALU_DEP_2) | instskip(NEXT) | instid1(VALU_DEP_2)
	v_cvt_f16_f32_e32 v117, v122
	v_cvt_f16_f32_e32 v119, v118
	s_delay_alu instid0(VALU_DEP_1) | instskip(SKIP_1) | instid1(VALU_DEP_1)
	v_pack_b32_f16 v117, v117, v119
	v_sub_f32_e32 v119, v121, v145
	v_mul_f32_e32 v121, 0x3fb8aa3b, v119
	v_cmp_ngt_f32_e64 s7, 0xc2ce8ed0, v119
	v_cmp_nlt_f32_e64 s8, 0x42b17218, v119
	s_delay_alu instid0(VALU_DEP_3) | instskip(NEXT) | instid1(VALU_DEP_1)
	v_fma_f32 v123, 0x3fb8aa3b, v119, -v121
	v_fmac_f32_e32 v123, 0x32a5705f, v119
	v_rndne_f32_e32 v119, v121
	s_delay_alu instid0(VALU_DEP_1) | instskip(SKIP_1) | instid1(VALU_DEP_2)
	v_sub_f32_e32 v121, v121, v119
	v_cvt_i32_f32_e32 v119, v119
	v_add_f32_e32 v121, v121, v123
	s_delay_alu instid0(VALU_DEP_1) | instskip(SKIP_2) | instid1(VALU_DEP_1)
	v_exp_f32_e32 v121, v121
	s_waitcnt_depctr 0xfff
	v_ldexp_f32 v119, v121, v119
	v_cndmask_b32_e64 v119, 0, v119, s7
	v_cmp_ngt_f32_e64 s7, 0xc2ce8ed0, v120
	s_delay_alu instid0(VALU_DEP_2)
	v_cndmask_b32_e64 v189, 0x7f800000, v119, s8
	v_cmp_nlt_f32_e64 s8, 0x42b17218, v120
	ds_bpermute_b32 v121, v146, v189
	v_cndmask_b32_e64 v119, v122, v189, s5
	v_cndmask_b32_e64 v118, v118, v189, s6
	s_waitcnt lgkmcnt(0)
	s_delay_alu instid0(VALU_DEP_2) | instskip(NEXT) | instid1(VALU_DEP_2)
	v_cndmask_b32_e64 v119, v119, v121, s4
	v_cndmask_b32_e32 v121, v118, v121, vcc_lo
	s_delay_alu instid0(VALU_DEP_2) | instskip(NEXT) | instid1(VALU_DEP_2)
	v_cvt_f16_f32_e32 v118, v119
	v_cvt_f16_f32_e32 v122, v121
	s_delay_alu instid0(VALU_DEP_1) | instskip(SKIP_1) | instid1(VALU_DEP_1)
	v_pack_b32_f16 v118, v118, v122
	v_mul_f32_e32 v122, 0x3fb8aa3b, v120
	v_fma_f32 v123, 0x3fb8aa3b, v120, -v122
	s_delay_alu instid0(VALU_DEP_1) | instskip(SKIP_1) | instid1(VALU_DEP_1)
	v_fmac_f32_e32 v123, 0x32a5705f, v120
	v_rndne_f32_e32 v120, v122
	v_sub_f32_e32 v122, v122, v120
	v_cvt_i32_f32_e32 v120, v120
	s_delay_alu instid0(VALU_DEP_2) | instskip(NEXT) | instid1(VALU_DEP_1)
	v_add_f32_e32 v122, v122, v123
	v_exp_f32_e32 v122, v122
	s_waitcnt_depctr 0xfff
	v_ldexp_f32 v120, v122, v120
	s_delay_alu instid0(VALU_DEP_1) | instskip(SKIP_1) | instid1(VALU_DEP_2)
	v_cndmask_b32_e64 v120, 0, v120, s7
	v_add_co_u32 v138, s7, v138, s78
	v_cndmask_b32_e64 v214, 0x7f800000, v120, s8
	v_add_co_u32 v149, s8, v149, s78
	s_delay_alu instid0(VALU_DEP_2)
	v_cndmask_b32_e64 v120, v121, v214, s6
	ds_bpermute_b32 v121, v146, v214
	v_cndmask_b32_e64 v119, v119, v214, s5
	v_add_co_u32 v147, s5, v147, s78
	v_add_co_u32 v140, s6, v140, s78
	s_waitcnt lgkmcnt(0)
	s_delay_alu instid0(VALU_DEP_3) | instskip(SKIP_3) | instid1(VALU_DEP_4)
	v_cndmask_b32_e64 v119, v119, v121, s4
	v_cndmask_b32_e32 v120, v120, v121, vcc_lo
	v_add_co_u32 v132, vcc_lo, 0x80, v132
	v_add_co_u32 v134, s4, 0x80, v134
	v_cvt_f16_f32_e32 v119, v119
	s_delay_alu instid0(VALU_DEP_4) | instskip(SKIP_2) | instid1(VALU_DEP_3)
	v_cvt_f16_f32_e32 v120, v120
	v_add_co_ci_u32_e32 v133, vcc_lo, 0, v133, vcc_lo
	v_add_co_ci_u32_e64 v135, vcc_lo, 0, v135, s4
	v_pack_b32_f16 v119, v119, v120
	ds_load_u16 v120, v249 offset:7680
	ds_load_u16 v121, v200 offset:480
	;; [unrolled: 1-line block ×8, first 2 shown]
	s_waitcnt lgkmcnt(7)
	ds_load_u16_d16_hi v120, v249 offset:7920
	s_waitcnt lgkmcnt(7)
	ds_load_u16_d16_hi v121, v249 offset:8400
	;; [unrolled: 2-line block ×8, first 2 shown]
	v_add_co_ci_u32_e64 v148, vcc_lo, s79, v148, s5
	v_add_co_ci_u32_e64 v141, vcc_lo, s79, v141, s6
	;; [unrolled: 1-line block ×10, first 2 shown]
	s_waitcnt lgkmcnt(0)
	v_wmma_f32_16x16x16_f16 v[48:55], v[120:127], v[112:119], v[48:55]
	ds_load_u16 v120, v240 offset:7680
	ds_load_u16 v121, v187 offset:480
	;; [unrolled: 1-line block ×8, first 2 shown]
	s_waitcnt lgkmcnt(7)
	ds_load_u16_d16_hi v120, v240 offset:7920
	s_waitcnt lgkmcnt(7)
	ds_load_u16_d16_hi v121, v240 offset:8400
	;; [unrolled: 2-line block ×8, first 2 shown]
	v_add_co_ci_u32_e64 v162, vcc_lo, s81, v162, s16
	v_add_co_ci_u32_e64 v164, vcc_lo, s81, v164, s17
	;; [unrolled: 1-line block ×4, first 2 shown]
	s_waitcnt lgkmcnt(0)
	v_wmma_f32_16x16x16_f16 v[40:47], v[120:127], v[112:119], v[40:47]
	ds_load_u16 v120, v244 offset:7680
	ds_load_u16 v121, v190 offset:480
	ds_load_u16 v122, v190 offset:960
	ds_load_u16 v123, v190 offset:1440
	ds_load_u16 v124, v190 offset:1920
	ds_load_u16 v125, v190 offset:2400
	ds_load_u16 v126, v190 offset:2880
	ds_load_u16 v127, v190 offset:3360
	s_waitcnt lgkmcnt(7)
	ds_load_u16_d16_hi v120, v244 offset:7920
	s_waitcnt lgkmcnt(7)
	ds_load_u16_d16_hi v121, v244 offset:8400
	s_waitcnt lgkmcnt(7)
	ds_load_u16_d16_hi v122, v244 offset:8880
	s_waitcnt lgkmcnt(7)
	ds_load_u16_d16_hi v123, v244 offset:9360
	s_waitcnt lgkmcnt(7)
	ds_load_u16_d16_hi v124, v244 offset:9840
	s_waitcnt lgkmcnt(7)
	ds_load_u16_d16_hi v125, v244 offset:10320
	s_waitcnt lgkmcnt(7)
	ds_load_u16_d16_hi v126, v244 offset:10800
	s_waitcnt lgkmcnt(7)
	ds_load_u16_d16_hi v127, v244 offset:11280
	s_waitcnt lgkmcnt(0)
	v_wmma_f32_16x16x16_f16 v[32:39], v[120:127], v[112:119], v[32:39]
	ds_load_u16 v120, v201 offset:7680
	ds_load_u16 v121, v188 offset:480
	ds_load_u16 v122, v188 offset:960
	ds_load_u16 v123, v188 offset:1440
	ds_load_u16 v124, v188 offset:1920
	ds_load_u16 v125, v188 offset:2400
	ds_load_u16 v126, v188 offset:2880
	ds_load_u16 v127, v188 offset:3360
	s_waitcnt lgkmcnt(7)
	ds_load_u16_d16_hi v120, v201 offset:7920
	s_waitcnt lgkmcnt(7)
	ds_load_u16_d16_hi v121, v201 offset:8400
	s_waitcnt lgkmcnt(7)
	ds_load_u16_d16_hi v122, v201 offset:8880
	s_waitcnt lgkmcnt(7)
	ds_load_u16_d16_hi v123, v201 offset:9360
	s_waitcnt lgkmcnt(7)
	ds_load_u16_d16_hi v124, v201 offset:9840
	s_waitcnt lgkmcnt(7)
	ds_load_u16_d16_hi v125, v201 offset:10320
	s_waitcnt lgkmcnt(7)
	ds_load_u16_d16_hi v126, v201 offset:10800
	s_waitcnt lgkmcnt(7)
	ds_load_u16_d16_hi v127, v201 offset:11280
	;; [unrolled: 26-line block ×5, first 2 shown]
	s_waitcnt lgkmcnt(0)
	v_wmma_f32_16x16x16_f16 v[0:7], v[120:127], v[112:119], v[0:7]
	v_dual_add_f32 v112, v169, v170 :: v_dual_mov_b32 v113, v142
	s_delay_alu instid0(VALU_DEP_1) | instskip(NEXT) | instid1(VALU_DEP_1)
	v_add_f32_e32 v112, v171, v112
	v_add_f32_e32 v112, v172, v112
	s_delay_alu instid0(VALU_DEP_1) | instskip(NEXT) | instid1(VALU_DEP_1)
	v_add_f32_e32 v112, v173, v112
	v_add_f32_e32 v112, v174, v112
	;; [unrolled: 3-line block ×3, first 2 shown]
	s_delay_alu instid0(VALU_DEP_1)
	v_add_f32_e32 v112, v178, v112
	scratch_load_b32 v178, off, off offset:20 ; 4-byte Folded Reload
	s_waitcnt vmcnt(0)
	s_barrier
	buffer_gl0_inv
	v_add_f32_e32 v112, v179, v112
	s_delay_alu instid0(VALU_DEP_1) | instskip(NEXT) | instid1(VALU_DEP_1)
	v_add_f32_e32 v112, v180, v112
	v_add_f32_e32 v112, v181, v112
	s_delay_alu instid0(VALU_DEP_1) | instskip(NEXT) | instid1(VALU_DEP_1)
	v_add_f32_e32 v112, v182, v112
	;; [unrolled: 3-line block ×3, first 2 shown]
	v_add_f32_e32 v142, v214, v112
	s_delay_alu instid0(VALU_DEP_1)
	v_fmac_f32_e32 v142, v113, v186
	s_cbranch_scc1 .LBB19_283
; %bb.284:                              ;   in Loop: Header=BB19_12 Depth=1
	s_clause 0x11
	scratch_load_b32 v175, off, off offset:488
	scratch_load_b32 v218, off, off offset:492
	;; [unrolled: 1-line block ×9, first 2 shown]
	scratch_load_b64 v[170:171], off, off offset:172
	scratch_load_b64 v[172:173], off, off offset:180
	;; [unrolled: 1-line block ×9, first 2 shown]
	v_mov_b32_e32 v118, v238
	v_mov_b32_e32 v214, v235
.LBB19_285:                             ;   in Loop: Header=BB19_12 Depth=1
	scratch_load_b32 v113, off, off offset:348 ; 4-byte Folded Reload
	s_lshl_b32 s74, s86, 6
	s_waitcnt vmcnt(13)
	v_mov_b32_e32 v232, v227
	s_lshl_b64 s[4:5], s[74:75], 1
	s_mul_hi_u32 s6, s34, s74
	v_add_co_u32 v112, vcc_lo, v118, s4
	v_add_co_ci_u32_e32 v114, vcc_lo, s5, v239, vcc_lo
	s_mul_i32 s5, s35, s74
	s_mul_i32 s4, s34, s74
	s_add_i32 s5, s6, s5
	v_add_nc_u32_e32 v136, v199, v207
	s_lshl_b64 s[4:5], s[4:5], 2
	s_mul_hi_u32 s6, s30, s74
	s_add_u32 s4, s70, s4
	s_addc_u32 s5, s73, s5
	v_add_nc_u32_e32 v159, 0xa0, v249
	s_waitcnt vmcnt(0)
	v_lshlrev_b32_e32 v113, 1, v113
	s_delay_alu instid0(VALU_DEP_1)
	v_add_co_u32 v116, vcc_lo, v112, v113
	v_lshlrev_b64 v[112:113], 1, v[130:131]
	v_add_co_ci_u32_e32 v117, vcc_lo, 0, v114, vcc_lo
	v_lshlrev_b64 v[114:115], 1, v[128:129]
	v_mov_b32_e32 v135, s27
	v_mov_b32_e32 v131, s23
	v_add_co_u32 v112, vcc_lo, v116, v112
	v_add_co_ci_u32_e32 v113, vcc_lo, v117, v113, vcc_lo
	v_add_co_u32 v114, vcc_lo, v116, v114
	v_add_co_ci_u32_e32 v115, vcc_lo, v117, v115, vcc_lo
	s_clause 0x1
	global_load_b32 v112, v[112:113], off
	global_load_b32 v113, v[114:115], off
	v_dual_mov_b32 v133, s25 :: v_dual_add_nc_u32 v114, v209, v178
	v_dual_mov_b32 v134, s26 :: v_dual_mov_b32 v129, s21
	v_mov_b32_e32 v132, s24
	s_delay_alu instid0(VALU_DEP_3)
	v_add_nc_u32_e32 v114, 0x3c00, v114
	v_mov_b32_e32 v130, s22
	v_mov_b32_e32 v128, s20
	s_waitcnt vmcnt(0)
	ds_store_2addr_b32 v114, v112, v113 offset1:144
	v_add_co_u32 v112, vcc_lo, s4, v172
	v_add_co_ci_u32_e32 v113, vcc_lo, s5, v173, vcc_lo
	s_delay_alu instid0(VALU_DEP_2) | instskip(NEXT) | instid1(VALU_DEP_2)
	v_add_co_u32 v112, vcc_lo, v112, v222
	v_add_co_ci_u32_e32 v113, vcc_lo, 0, v113, vcc_lo
	v_add_co_u32 v114, vcc_lo, s4, v176
	v_add_co_ci_u32_e32 v115, vcc_lo, s5, v177, vcc_lo
	s_delay_alu instid0(VALU_DEP_2) | instskip(NEXT) | instid1(VALU_DEP_2)
	v_add_co_u32 v116, vcc_lo, v114, v254
	v_add_co_ci_u32_e32 v117, vcc_lo, 0, v115, vcc_lo
	s_clause 0x1
	global_load_b128 v[112:115], v[112:113], off offset:192
	global_load_b128 v[116:119], v[116:117], off offset:128
	s_waitcnt vmcnt(1)
	ds_store_b128 v233, v[112:115]
	v_add_co_u32 v112, vcc_lo, s4, v250
	v_add_co_ci_u32_e32 v113, vcc_lo, s5, v251, vcc_lo
	s_delay_alu instid0(VALU_DEP_2) | instskip(NEXT) | instid1(VALU_DEP_2)
	v_add_co_u32 v112, vcc_lo, v112, v254
	v_add_co_ci_u32_e32 v113, vcc_lo, 0, v113, vcc_lo
	v_add_co_u32 v114, vcc_lo, s4, v252
	v_add_co_ci_u32_e32 v115, vcc_lo, s5, v253, vcc_lo
	s_delay_alu instid0(VALU_DEP_2) | instskip(NEXT) | instid1(VALU_DEP_2)
	v_add_co_u32 v120, vcc_lo, v114, v215
	v_add_co_ci_u32_e32 v121, vcc_lo, 0, v115, vcc_lo
	s_clause 0x1
	global_load_b128 v[112:115], v[112:113], off offset:128
	global_load_b128 v[120:123], v[120:121], off
	s_waitcnt vmcnt(2)
	ds_store_b128 v242, v[116:119]
	s_waitcnt vmcnt(1)
	ds_store_b128 v208, v[112:115]
	v_add_co_u32 v112, vcc_lo, s4, v138
	v_add_co_ci_u32_e32 v113, vcc_lo, s5, v139, vcc_lo
	s_delay_alu instid0(VALU_DEP_2) | instskip(NEXT) | instid1(VALU_DEP_2)
	v_add_co_u32 v112, vcc_lo, v112, v215
	v_add_co_ci_u32_e32 v113, vcc_lo, 0, v113, vcc_lo
	v_add_co_u32 v114, vcc_lo, s4, v140
	v_add_co_ci_u32_e32 v115, vcc_lo, s5, v141, vcc_lo
	s_delay_alu instid0(VALU_DEP_2) | instskip(NEXT) | instid1(VALU_DEP_2)
	v_add_co_u32 v116, vcc_lo, v114, v215
	v_add_co_ci_u32_e32 v117, vcc_lo, 0, v115, vcc_lo
	s_clause 0x1
	global_load_b128 v[112:115], v[112:113], off
	global_load_b128 v[116:119], v[116:117], off
	s_waitcnt vmcnt(2)
	ds_store_b128 v243, v[120:123]
	s_waitcnt vmcnt(1)
	ds_store_b128 v241, v[112:115]
	v_add_co_u32 v112, vcc_lo, s4, v124
	v_add_co_ci_u32_e32 v113, vcc_lo, s5, v125, vcc_lo
	s_mul_i32 s5, s31, s74
	s_delay_alu instid0(VALU_DEP_2) | instskip(NEXT) | instid1(VALU_DEP_2)
	v_add_co_u32 v112, vcc_lo, v112, v215
	v_add_co_ci_u32_e32 v113, vcc_lo, 0, v113, vcc_lo
	v_cmp_lt_i32_e32 vcc_lo, v143, v144
	s_mul_i32 s4, s30, s74
	s_add_i32 s5, s6, s5
	global_load_b128 v[112:115], v[112:113], off
	s_waitcnt vmcnt(1)
	ds_store_b128 v204, v[116:119]
	s_waitcnt vmcnt(0)
	ds_store_b128 v228, v[112:115]
	s_waitcnt lgkmcnt(0)
	s_barrier
	buffer_gl0_inv
	ds_load_b128 v[112:115], v136
	ds_load_b128 v[116:119], v136 offset:16
	ds_load_b128 v[120:123], v136 offset:7680
	;; [unrolled: 1-line block ×3, first 2 shown]
	s_lshl_b64 s[4:5], s[4:5], 2
	v_cmp_eq_u32_e64 s6, 1, v234
	s_add_u32 s4, s104, s4
	s_waitcnt lgkmcnt(2)
	v_wmma_f32_16x16x16_f16 v[146:153], v[112:119], v[80:87], v[128:135]
	s_waitcnt lgkmcnt(0)
	v_wmma_f32_16x16x16_f16 v[112:119], v[120:127], v[80:87], v[128:135]
	ds_load_b128 v[80:83], v136 offset:32
	ds_load_b128 v[84:87], v136 offset:48
	s_waitcnt lgkmcnt(0)
	v_wmma_f32_16x16x16_f16 v[146:153], v[80:87], v[64:71], v[146:153]
	ds_load_b128 v[80:83], v136 offset:7712
	ds_load_b128 v[84:87], v136 offset:7728
	;; [unrolled: 4-line block ×11, first 2 shown]
	v_add_nc_u32_e32 v92, 0x60, v249
	s_waitcnt lgkmcnt(0)
	v_wmma_f32_16x16x16_f16 v[146:153], v[56:63], v[96:103], v[146:153]
	ds_load_b128 v[56:59], v136 offset:7872
	ds_load_b128 v[60:63], v136 offset:7888
	s_waitcnt lgkmcnt(0)
	s_barrier
	buffer_gl0_inv
	v_wmma_f32_16x16x16_f16 v[112:119], v[56:63], v[96:103], v[112:119]
	ds_load_u16 v56, v236 offset:15360
	ds_load_u16 v57, v236 offset:15364
	;; [unrolled: 1-line block ×8, first 2 shown]
	scratch_load_b32 v71, off, off offset:436 ; 4-byte Folded Reload
	s_waitcnt vmcnt(0)
	ds_load_u16 v64, v71 offset:64
	ds_load_u16 v65, v71 offset:68
	;; [unrolled: 1-line block ×8, first 2 shown]
	s_waitcnt lgkmcnt(15)
	v_cvt_f32_f16_e32 v56, v56
	s_waitcnt lgkmcnt(14)
	v_cvt_f32_f16_e32 v57, v57
	;; [unrolled: 2-line block ×7, first 2 shown]
	v_dual_add_f32 v56, v146, v56 :: v_dual_add_f32 v57, v147, v57
	v_cvt_f32_f16_e32 v61, v61
	v_add_f32_e32 v59, v149, v59
	s_delay_alu instid0(VALU_DEP_4)
	v_add_f32_e32 v63, v153, v63
	s_waitcnt lgkmcnt(7)
	v_cvt_f32_f16_e32 v64, v64
	s_waitcnt lgkmcnt(6)
	v_cvt_f32_f16_e32 v65, v65
	v_add_f32_e32 v58, v148, v58
	v_add_f32_e32 v60, v150, v60
	s_waitcnt lgkmcnt(5)
	v_cvt_f32_f16_e32 v66, v66
	v_dual_add_f32 v80, v112, v64 :: v_dual_add_f32 v81, v113, v65
	s_waitcnt lgkmcnt(0)
	v_cvt_f32_f16_e32 v71, v71
	v_add_f32_e32 v65, 0x40051340, v57
	v_add_f32_e32 v79, v114, v66
	;; [unrolled: 1-line block ×3, first 2 shown]
	v_dual_add_f32 v64, 0x40051340, v56 :: v_dual_add_f32 v61, v151, v61
	v_add_f32_e32 v74, v119, v71
	v_add_f32_e32 v66, 0x40051340, v59
	v_cvt_f32_f16_e32 v67, v67
	s_delay_alu instid0(VALU_DEP_4)
	v_max3_f32 v64, v145, v64, v65
	v_add_f32_e32 v65, 0x40051340, v58
	v_cvt_f32_f16_e32 v68, v68
	v_cvt_f32_f16_e32 v69, v69
	;; [unrolled: 1-line block ×3, first 2 shown]
	v_add_f32_e32 v78, v115, v67
	v_max3_f32 v64, v64, v65, v66
	v_add_f32_e32 v77, v116, v68
	v_dual_add_f32 v65, 0x40051340, v60 :: v_dual_add_f32 v66, 0x40051340, v61
	v_dual_add_f32 v76, v117, v69 :: v_dual_add_f32 v75, v118, v70
	v_add_nc_u32_e32 v151, 0x80, v249
	s_delay_alu instid0(VALU_DEP_3) | instskip(SKIP_1) | instid1(VALU_DEP_1)
	v_max3_f32 v64, v64, v65, v66
	v_dual_add_f32 v65, 0x40051340, v62 :: v_dual_add_f32 v66, 0x40051340, v63
	v_max3_f32 v64, v64, v65, v66
	v_dual_add_f32 v65, 0x40051340, v80 :: v_dual_add_f32 v66, 0x40051340, v81
	s_delay_alu instid0(VALU_DEP_1) | instskip(SKIP_1) | instid1(VALU_DEP_1)
	v_max3_f32 v64, v64, v65, v66
	v_dual_add_f32 v65, 0x40051340, v79 :: v_dual_add_f32 v66, 0x40051340, v78
	v_max3_f32 v64, v64, v65, v66
	v_dual_add_f32 v65, 0x40051340, v77 :: v_dual_add_f32 v66, 0x40051340, v76
	s_delay_alu instid0(VALU_DEP_1) | instskip(SKIP_1) | instid1(VALU_DEP_1)
	v_max3_f32 v64, v64, v65, v66
	v_dual_add_f32 v65, 0x40051340, v75 :: v_dual_add_f32 v66, 0x40051340, v74
	v_max3_f32 v64, v64, v65, v66
	scratch_load_b32 v65, off, off offset:336 ; 4-byte Folded Reload
	s_waitcnt vmcnt(0)
	v_cndmask_b32_e32 v65, v65, v143, vcc_lo
	s_delay_alu instid0(VALU_DEP_1) | instskip(SKIP_3) | instid1(VALU_DEP_1)
	v_lshlrev_b32_e32 v72, 2, v65
	ds_bpermute_b32 v65, v72, v64
	s_waitcnt lgkmcnt(0)
	v_max_f32_e32 v65, v65, v65
	v_max_f32_e32 v73, v64, v65
	s_delay_alu instid0(VALU_DEP_1)
	v_sub_f32_e32 v64, v145, v73
	v_sub_f32_e32 v57, v57, v73
	;; [unrolled: 1-line block ×5, first 2 shown]
	v_mul_f32_e32 v65, 0x3fb8aa3b, v64
	v_cmp_ngt_f32_e32 vcc_lo, 0xc2ce8ed0, v64
	v_sub_f32_e32 v60, v60, v73
	v_sub_f32_e32 v61, v61, v73
	;; [unrolled: 1-line block ×3, first 2 shown]
	v_fma_f32 v66, 0x3fb8aa3b, v64, -v65
	v_rndne_f32_e32 v67, v65
	v_sub_f32_e32 v63, v63, v73
	v_cmp_ngt_f32_e64 s7, 0xc2ce8ed0, v58
	v_sub_f32_e32 v74, v74, v73
	s_delay_alu instid0(VALU_DEP_4) | instskip(NEXT) | instid1(VALU_DEP_1)
	v_dual_fmac_f32 v66, 0x32a5705f, v64 :: v_dual_sub_f32 v65, v65, v67
	v_add_f32_e32 v65, v65, v66
	v_cvt_i32_f32_e32 v66, v67
	s_delay_alu instid0(VALU_DEP_2) | instskip(SKIP_2) | instid1(VALU_DEP_1)
	v_exp_f32_e32 v65, v65
	s_waitcnt_depctr 0xfff
	v_ldexp_f32 v65, v65, v66
	v_cndmask_b32_e32 v65, 0, v65, vcc_lo
	v_cmp_nlt_f32_e32 vcc_lo, 0x42b17218, v64
	s_delay_alu instid0(VALU_DEP_2) | instskip(SKIP_1) | instid1(VALU_DEP_2)
	v_cndmask_b32_e32 v65, 0x7f800000, v65, vcc_lo
	v_cmp_le_f32_e32 vcc_lo, 0xc1a00000, v64
	v_cndmask_b32_e32 v82, 0, v65, vcc_lo
	s_addc_u32 s5, vcc_hi, s5
	v_add_co_u32 v64, vcc_lo, s4, v210
	v_add_co_ci_u32_e32 v65, vcc_lo, s5, v211, vcc_lo
	s_cmp_lg_u64 s[82:83], 0
	s_delay_alu instid0(VALU_DEP_2) | instskip(NEXT) | instid1(VALU_DEP_2)
	v_add_co_u32 v64, vcc_lo, v64, v222
	v_add_co_ci_u32_e32 v65, vcc_lo, 0, v65, vcc_lo
	v_add_co_u32 v66, vcc_lo, s4, v212
	v_add_co_ci_u32_e32 v67, vcc_lo, s5, v213, vcc_lo
	s_delay_alu instid0(VALU_DEP_2) | instskip(NEXT) | instid1(VALU_DEP_2)
	v_add_co_u32 v68, vcc_lo, v66, v254
	v_add_co_ci_u32_e32 v69, vcc_lo, 0, v67, vcc_lo
	s_clause 0x1
	global_load_b128 v[64:67], v[64:65], off offset:192
	global_load_b128 v[68:71], v[68:69], off offset:128
	s_waitcnt vmcnt(1)
	ds_store_b128 v233, v[64:67]
	v_add_co_u32 v64, vcc_lo, s4, v170
	v_add_co_ci_u32_e32 v65, vcc_lo, s5, v171, vcc_lo
	s_delay_alu instid0(VALU_DEP_2) | instskip(NEXT) | instid1(VALU_DEP_2)
	v_add_co_u32 v64, vcc_lo, v64, v254
	v_add_co_ci_u32_e32 v65, vcc_lo, 0, v65, vcc_lo
	v_add_co_u32 v66, vcc_lo, s4, v181
	v_add_co_ci_u32_e32 v67, vcc_lo, s5, v182, vcc_lo
	s_delay_alu instid0(VALU_DEP_2) | instskip(NEXT) | instid1(VALU_DEP_2)
	v_add_co_u32 v83, vcc_lo, v66, v215
	v_add_co_ci_u32_e32 v84, vcc_lo, 0, v67, vcc_lo
	s_clause 0x1
	global_load_b128 v[64:67], v[64:65], off offset:128
	global_load_b128 v[83:86], v[83:84], off
	s_waitcnt vmcnt(2)
	ds_store_b128 v242, v[68:71]
	s_waitcnt vmcnt(1)
	ds_store_b128 v208, v[64:67]
	v_add_co_u32 v64, vcc_lo, s4, v229
	v_add_co_ci_u32_e32 v65, vcc_lo, s5, v230, vcc_lo
	s_delay_alu instid0(VALU_DEP_2) | instskip(NEXT) | instid1(VALU_DEP_2)
	v_add_co_u32 v64, vcc_lo, v64, v215
	v_add_co_ci_u32_e32 v65, vcc_lo, 0, v65, vcc_lo
	v_add_co_u32 v66, vcc_lo, s4, v225
	v_add_co_ci_u32_e32 v67, vcc_lo, s5, v226, vcc_lo
	s_delay_alu instid0(VALU_DEP_2) | instskip(NEXT) | instid1(VALU_DEP_2)
	v_add_co_u32 v68, vcc_lo, v66, v215
	v_add_co_ci_u32_e32 v69, vcc_lo, 0, v67, vcc_lo
	s_clause 0x1
	global_load_b128 v[64:67], v[64:65], off
	global_load_b128 v[68:71], v[68:69], off
	s_waitcnt vmcnt(2)
	ds_store_b128 v243, v[83:86]
	s_waitcnt vmcnt(1)
	ds_store_b128 v241, v[64:67]
	v_add_co_u32 v64, vcc_lo, s4, v246
	v_add_co_ci_u32_e32 v65, vcc_lo, s5, v247, vcc_lo
	v_cmp_ngt_f32_e64 s4, 0xc2ce8ed0, v56
	s_delay_alu instid0(VALU_DEP_3) | instskip(NEXT) | instid1(VALU_DEP_3)
	v_add_co_u32 v64, vcc_lo, v64, v215
	v_add_co_ci_u32_e32 v65, vcc_lo, 0, v65, vcc_lo
	v_cmp_eq_u32_e64 s5, 0, v234
	global_load_b128 v[64:67], v[64:65], off
	s_waitcnt vmcnt(1)
	ds_store_b128 v204, v[68:71]
	s_waitcnt vmcnt(0)
	ds_store_b128 v228, v[64:67]
	v_mul_f32_e32 v64, 0x3fb8aa3b, v57
	s_waitcnt lgkmcnt(0)
	s_barrier
	buffer_gl0_inv
	v_fma_f32 v65, 0x3fb8aa3b, v57, -v64
	v_rndne_f32_e32 v66, v64
	s_delay_alu instid0(VALU_DEP_1) | instskip(SKIP_2) | instid1(VALU_DEP_3)
	v_dual_sub_f32 v64, v64, v66 :: v_dual_fmac_f32 v65, 0x32a5705f, v57
	v_cvt_i32_f32_e32 v66, v66
	v_cmp_ngt_f32_e32 vcc_lo, 0xc2ce8ed0, v57
	v_dual_add_f32 v64, v64, v65 :: v_dual_mul_f32 v65, 0x3fb8aa3b, v56
	v_mul_f32_e32 v43, v43, v82
	v_mul_f32_e32 v42, v42, v82
	;; [unrolled: 1-line block ×3, first 2 shown]
	s_delay_alu instid0(VALU_DEP_4)
	v_exp_f32_e32 v64, v64
	v_fma_f32 v67, 0x3fb8aa3b, v56, -v65
	v_rndne_f32_e32 v68, v65
	v_mul_f32_e32 v52, v52, v82
	v_mul_f32_e32 v54, v54, v82
	;; [unrolled: 1-line block ×3, first 2 shown]
	v_fmac_f32_e32 v67, 0x32a5705f, v56
	v_dual_sub_f32 v65, v65, v68 :: v_dual_mul_f32 v40, v40, v82
	v_mul_f32_e32 v36, v36, v82
	s_delay_alu instid0(TRANS32_DEP_1) | instskip(SKIP_1) | instid1(VALU_DEP_4)
	v_ldexp_f32 v64, v64, v66
	v_cvt_i32_f32_e32 v66, v68
	v_add_f32_e32 v65, v65, v67
	v_mul_f32_e32 v49, v49, v82
	v_mul_f32_e32 v28, v28, v82
	v_cndmask_b32_e32 v64, 0, v64, vcc_lo
	v_cmp_nlt_f32_e32 vcc_lo, 0x42b17218, v57
	v_exp_f32_e32 v65, v65
	v_mul_f32_e32 v53, v53, v82
	v_mul_f32_e32 v30, v30, v82
	v_dual_mul_f32 v27, v27, v82 :: v_dual_cndmask_b32 v84, 0x7f800000, v64
	v_cmp_eq_u32_e32 vcc_lo, 1, v237
	v_mul_f32_e32 v10, v10, v82
	v_mul_f32_e32 v12, v12, v82
	;; [unrolled: 1-line block ×3, first 2 shown]
	ds_bpermute_b32 v64, v72, v84
	v_ldexp_f32 v65, v65, v66
	v_mul_f32_e32 v6, v6, v82
	v_mul_f32_e32 v17, v17, v82
	;; [unrolled: 1-line block ×4, first 2 shown]
	v_cndmask_b32_e64 v57, 0, v65, s4
	v_cmp_nlt_f32_e64 s4, 0x42b17218, v56
	v_mul_f32_e32 v51, v51, v82
	v_mul_f32_e32 v19, v19, v82
	;; [unrolled: 1-line block ×4, first 2 shown]
	v_cndmask_b32_e64 v83, 0x7f800000, v57, s4
	v_cmp_eq_u32_e64 s4, 0, v237
	v_mul_f32_e32 v9, v9, v82
	v_mul_f32_e32 v11, v11, v82
	;; [unrolled: 1-line block ×3, first 2 shown]
	ds_bpermute_b32 v56, v72, v83
	v_mul_f32_e32 v41, v41, v82
	v_mul_f32_e32 v15, v15, v82
	;; [unrolled: 1-line block ×6, first 2 shown]
	s_waitcnt lgkmcnt(0)
	v_cndmask_b32_e64 v57, v83, v56, s4
	v_cndmask_b32_e32 v56, v83, v56, vcc_lo
	s_delay_alu instid0(VALU_DEP_2) | instskip(NEXT) | instid1(VALU_DEP_2)
	v_cndmask_b32_e64 v65, v57, v84, s5
	v_cndmask_b32_e64 v66, v56, v84, s6
	v_mul_f32_e32 v55, v55, v82
	v_cvt_f16_f32_e32 v57, v57
	v_cvt_f16_f32_e32 v56, v56
	v_cndmask_b32_e64 v65, v65, v64, s4
	v_cndmask_b32_e32 v64, v66, v64, vcc_lo
	s_delay_alu instid0(VALU_DEP_3) | instskip(NEXT) | instid1(VALU_DEP_3)
	v_pack_b32_f16 v56, v57, v56
	v_cvt_f16_f32_e32 v66, v65
	s_delay_alu instid0(VALU_DEP_3) | instskip(NEXT) | instid1(VALU_DEP_1)
	v_cvt_f16_f32_e32 v67, v64
	v_pack_b32_f16 v57, v66, v67
	v_mul_f32_e32 v66, 0x3fb8aa3b, v58
	s_delay_alu instid0(VALU_DEP_1) | instskip(SKIP_2) | instid1(VALU_DEP_2)
	v_fma_f32 v67, 0x3fb8aa3b, v58, -v66
	v_rndne_f32_e32 v68, v66
	v_mul_f32_e32 v45, v45, v82
	v_dual_fmac_f32 v67, 0x32a5705f, v58 :: v_dual_sub_f32 v66, v66, v68
	s_delay_alu instid0(VALU_DEP_1) | instskip(SKIP_1) | instid1(VALU_DEP_2)
	v_dual_mul_f32 v47, v47, v82 :: v_dual_add_f32 v66, v66, v67
	v_cvt_i32_f32_e32 v67, v68
	v_exp_f32_e32 v66, v66
	s_waitcnt_depctr 0xfff
	v_ldexp_f32 v66, v66, v67
	s_delay_alu instid0(VALU_DEP_1) | instskip(SKIP_1) | instid1(VALU_DEP_1)
	v_cndmask_b32_e64 v66, 0, v66, s7
	v_cmp_nlt_f32_e64 s7, 0x42b17218, v58
	v_cndmask_b32_e64 v85, 0x7f800000, v66, s7
	v_cmp_ngt_f32_e64 s7, 0xc2ce8ed0, v59
	s_delay_alu instid0(VALU_DEP_2) | instskip(SKIP_3) | instid1(VALU_DEP_1)
	v_cndmask_b32_e64 v58, v65, v85, s5
	ds_bpermute_b32 v65, v72, v85
	v_cndmask_b32_e64 v64, v64, v85, s6
	s_waitcnt lgkmcnt(0)
	v_dual_mul_f32 v33, v33, v82 :: v_dual_cndmask_b32 v64, v64, v65
	v_cndmask_b32_e64 v66, v58, v65, s4
	s_delay_alu instid0(VALU_DEP_2) | instskip(NEXT) | instid1(VALU_DEP_2)
	v_cvt_f16_f32_e32 v65, v64
	v_cvt_f16_f32_e32 v58, v66
	s_delay_alu instid0(VALU_DEP_1) | instskip(SKIP_1) | instid1(VALU_DEP_1)
	v_pack_b32_f16 v58, v58, v65
	v_mul_f32_e32 v65, 0x3fb8aa3b, v59
	v_fma_f32 v67, 0x3fb8aa3b, v59, -v65
	v_rndne_f32_e32 v68, v65
	v_mul_f32_e32 v46, v46, v82
	s_delay_alu instid0(VALU_DEP_3) | instskip(NEXT) | instid1(VALU_DEP_3)
	v_dual_mul_f32 v32, v32, v82 :: v_dual_fmac_f32 v67, 0x32a5705f, v59
	v_dual_sub_f32 v65, v65, v68 :: v_dual_mul_f32 v34, v34, v82
	s_delay_alu instid0(VALU_DEP_1) | instskip(SKIP_1) | instid1(VALU_DEP_2)
	v_add_f32_e32 v65, v65, v67
	v_cvt_i32_f32_e32 v67, v68
	v_exp_f32_e32 v65, v65
	s_waitcnt_depctr 0xfff
	v_ldexp_f32 v65, v65, v67
	s_delay_alu instid0(VALU_DEP_1) | instskip(SKIP_1) | instid1(VALU_DEP_1)
	v_cndmask_b32_e64 v65, 0, v65, s7
	v_cmp_nlt_f32_e64 s7, 0x42b17218, v59
	v_cndmask_b32_e64 v86, 0x7f800000, v65, s7
	v_cmp_ngt_f32_e64 s7, 0xc2ce8ed0, v60
	ds_bpermute_b32 v65, v72, v86
	v_cndmask_b32_e64 v59, v66, v86, s5
	v_cndmask_b32_e64 v64, v64, v86, s6
	s_waitcnt lgkmcnt(0)
	s_delay_alu instid0(VALU_DEP_1) | instskip(NEXT) | instid1(VALU_DEP_3)
	v_dual_mul_f32 v35, v35, v82 :: v_dual_cndmask_b32 v64, v64, v65
	v_cndmask_b32_e64 v66, v59, v65, s4
	s_delay_alu instid0(VALU_DEP_2) | instskip(NEXT) | instid1(VALU_DEP_2)
	v_cvt_f16_f32_e32 v65, v64
	v_cvt_f16_f32_e32 v59, v66
	s_delay_alu instid0(VALU_DEP_1) | instskip(SKIP_1) | instid1(VALU_DEP_1)
	v_pack_b32_f16 v59, v59, v65
	v_mul_f32_e32 v65, 0x3fb8aa3b, v60
	v_fma_f32 v67, 0x3fb8aa3b, v60, -v65
	v_rndne_f32_e32 v68, v65
	v_mul_f32_e32 v38, v38, v82
	s_delay_alu instid0(VALU_DEP_3) | instskip(NEXT) | instid1(VALU_DEP_3)
	v_dual_mul_f32 v24, v24, v82 :: v_dual_fmac_f32 v67, 0x32a5705f, v60
	v_dual_sub_f32 v65, v65, v68 :: v_dual_mul_f32 v26, v26, v82
	s_delay_alu instid0(VALU_DEP_1) | instskip(SKIP_1) | instid1(VALU_DEP_2)
	v_add_f32_e32 v65, v65, v67
	v_cvt_i32_f32_e32 v67, v68
	v_exp_f32_e32 v65, v65
	s_waitcnt_depctr 0xfff
	v_ldexp_f32 v65, v65, v67
	s_delay_alu instid0(VALU_DEP_1) | instskip(SKIP_1) | instid1(VALU_DEP_1)
	v_cndmask_b32_e64 v65, 0, v65, s7
	v_cmp_nlt_f32_e64 s7, 0x42b17218, v60
	v_cndmask_b32_e64 v87, 0x7f800000, v65, s7
	v_cmp_ngt_f32_e64 s7, 0xc2ce8ed0, v61
	ds_bpermute_b32 v65, v72, v87
	v_cndmask_b32_e64 v60, v66, v87, s5
	v_cndmask_b32_e64 v64, v64, v87, s6
	s_waitcnt lgkmcnt(0)
	s_delay_alu instid0(VALU_DEP_1) | instskip(NEXT) | instid1(VALU_DEP_3)
	;; [unrolled: 30-line block ×3, first 2 shown]
	v_dual_mul_f32 v25, v25, v82 :: v_dual_cndmask_b32 v64, v64, v65
	v_cndmask_b32_e64 v66, v61, v65, s4
	s_delay_alu instid0(VALU_DEP_2) | instskip(NEXT) | instid1(VALU_DEP_2)
	v_cvt_f16_f32_e32 v65, v64
	v_cvt_f16_f32_e32 v61, v66
	s_delay_alu instid0(VALU_DEP_1) | instskip(SKIP_1) | instid1(VALU_DEP_1)
	v_pack_b32_f16 v61, v61, v65
	v_mul_f32_e32 v65, 0x3fb8aa3b, v62
	v_fma_f32 v67, 0x3fb8aa3b, v62, -v65
	v_rndne_f32_e32 v68, v65
	v_mul_f32_e32 v22, v22, v82
	s_delay_alu instid0(VALU_DEP_3) | instskip(NEXT) | instid1(VALU_DEP_3)
	v_fmac_f32_e32 v67, 0x32a5705f, v62
	v_dual_sub_f32 v65, v65, v68 :: v_dual_mul_f32 v8, v8, v82
	s_delay_alu instid0(VALU_DEP_1) | instskip(SKIP_1) | instid1(VALU_DEP_2)
	v_add_f32_e32 v65, v65, v67
	v_cvt_i32_f32_e32 v67, v68
	v_exp_f32_e32 v65, v65
	s_waitcnt_depctr 0xfff
	v_ldexp_f32 v65, v65, v67
	s_delay_alu instid0(VALU_DEP_1) | instskip(SKIP_1) | instid1(VALU_DEP_1)
	v_cndmask_b32_e64 v65, 0, v65, s7
	v_cmp_nlt_f32_e64 s7, 0x42b17218, v62
	v_cndmask_b32_e64 v89, 0x7f800000, v65, s7
	v_cmp_ngt_f32_e64 s7, 0xc2ce8ed0, v63
	ds_bpermute_b32 v65, v72, v89
	v_cndmask_b32_e64 v62, v66, v89, s5
	v_cndmask_b32_e64 v64, v64, v89, s6
	s_waitcnt lgkmcnt(0)
	s_delay_alu instid0(VALU_DEP_1) | instskip(NEXT) | instid1(VALU_DEP_3)
	v_dual_mul_f32 v29, v29, v82 :: v_dual_cndmask_b32 v64, v64, v65
	v_cndmask_b32_e64 v66, v62, v65, s4
	s_delay_alu instid0(VALU_DEP_2) | instskip(NEXT) | instid1(VALU_DEP_2)
	v_cvt_f16_f32_e32 v65, v64
	v_cvt_f16_f32_e32 v62, v66
	s_delay_alu instid0(VALU_DEP_1) | instskip(SKIP_1) | instid1(VALU_DEP_1)
	v_pack_b32_f16 v62, v62, v65
	v_mul_f32_e32 v65, 0x3fb8aa3b, v63
	v_fma_f32 v67, 0x3fb8aa3b, v63, -v65
	v_rndne_f32_e32 v68, v65
	v_mul_f32_e32 v14, v14, v82
	s_delay_alu instid0(VALU_DEP_3) | instskip(NEXT) | instid1(VALU_DEP_3)
	v_dual_mul_f32 v0, v0, v82 :: v_dual_fmac_f32 v67, 0x32a5705f, v63
	v_dual_sub_f32 v65, v65, v68 :: v_dual_mul_f32 v2, v2, v82
	s_delay_alu instid0(VALU_DEP_1) | instskip(SKIP_1) | instid1(VALU_DEP_2)
	v_add_f32_e32 v65, v65, v67
	v_cvt_i32_f32_e32 v67, v68
	v_exp_f32_e32 v65, v65
	s_waitcnt_depctr 0xfff
	v_ldexp_f32 v65, v65, v67
	s_delay_alu instid0(VALU_DEP_1) | instskip(SKIP_1) | instid1(VALU_DEP_1)
	v_cndmask_b32_e64 v65, 0, v65, s7
	v_cmp_nlt_f32_e64 s7, 0x42b17218, v63
	v_cndmask_b32_e64 v90, 0x7f800000, v65, s7
	ds_bpermute_b32 v65, v72, v90
	v_cndmask_b32_e64 v63, v66, v90, s5
	ds_load_u16 v66, v240 offset:960
	ds_load_u16 v67, v240 offset:1440
	;; [unrolled: 1-line block ×6, first 2 shown]
	v_cndmask_b32_e64 v64, v64, v90, s6
	ds_load_u16 v93, v151 offset:960
	ds_load_u16 v91, v249 offset:128
	;; [unrolled: 1-line block ×47, first 2 shown]
	s_waitcnt lgkmcnt(53)
	v_dual_mul_f32 v31, v31, v82 :: v_dual_cndmask_b32 v64, v64, v65
	v_cndmask_b32_e64 v63, v63, v65, s4
	v_add_nc_u32_e32 v65, 0x60, v249
	s_delay_alu instid0(VALU_DEP_3) | instskip(NEXT) | instid1(VALU_DEP_3)
	v_cvt_f16_f32_e32 v64, v64
	v_cvt_f16_f32_e32 v63, v63
	s_delay_alu instid0(VALU_DEP_1)
	v_pack_b32_f16 v63, v63, v64
	s_waitcnt lgkmcnt(37)
	ds_load_u16_d16_hi v115, v240 offset:8400
	s_waitcnt lgkmcnt(33)
	ds_load_u16_d16_hi v117, v240 offset:9360
	ds_load_u16_d16_hi v66, v249 offset:1232
	ds_load_u16 v168, v249 offset:480
	ds_load_u16 v170, v249 offset:1440
	ds_load_u16_d16_hi v67, v249 offset:1712
	ds_load_u16 v171, v249 offset:1920
	ds_load_u16_d16_hi v68, v249 offset:2192
	;; [unrolled: 2-line block ×5, first 2 shown]
	ds_load_u16 v169, v249 offset:960
	s_waitcnt lgkmcnt(24)
	ds_load_u16_d16_hi v108, v249 offset:912
	ds_load_u16 v193, v244 offset:960
	ds_load_u16 v194, v244 offset:1440
	;; [unrolled: 1-line block ×6, first 2 shown]
	ds_load_u16_d16_hi v123, v244 offset:8400
	ds_load_u16_d16_hi v126, v244 offset:9840
	ds_load_u16 v167, v249
	ds_load_u16 v64, v249 offset:32
	ds_load_u16 v191, v249 offset:64
	ds_load_u16 v199, v249 offset:96
	ds_load_u16 v201, v65 offset:960
	v_add_nc_u32_e32 v65, 0x60, v249
	ds_load_u16 v202, v65 offset:1440
	v_add_nc_u32_e32 v65, 0x60, v249
	ds_load_u16 v203, v65 offset:1920
	;; [unrolled: 2-line block ×5, first 2 shown]
	v_add_nc_u32_e32 v65, 0x60, v249
	ds_load_u16_d16_hi v131, v65 offset:8400
	v_add_nc_u32_e32 v65, 0x60, v249
	ds_load_u16_d16_hi v134, v65 offset:9840
	ds_load_u16 v94, v151 offset:1440
	ds_load_u16 v95, v151 offset:1920
	;; [unrolled: 1-line block ×5, first 2 shown]
	ds_load_u16_d16_hi v144, v151 offset:8400
	ds_load_u16_d16_hi v147, v151 offset:9840
	ds_load_u16 v102, v159 offset:1440
	ds_load_u16 v103, v159 offset:1920
	;; [unrolled: 1-line block ×5, first 2 shown]
	ds_load_u16_d16_hi v152, v159 offset:8400
	s_waitcnt lgkmcnt(55)
	ds_load_u16_d16_hi v155, v159 offset:9840
	s_waitcnt lgkmcnt(35)
	;; [unrolled: 2-line block ×4, first 2 shown]
	ds_load_u16_d16_hi v201, v249 offset:1296
	ds_load_u16_d16_hi v93, v249 offset:1328
	;; [unrolled: 1-line block ×6, first 2 shown]
	ds_load_u16 v114, v184 offset:3360
	ds_load_u16 v113, v184 offset:2880
	ds_load_u16_d16_hi v109, v249 offset:1392
	ds_load_u16_d16_hi v170, v249 offset:1680
	;; [unrolled: 1-line block ×3, first 2 shown]
	s_waitcnt lgkmcnt(33)
	ds_load_u16_d16_hi v202, v249 offset:1776
	s_waitcnt lgkmcnt(27)
	ds_load_u16_d16_hi v94, v249 offset:1808
	;; [unrolled: 2-line block ×3, first 2 shown]
	ds_load_u16_d16_hi v110, v249 offset:1872
	ds_load_u16_d16_hi v171, v249 offset:2160
	ds_load_u16_d16_hi v195, v249 offset:2224
	ds_load_u16_d16_hi v203, v249 offset:2256
	ds_load_u16_d16_hi v95, v249 offset:2288
	s_waitcnt lgkmcnt(26)
	ds_load_u16_d16_hi v103, v249 offset:2320
	ds_load_u16_d16_hi v111, v249 offset:2352
	ds_load_u16_d16_hi v172, v249 offset:2640
	ds_load_u16_d16_hi v196, v249 offset:2704
	ds_load_u16_d16_hi v204, v249 offset:2736
	ds_load_u16_d16_hi v96, v249 offset:2768
	s_waitcnt lgkmcnt(31)
	ds_load_u16_d16_hi v104, v249 offset:2800
	;; [unrolled: 7-line block ×3, first 2 shown]
	s_waitcnt lgkmcnt(24)
	ds_load_u16_d16_hi v113, v249 offset:3312
	ds_load_u16_d16_hi v174, v249 offset:3600
	;; [unrolled: 1-line block ×10, first 2 shown]
	ds_load_u16 v224, v200 offset:480
	ds_load_u16 v225, v200 offset:960
	;; [unrolled: 1-line block ×7, first 2 shown]
	ds_load_u16_d16_hi v198, v249 offset:3664
	ds_load_u16_d16_hi v206, v249 offset:3696
	;; [unrolled: 1-line block ×5, first 2 shown]
	ds_load_u16 v223, v249 offset:7680
	s_waitcnt lgkmcnt(14)
	v_wmma_f32_16x16x16_f16 v[48:55], v[167:174], v[56:63], v[48:55]
	v_add_nc_u32_e32 v168, 0x60, v249
	s_waitcnt lgkmcnt(12)
	ds_load_u16_d16_hi v224, v249 offset:8400
	ds_load_u16 v65, v240 offset:480
	ds_load_u16 v192, v244 offset:480
	;; [unrolled: 1-line block ×6, first 2 shown]
	s_waitcnt lgkmcnt(5)
	ds_load_u16_d16_hi v65, v249 offset:752
	s_waitcnt lgkmcnt(5)
	ds_load_u16_d16_hi v192, v249 offset:784
	;; [unrolled: 2-line block ×5, first 2 shown]
	v_wmma_f32_16x16x16_f16 v[0:7], v[107:114], v[56:63], v[0:7]
	s_waitcnt lgkmcnt(4)
	v_wmma_f32_16x16x16_f16 v[40:47], v[64:71], v[56:63], v[40:47]
	s_waitcnt lgkmcnt(3)
	v_wmma_f32_16x16x16_f16 v[32:39], v[191:198], v[56:63], v[32:39]
	ds_load_u16_d16_hi v223, v249 offset:7920
	ds_load_u16_d16_hi v225, v249 offset:8880
	;; [unrolled: 1-line block ×7, first 2 shown]
	ds_load_u16 v114, v240 offset:7680
	ds_load_u16 v124, v190 offset:960
	s_waitcnt lgkmcnt(1)
	ds_load_u16_d16_hi v114, v240 offset:7920
	ds_load_u16_d16_hi v116, v240 offset:8880
	;; [unrolled: 1-line block ×6, first 2 shown]
	ds_load_u16 v122, v244 offset:7680
	v_wmma_f32_16x16x16_f16 v[24:31], v[199:206], v[56:63], v[24:31]
	v_wmma_f32_16x16x16_f16 v[16:23], v[91:98], v[56:63], v[16:23]
	;; [unrolled: 1-line block ×3, first 2 shown]
	v_sub_f32_e32 v56, v81, v73
	s_delay_alu instid0(VALU_DEP_1)
	v_mul_f32_e32 v57, 0x3fb8aa3b, v56
	v_cmp_ngt_f32_e64 s7, 0xc2ce8ed0, v56
	s_waitcnt lgkmcnt(7)
	ds_load_u16_d16_hi v124, v244 offset:8880
	v_fma_f32 v58, 0x3fb8aa3b, v56, -v57
	v_rndne_f32_e32 v59, v57
	s_waitcnt lgkmcnt(1)
	ds_load_u16_d16_hi v122, v244 offset:7920
	ds_load_u16_d16_hi v125, v244 offset:9360
	;; [unrolled: 1-line block ×5, first 2 shown]
	ds_load_u16 v130, v168 offset:7680
	ds_load_u16_d16_hi v132, v168 offset:8880
	ds_load_u16_d16_hi v135, v168 offset:10320
	v_dual_fmac_f32 v58, 0x32a5705f, v56 :: v_dual_sub_f32 v57, v57, v59
	v_cvt_i32_f32_e32 v59, v59
	s_waitcnt lgkmcnt(2)
	ds_load_u16_d16_hi v130, v168 offset:7920
	ds_load_u16_d16_hi v133, v168 offset:9360
	;; [unrolled: 1-line block ×4, first 2 shown]
	ds_load_u16 v143, v151 offset:7680
	ds_load_u16_d16_hi v145, v151 offset:8880
	ds_load_u16_d16_hi v148, v151 offset:10320
	;; [unrolled: 1-line block ×3, first 2 shown]
	v_dual_add_f32 v57, v57, v58 :: v_dual_sub_f32 v58, v80, v73
	s_waitcnt lgkmcnt(3)
	ds_load_u16_d16_hi v143, v151 offset:7920
	ds_load_u16_d16_hi v146, v151 offset:9360
	;; [unrolled: 1-line block ×3, first 2 shown]
	ds_load_u16 v151, v159 offset:7680
	ds_load_u16_d16_hi v153, v159 offset:8880
	ds_load_u16_d16_hi v156, v159 offset:10320
	;; [unrolled: 1-line block ×3, first 2 shown]
	v_mul_f32_e32 v60, 0x3fb8aa3b, v58
	v_exp_f32_e32 v57, v57
	v_cmp_ngt_f32_e64 s8, 0xc2ce8ed0, v58
	ds_load_u16 v154, v220 offset:1440
	ds_load_u16 v164, v221 offset:2400
	s_waitcnt lgkmcnt(5)
	ds_load_u16_d16_hi v151, v159 offset:7920
	v_fma_f32 v61, 0x3fb8aa3b, v58, -v60
	v_rndne_f32_e32 v62, v60
	v_ldexp_f32 v57, v57, v59
	s_waitcnt lgkmcnt(2)
	ds_load_u16_d16_hi v154, v159 offset:9360
	ds_load_u16_d16_hi v157, v159 offset:10800
	ds_load_u16 v159, v184 offset:7680
	ds_load_u16_d16_hi v161, v184 offset:8880
	s_waitcnt lgkmcnt(5)
	ds_load_u16_d16_hi v164, v184 offset:10320
	v_fmac_f32_e32 v61, 0x32a5705f, v58
	v_sub_f32_e32 v60, v60, v62
	v_cndmask_b32_e64 v57, 0, v57, s7
	v_cmp_nlt_f32_e64 s7, 0x42b17218, v56
	ds_load_u16 v162, v221 offset:1440
	s_waitcnt lgkmcnt(3)
	ds_load_u16_d16_hi v159, v184 offset:7920
	v_add_f32_e32 v60, v60, v61
	v_cndmask_b32_e64 v65, 0x7f800000, v57, s7
	s_waitcnt lgkmcnt(1)
	ds_load_u16_d16_hi v162, v184 offset:9360
	ds_load_u16_d16_hi v165, v184 offset:10800
	v_exp_f32_e32 v59, v60
	v_cvt_i32_f32_e32 v60, v62
	s_waitcnt lgkmcnt(0)
	s_barrier
	buffer_gl0_inv
	v_ldexp_f32 v59, v59, v60
	s_delay_alu instid0(VALU_DEP_1)
	v_cndmask_b32_e64 v56, 0, v59, s8
	v_cmp_nlt_f32_e64 s8, 0x42b17218, v58
	ds_bpermute_b32 v58, v72, v65
	v_cndmask_b32_e64 v64, 0x7f800000, v56, s8
	ds_bpermute_b32 v56, v72, v64
	s_waitcnt lgkmcnt(0)
	v_cndmask_b32_e64 v57, v64, v56, s4
	v_cndmask_b32_e32 v56, v64, v56, vcc_lo
	s_delay_alu instid0(VALU_DEP_2) | instskip(NEXT) | instid1(VALU_DEP_2)
	v_cndmask_b32_e64 v59, v57, v65, s5
	v_cndmask_b32_e64 v60, v56, v65, s6
	v_cvt_f16_f32_e32 v57, v57
	v_cvt_f16_f32_e32 v56, v56
	s_delay_alu instid0(VALU_DEP_4) | instskip(NEXT) | instid1(VALU_DEP_4)
	v_cndmask_b32_e64 v59, v59, v58, s4
	v_cndmask_b32_e32 v58, v60, v58, vcc_lo
	s_delay_alu instid0(VALU_DEP_3) | instskip(NEXT) | instid1(VALU_DEP_3)
	v_pack_b32_f16 v56, v57, v56
	v_cvt_f16_f32_e32 v60, v59
	s_delay_alu instid0(VALU_DEP_3) | instskip(NEXT) | instid1(VALU_DEP_1)
	v_cvt_f16_f32_e32 v61, v58
	v_pack_b32_f16 v57, v60, v61
	v_sub_f32_e32 v60, v79, v73
	s_delay_alu instid0(VALU_DEP_1) | instskip(SKIP_1) | instid1(VALU_DEP_2)
	v_mul_f32_e32 v61, 0x3fb8aa3b, v60
	v_cmp_ngt_f32_e64 s7, 0xc2ce8ed0, v60
	v_fma_f32 v62, 0x3fb8aa3b, v60, -v61
	v_rndne_f32_e32 v63, v61
	s_delay_alu instid0(VALU_DEP_1) | instskip(NEXT) | instid1(VALU_DEP_1)
	v_dual_fmac_f32 v62, 0x32a5705f, v60 :: v_dual_sub_f32 v61, v61, v63
	v_add_f32_e32 v61, v61, v62
	v_cvt_i32_f32_e32 v62, v63
	s_delay_alu instid0(VALU_DEP_2) | instskip(SKIP_2) | instid1(VALU_DEP_1)
	v_exp_f32_e32 v61, v61
	s_waitcnt_depctr 0xfff
	v_ldexp_f32 v61, v61, v62
	v_cndmask_b32_e64 v61, 0, v61, s7
	v_cmp_nlt_f32_e64 s7, 0x42b17218, v60
	s_delay_alu instid0(VALU_DEP_1) | instskip(SKIP_4) | instid1(VALU_DEP_2)
	v_cndmask_b32_e64 v66, 0x7f800000, v61, s7
	ds_bpermute_b32 v60, v72, v66
	v_cndmask_b32_e64 v59, v59, v66, s5
	v_cndmask_b32_e64 v58, v58, v66, s6
	s_waitcnt lgkmcnt(0)
	v_cndmask_b32_e64 v59, v59, v60, s4
	s_delay_alu instid0(VALU_DEP_2) | instskip(NEXT) | instid1(VALU_DEP_2)
	v_cndmask_b32_e32 v60, v58, v60, vcc_lo
	v_cvt_f16_f32_e32 v58, v59
	s_delay_alu instid0(VALU_DEP_2) | instskip(NEXT) | instid1(VALU_DEP_1)
	v_cvt_f16_f32_e32 v61, v60
	v_pack_b32_f16 v58, v58, v61
	v_sub_f32_e32 v61, v78, v73
	s_delay_alu instid0(VALU_DEP_1) | instskip(SKIP_1) | instid1(VALU_DEP_2)
	v_mul_f32_e32 v62, 0x3fb8aa3b, v61
	v_cmp_ngt_f32_e64 s7, 0xc2ce8ed0, v61
	v_fma_f32 v63, 0x3fb8aa3b, v61, -v62
	v_rndne_f32_e32 v67, v62
	s_delay_alu instid0(VALU_DEP_1) | instskip(NEXT) | instid1(VALU_DEP_1)
	v_dual_fmac_f32 v63, 0x32a5705f, v61 :: v_dual_sub_f32 v62, v62, v67
	v_add_f32_e32 v62, v62, v63
	v_cvt_i32_f32_e32 v63, v67
	s_delay_alu instid0(VALU_DEP_2) | instskip(SKIP_2) | instid1(VALU_DEP_1)
	v_exp_f32_e32 v62, v62
	s_waitcnt_depctr 0xfff
	v_ldexp_f32 v62, v62, v63
	v_cndmask_b32_e64 v62, 0, v62, s7
	v_cmp_nlt_f32_e64 s7, 0x42b17218, v61
	s_delay_alu instid0(VALU_DEP_1) | instskip(SKIP_4) | instid1(VALU_DEP_2)
	v_cndmask_b32_e64 v67, 0x7f800000, v62, s7
	ds_bpermute_b32 v61, v72, v67
	v_cndmask_b32_e64 v59, v59, v67, s5
	v_cndmask_b32_e64 v60, v60, v67, s6
	s_waitcnt lgkmcnt(0)
	v_cndmask_b32_e64 v62, v59, v61, s4
	s_delay_alu instid0(VALU_DEP_2) | instskip(NEXT) | instid1(VALU_DEP_2)
	v_cndmask_b32_e32 v60, v60, v61, vcc_lo
	v_cvt_f16_f32_e32 v59, v62
	s_delay_alu instid0(VALU_DEP_2) | instskip(NEXT) | instid1(VALU_DEP_1)
	v_cvt_f16_f32_e32 v61, v60
	v_pack_b32_f16 v59, v59, v61
	v_sub_f32_e32 v61, v77, v73
	s_delay_alu instid0(VALU_DEP_1) | instskip(SKIP_1) | instid1(VALU_DEP_2)
	v_mul_f32_e32 v63, 0x3fb8aa3b, v61
	v_cmp_ngt_f32_e64 s7, 0xc2ce8ed0, v61
	v_fma_f32 v68, 0x3fb8aa3b, v61, -v63
	v_rndne_f32_e32 v69, v63
	s_delay_alu instid0(VALU_DEP_2) | instskip(NEXT) | instid1(VALU_DEP_2)
	v_fmac_f32_e32 v68, 0x32a5705f, v61
	v_sub_f32_e32 v63, v63, v69
	s_delay_alu instid0(VALU_DEP_1) | instskip(SKIP_1) | instid1(VALU_DEP_2)
	v_add_f32_e32 v63, v63, v68
	v_cvt_i32_f32_e32 v68, v69
	v_exp_f32_e32 v63, v63
	s_waitcnt_depctr 0xfff
	v_ldexp_f32 v63, v63, v68
	s_delay_alu instid0(VALU_DEP_1) | instskip(SKIP_1) | instid1(VALU_DEP_1)
	v_cndmask_b32_e64 v63, 0, v63, s7
	v_cmp_nlt_f32_e64 s7, 0x42b17218, v61
	v_cndmask_b32_e64 v68, 0x7f800000, v63, s7
	s_delay_alu instid0(VALU_DEP_1) | instskip(SKIP_4) | instid1(VALU_DEP_2)
	v_cndmask_b32_e64 v61, v62, v68, s5
	ds_bpermute_b32 v62, v72, v68
	v_cndmask_b32_e64 v60, v60, v68, s6
	s_waitcnt lgkmcnt(0)
	v_cndmask_b32_e64 v61, v61, v62, s4
	v_cndmask_b32_e32 v62, v60, v62, vcc_lo
	s_delay_alu instid0(VALU_DEP_2) | instskip(NEXT) | instid1(VALU_DEP_2)
	v_cvt_f16_f32_e32 v60, v61
	v_cvt_f16_f32_e32 v63, v62
	s_delay_alu instid0(VALU_DEP_1) | instskip(SKIP_1) | instid1(VALU_DEP_1)
	v_pack_b32_f16 v60, v60, v63
	v_sub_f32_e32 v63, v76, v73
	v_mul_f32_e32 v69, 0x3fb8aa3b, v63
	v_cmp_ngt_f32_e64 s7, 0xc2ce8ed0, v63
	s_delay_alu instid0(VALU_DEP_2) | instskip(SKIP_1) | instid1(VALU_DEP_2)
	v_fma_f32 v70, 0x3fb8aa3b, v63, -v69
	v_rndne_f32_e32 v71, v69
	v_fmac_f32_e32 v70, 0x32a5705f, v63
	s_delay_alu instid0(VALU_DEP_2) | instskip(NEXT) | instid1(VALU_DEP_1)
	v_sub_f32_e32 v69, v69, v71
	v_add_f32_e32 v69, v69, v70
	v_cvt_i32_f32_e32 v70, v71
	s_delay_alu instid0(VALU_DEP_2) | instskip(SKIP_2) | instid1(VALU_DEP_1)
	v_exp_f32_e32 v69, v69
	s_waitcnt_depctr 0xfff
	v_ldexp_f32 v69, v69, v70
	v_cndmask_b32_e64 v69, 0, v69, s7
	v_cmp_nlt_f32_e64 s7, 0x42b17218, v63
	s_delay_alu instid0(VALU_DEP_1) | instskip(SKIP_4) | instid1(VALU_DEP_2)
	v_cndmask_b32_e64 v69, 0x7f800000, v69, s7
	ds_bpermute_b32 v63, v72, v69
	v_cndmask_b32_e64 v61, v61, v69, s5
	v_cndmask_b32_e64 v62, v62, v69, s6
	s_waitcnt lgkmcnt(0)
	v_cndmask_b32_e64 v70, v61, v63, s4
	s_delay_alu instid0(VALU_DEP_2) | instskip(NEXT) | instid1(VALU_DEP_2)
	v_cndmask_b32_e32 v62, v62, v63, vcc_lo
	v_cvt_f16_f32_e32 v61, v70
	s_delay_alu instid0(VALU_DEP_2) | instskip(NEXT) | instid1(VALU_DEP_1)
	v_cvt_f16_f32_e32 v63, v62
	v_pack_b32_f16 v61, v61, v63
	v_sub_f32_e32 v63, v75, v73
	s_delay_alu instid0(VALU_DEP_1) | instskip(SKIP_1) | instid1(VALU_DEP_2)
	v_mul_f32_e32 v71, 0x3fb8aa3b, v63
	v_cmp_ngt_f32_e64 s7, 0xc2ce8ed0, v63
	v_fma_f32 v75, 0x3fb8aa3b, v63, -v71
	v_rndne_f32_e32 v76, v71
	s_delay_alu instid0(VALU_DEP_2) | instskip(NEXT) | instid1(VALU_DEP_2)
	v_fmac_f32_e32 v75, 0x32a5705f, v63
	v_sub_f32_e32 v71, v71, v76
	s_delay_alu instid0(VALU_DEP_1) | instskip(SKIP_1) | instid1(VALU_DEP_2)
	v_add_f32_e32 v71, v71, v75
	v_cvt_i32_f32_e32 v75, v76
	v_exp_f32_e32 v71, v71
	s_waitcnt_depctr 0xfff
	v_ldexp_f32 v71, v71, v75
	s_delay_alu instid0(VALU_DEP_1) | instskip(SKIP_1) | instid1(VALU_DEP_1)
	v_cndmask_b32_e64 v71, 0, v71, s7
	v_cmp_nlt_f32_e64 s7, 0x42b17218, v63
	v_cndmask_b32_e64 v71, 0x7f800000, v71, s7
	v_cmp_ngt_f32_e64 s7, 0xc2ce8ed0, v74
	s_delay_alu instid0(VALU_DEP_2) | instskip(SKIP_4) | instid1(VALU_DEP_2)
	v_cndmask_b32_e64 v63, v70, v71, s5
	ds_bpermute_b32 v70, v72, v71
	v_cndmask_b32_e64 v62, v62, v71, s6
	s_waitcnt lgkmcnt(0)
	v_cndmask_b32_e64 v63, v63, v70, s4
	v_cndmask_b32_e32 v70, v62, v70, vcc_lo
	s_delay_alu instid0(VALU_DEP_2) | instskip(NEXT) | instid1(VALU_DEP_2)
	v_cvt_f16_f32_e32 v62, v63
	v_cvt_f16_f32_e32 v75, v70
	s_delay_alu instid0(VALU_DEP_1) | instskip(SKIP_1) | instid1(VALU_DEP_1)
	v_pack_b32_f16 v62, v62, v75
	v_mul_f32_e32 v75, 0x3fb8aa3b, v74
	v_fma_f32 v76, 0x3fb8aa3b, v74, -v75
	v_rndne_f32_e32 v77, v75
	s_delay_alu instid0(VALU_DEP_1) | instskip(NEXT) | instid1(VALU_DEP_1)
	v_dual_fmac_f32 v76, 0x32a5705f, v74 :: v_dual_sub_f32 v75, v75, v77
	v_add_f32_e32 v75, v75, v76
	v_cvt_i32_f32_e32 v76, v77
	s_delay_alu instid0(VALU_DEP_2) | instskip(SKIP_2) | instid1(VALU_DEP_1)
	v_exp_f32_e32 v75, v75
	s_waitcnt_depctr 0xfff
	v_ldexp_f32 v75, v75, v76
	v_cndmask_b32_e64 v75, 0, v75, s7
	v_cmp_nlt_f32_e64 s7, 0x42b17218, v74
	s_delay_alu instid0(VALU_DEP_1) | instskip(SKIP_4) | instid1(VALU_DEP_1)
	v_cndmask_b32_e64 v74, 0x7f800000, v75, s7
	ds_bpermute_b32 v75, v72, v74
	v_cndmask_b32_e64 v70, v70, v74, s6
	v_cndmask_b32_e64 v63, v63, v74, s5
	s_waitcnt lgkmcnt(0)
	v_cndmask_b32_e64 v63, v63, v75, s4
	s_delay_alu instid0(VALU_DEP_3) | instskip(SKIP_1) | instid1(SALU_CYCLE_1)
	v_cndmask_b32_e32 v70, v70, v75, vcc_lo
	s_cselect_b32 s4, -1, 0
	s_and_b32 s5, s0, s4
	s_delay_alu instid0(VALU_DEP_2) | instskip(NEXT) | instid1(VALU_DEP_2)
	v_cvt_f16_f32_e32 v63, v63
	v_cvt_f16_f32_e32 v70, v70
	s_delay_alu instid0(VALU_DEP_1) | instskip(NEXT) | instid1(VALU_DEP_1)
	v_pack_b32_f16 v63, v63, v70
	v_wmma_f32_16x16x16_f16 v[48:55], v[223:230], v[56:63], v[48:55]
	v_wmma_f32_16x16x16_f16 v[40:47], v[114:121], v[56:63], v[40:47]
	;; [unrolled: 1-line block ×7, first 2 shown]
	v_add_f32_e32 v56, v83, v84
	s_delay_alu instid0(VALU_DEP_1) | instskip(NEXT) | instid1(VALU_DEP_1)
	v_add_f32_e32 v56, v85, v56
	v_add_f32_e32 v56, v86, v56
	s_delay_alu instid0(VALU_DEP_1) | instskip(NEXT) | instid1(VALU_DEP_1)
	v_add_f32_e32 v56, v87, v56
	;; [unrolled: 3-line block ×7, first 2 shown]
	v_add_f32_e32 v56, v74, v56
	s_delay_alu instid0(VALU_DEP_1)
	v_fmac_f32_e32 v56, v142, v82
	ds_bpermute_b32 v57, v72, v56
	s_waitcnt lgkmcnt(0)
	v_add_f32_e32 v56, v56, v57
	s_and_saveexec_b32 s4, s5
	s_cbranch_execz .LBB19_287
; %bb.286:                              ;   in Loop: Header=BB19_12 Depth=1
	scratch_load_b32 v57, off, off offset:536 ; 4-byte Folded Reload
	v_max_f32_e32 v58, v73, v73
	s_waitcnt vmcnt(0)
	v_lshlrev_b32_e32 v57, 2, v57
	global_load_b32 v57, v57, s[82:83]
	s_waitcnt vmcnt(0)
	v_max_f32_e32 v59, v57, v57
	s_delay_alu instid0(VALU_DEP_1) | instskip(NEXT) | instid1(VALU_DEP_1)
	v_max_f32_e32 v58, v58, v59
	v_sub_f32_e32 v59, v73, v58
	v_sub_f32_e32 v57, v57, v58
	s_delay_alu instid0(VALU_DEP_2) | instskip(NEXT) | instid1(VALU_DEP_1)
	v_dual_mov_b32 v73, v58 :: v_dual_mul_f32 v60, 0x3fb8aa3b, v59
	v_fma_f32 v61, 0x3fb8aa3b, v59, -v60
	v_rndne_f32_e32 v62, v60
	s_delay_alu instid0(VALU_DEP_1) | instskip(SKIP_1) | instid1(VALU_DEP_2)
	v_dual_fmac_f32 v61, 0x32a5705f, v59 :: v_dual_sub_f32 v60, v60, v62
	v_cvt_i32_f32_e32 v62, v62
	v_add_f32_e32 v60, v60, v61
	v_cmp_ngt_f32_e32 vcc_lo, 0xc2ce8ed0, v59
	s_delay_alu instid0(VALU_DEP_2) | instskip(SKIP_2) | instid1(VALU_DEP_1)
	v_exp_f32_e32 v60, v60
	s_waitcnt_depctr 0xfff
	v_ldexp_f32 v60, v60, v62
	v_dual_mul_f32 v63, 0x3fb8aa3b, v57 :: v_dual_cndmask_b32 v60, 0, v60
	s_delay_alu instid0(VALU_DEP_1) | instskip(SKIP_2) | instid1(VALU_DEP_2)
	v_fma_f32 v64, 0x3fb8aa3b, v57, -v63
	v_rndne_f32_e32 v65, v63
	v_cmp_nlt_f32_e32 vcc_lo, 0x42b17218, v59
	v_dual_sub_f32 v61, v63, v65 :: v_dual_cndmask_b32 v60, 0x7f800000, v60
	s_delay_alu instid0(VALU_DEP_4) | instskip(SKIP_2) | instid1(VALU_DEP_3)
	v_fmac_f32_e32 v64, 0x32a5705f, v57
	v_cvt_i32_f32_e32 v62, v65
	v_cmp_ngt_f32_e32 vcc_lo, 0xc2ce8ed0, v57
	v_add_f32_e32 v61, v61, v64
	s_delay_alu instid0(VALU_DEP_1) | instskip(SKIP_2) | instid1(VALU_DEP_1)
	v_exp_f32_e32 v61, v61
	s_waitcnt_depctr 0xfff
	v_ldexp_f32 v61, v61, v62
	v_cndmask_b32_e32 v61, 0, v61, vcc_lo
	v_cmp_le_f32_e32 vcc_lo, 0xc1a00000, v59
	v_cndmask_b32_e32 v59, 0, v60, vcc_lo
	v_cmp_nlt_f32_e32 vcc_lo, 0x42b17218, v57
	s_delay_alu instid0(VALU_DEP_2)
	v_dual_mul_f32 v50, v50, v59 :: v_dual_cndmask_b32 v57, 0x7f800000, v61
	v_mul_f32_e32 v52, v52, v59
	v_mul_f32_e32 v48, v48, v59
	;; [unrolled: 1-line block ×4, first 2 shown]
	v_fmac_f32_e32 v57, v56, v59
	v_mul_f32_e32 v51, v51, v59
	v_mul_f32_e32 v54, v54, v59
	;; [unrolled: 1-line block ×50, first 2 shown]
	v_dual_mul_f32 v7, v7, v59 :: v_dual_mov_b32 v56, v57
.LBB19_287:                             ;   in Loop: Header=BB19_12 Depth=1
	s_or_b32 exec_lo, exec_lo, s4
	s_delay_alu instid0(SALU_CYCLE_1)
	s_mov_b32 s4, exec_lo
	s_clause 0x1
	scratch_load_b64 v[63:64], off, off offset:428
	scratch_load_b64 v[64:65], off, off offset:440
	v_mov_b32_e32 v116, v231
	v_mov_b32_e32 v238, v219
	s_and_b32 s5, s4, s2
	s_delay_alu instid0(SALU_CYCLE_1)
	s_mov_b32 exec_lo, s5
	s_cbranch_execz .LBB19_289
; %bb.288:                              ;   in Loop: Header=BB19_12 Depth=1
	scratch_load_b32 v57, off, off offset:524 ; 4-byte Folded Reload
	s_waitcnt vmcnt(0)
	v_add_nc_u32_e32 v57, 0, v57
	ds_store_2addr_b32 v57, v73, v56 offset0:56 offset1:57
.LBB19_289:                             ;   in Loop: Header=BB19_12 Depth=1
	s_or_b32 exec_lo, exec_lo, s4
	s_waitcnt vmcnt(0) lgkmcnt(0)
	s_barrier
	buffer_gl0_inv
	s_mov_b32 s4, exec_lo
	s_clause 0x9
	scratch_load_b64 v[170:171], off, off offset:172
	scratch_load_b64 v[172:173], off, off offset:180
	;; [unrolled: 1-line block ×7, first 2 shown]
	scratch_load_b32 v204, off, off offset:12
	scratch_load_b32 v228, off, off offset:16
	;; [unrolled: 1-line block ×3, first 2 shown]
	v_dual_mov_b32 v174, 0 :: v_dual_mov_b32 v227, v232
	v_add_nc_u32_e32 v200, 0x1e00, v249
	s_and_b32 s5, s4, s1
	s_delay_alu instid0(SALU_CYCLE_1)
	s_xor_b32 s4, s5, s4
	s_mov_b32 exec_lo, s5
	s_cbranch_execz .LBB19_291
; %bb.290:                              ;   in Loop: Header=BB19_12 Depth=1
	s_waitcnt vmcnt(0)
	s_barrier
	buffer_gl0_inv
                                        ; implicit-def: $vgpr72
.LBB19_291:                             ;   in Loop: Header=BB19_12 Depth=1
	s_and_not1_saveexec_b32 s4, s4
	s_cbranch_execz .LBB19_293
; %bb.292:                              ;   in Loop: Header=BB19_12 Depth=1
	scratch_load_b32 v56, off, off offset:528 ; 4-byte Folded Reload
	s_waitcnt vmcnt(0)
	v_add_nc_u32_e32 v60, 0, v56
	ds_load_b64 v[56:57], v60 offset:224
	s_waitcnt lgkmcnt(0)
	s_barrier
	buffer_gl0_inv
	ds_bpermute_b32 v58, v72, v56
	s_waitcnt lgkmcnt(0)
	v_dual_max_f32 v59, v56, v56 :: v_dual_max_f32 v58, v58, v58
	s_delay_alu instid0(VALU_DEP_1) | instskip(NEXT) | instid1(VALU_DEP_1)
	v_max_f32_e32 v58, v59, v58
	v_sub_f32_e32 v56, v56, v58
	s_delay_alu instid0(VALU_DEP_1) | instskip(SKIP_1) | instid1(VALU_DEP_2)
	v_mul_f32_e32 v58, 0x3fb8aa3b, v56
	v_cmp_ngt_f32_e32 vcc_lo, 0xc2ce8ed0, v56
	v_fma_f32 v59, 0x3fb8aa3b, v56, -v58
	v_rndne_f32_e32 v61, v58
	s_delay_alu instid0(VALU_DEP_1) | instskip(NEXT) | instid1(VALU_DEP_1)
	v_dual_fmac_f32 v59, 0x32a5705f, v56 :: v_dual_sub_f32 v58, v58, v61
	v_add_f32_e32 v58, v58, v59
	v_cvt_i32_f32_e32 v59, v61
	s_delay_alu instid0(VALU_DEP_2) | instskip(SKIP_2) | instid1(VALU_DEP_1)
	v_exp_f32_e32 v58, v58
	s_waitcnt_depctr 0xfff
	v_ldexp_f32 v58, v58, v59
	v_cndmask_b32_e32 v58, 0, v58, vcc_lo
	v_cmp_nlt_f32_e32 vcc_lo, 0x42b17218, v56
	s_delay_alu instid0(VALU_DEP_2) | instskip(NEXT) | instid1(VALU_DEP_1)
	v_cndmask_b32_e32 v58, 0x7f800000, v58, vcc_lo
	v_mul_f32_e32 v56, v57, v58
	ds_bpermute_b32 v59, v72, v56
	s_waitcnt lgkmcnt(0)
	v_fmac_f32_e32 v59, v57, v58
	ds_store_b64 v60, v[58:59] offset:224
.LBB19_293:                             ;   in Loop: Header=BB19_12 Depth=1
	s_or_b32 exec_lo, exec_lo, s4
	v_cvt_f16_f32_e32 v48, v48
	v_cvt_f16_f32_e32 v40, v40
	;; [unrolled: 1-line block ×38, first 2 shown]
	ds_store_b16 v245, v48
	ds_store_b16 v245, v49 offset:4
	ds_store_b16 v245, v50 offset:8
	ds_store_b16 v245, v51 offset:12
	ds_store_b16 v245, v52 offset:16
	ds_store_b16 v245, v53 offset:20
	ds_store_b16 v245, v54 offset:24
	ds_store_b16 v245, v55 offset:28
	v_cvt_f16_f32_e32 v45, v45
	v_cvt_f16_f32_e32 v46, v46
	v_cvt_f16_f32_e32 v47, v47
	ds_store_b16 v245, v40 offset:32
	ds_store_b16 v245, v41 offset:36
	ds_store_b16 v245, v42 offset:40
	ds_store_b16 v245, v43 offset:44
	ds_store_b16 v245, v44 offset:48
	ds_store_b16 v245, v45 offset:52
	ds_store_b16 v245, v46 offset:56
	ds_store_b16 v245, v47 offset:60
	v_cvt_f16_f32_e32 v37, v37
	v_cvt_f16_f32_e32 v38, v38
	v_cvt_f16_f32_e32 v39, v39
	ds_store_b16 v245, v32 offset:64
	;; [unrolled: 11-line block ×6, first 2 shown]
	ds_store_b16 v245, v1 offset:196
	ds_store_b16 v245, v2 offset:200
	;; [unrolled: 1-line block ×7, first 2 shown]
	s_waitcnt vmcnt(0) lgkmcnt(0)
	s_barrier
	buffer_gl0_inv
	s_and_saveexec_b32 s7, s0
	s_cbranch_execz .LBB19_10
; %bb.294:                              ;   in Loop: Header=BB19_12 Depth=1
	s_clause 0x1
	scratch_load_b32 v0, off, off offset:544
	scratch_load_b64 v[1:2], off, off offset:460
	s_waitcnt vmcnt(1)
	v_add_nc_u32_e32 v0, s33, v0
	s_waitcnt vmcnt(0)
	v_or_b32_e32 v1, s103, v1
	s_delay_alu instid0(VALU_DEP_1) | instskip(SKIP_2) | instid1(VALU_DEP_3)
	v_cmp_gt_i32_e64 s4, s84, v1
	v_mov_b32_e32 v1, 0x47
	v_cmp_gt_i32_e32 vcc_lo, s28, v0
	s_and_b32 s5, vcc_lo, s4
	s_delay_alu instid0(SALU_CYCLE_1)
	s_and_saveexec_b32 s6, s5
	s_cbranch_execz .LBB19_296
; %bb.295:                              ;   in Loop: Header=BB19_12 Depth=1
	scratch_load_b32 v1, off, off offset:592 ; 4-byte Folded Reload
	s_waitcnt vmcnt(0)
	v_add_nc_u32_e32 v5, 0, v1
	scratch_load_b32 v1, off, off offset:596 ; 4-byte Folded Reload
	s_waitcnt vmcnt(0)
	ds_load_2addr_stride64_b32 v[1:2], v1 offset1:15
	ds_load_2addr_b32 v[3:4], v5 offset0:56 offset1:57
	ds_load_b32 v5, v5 offset:4064
	s_clause 0x1
	scratch_load_b64 v[13:14], off, off offset:460
	scratch_load_b64 v[16:17], off, off offset:468
	s_waitcnt lgkmcnt(1)
	v_fma_mix_f32 v6, v3, v1, 0 op_sel_hi:[0,1,0]
	v_fma_mix_f32 v1, v3, v1, 0 op_sel:[0,1,0] op_sel_hi:[0,1,0]
	s_waitcnt lgkmcnt(0)
	s_delay_alu instid0(VALU_DEP_2) | instskip(NEXT) | instid1(VALU_DEP_2)
	v_fma_mix_f32 v6, v5, v2, v6 op_sel_hi:[0,1,0]
	v_fma_mix_f32 v5, v5, v2, v1 op_sel:[0,1,0] op_sel_hi:[0,1,0]
	s_delay_alu instid0(VALU_DEP_2) | instskip(NEXT) | instid1(VALU_DEP_2)
	v_div_scale_f32 v7, null, v4, v4, v6
	v_div_scale_f32 v8, null, v4, v4, v5
	v_div_scale_f32 v11, vcc_lo, v6, v4, v6
	s_delay_alu instid0(VALU_DEP_3) | instskip(NEXT) | instid1(VALU_DEP_2)
	v_rcp_f32_e32 v9, v7
	v_rcp_f32_e32 v10, v8
	v_div_scale_f32 v12, s5, v5, v4, v5
	s_waitcnt_depctr 0xfff
	v_fma_f32 v1, -v7, v9, 1.0
	v_fma_f32 v2, -v8, v10, 1.0
	s_delay_alu instid0(VALU_DEP_1) | instskip(SKIP_2) | instid1(VALU_DEP_2)
	v_dual_fmac_f32 v9, v1, v9 :: v_dual_fmac_f32 v10, v2, v10
	s_waitcnt vmcnt(1)
	v_mad_u64_u32 v[1:2], null, v0, s29, v[13:14]
	v_dual_mul_f32 v0, v11, v9 :: v_dual_mul_f32 v13, v12, v10
	s_delay_alu instid0(VALU_DEP_1) | instskip(NEXT) | instid1(VALU_DEP_2)
	v_fma_f32 v14, -v7, v0, v11
	v_fma_f32 v15, -v8, v13, v12
	s_waitcnt vmcnt(0)
	s_delay_alu instid0(VALU_DEP_4) | instskip(NEXT) | instid1(VALU_DEP_2)
	v_mad_u64_u32 v[2:3], null, v1, 56, v[16:17]
	v_dual_fmac_f32 v0, v14, v9 :: v_dual_fmac_f32 v13, v15, v10
	s_delay_alu instid0(VALU_DEP_1) | instskip(NEXT) | instid1(VALU_DEP_3)
	v_fma_f32 v1, -v7, v0, v11
	v_ashrrev_i32_e32 v3, 31, v2
	s_delay_alu instid0(VALU_DEP_3) | instskip(NEXT) | instid1(VALU_DEP_3)
	v_fma_f32 v7, -v8, v13, v12
	v_div_fmas_f32 v8, v1, v9, v0
	s_mov_b32 vcc_lo, s5
	s_delay_alu instid0(VALU_DEP_3) | instskip(NEXT) | instid1(VALU_DEP_3)
	v_lshlrev_b64 v[0:1], 3, v[2:3]
	v_div_fmas_f32 v7, v7, v10, v13
	s_delay_alu instid0(VALU_DEP_3) | instskip(NEXT) | instid1(VALU_DEP_2)
	v_div_fixup_f32 v2, v8, v4, v6
	v_div_fixup_f32 v3, v7, v4, v5
	s_delay_alu instid0(VALU_DEP_4)
	v_add_co_u32 v4, vcc_lo, s59, v0
	v_add_co_ci_u32_e32 v5, vcc_lo, s77, v1, vcc_lo
	v_mov_b32_e32 v1, 0
	global_store_b64 v[4:5], v[2:3], off
.LBB19_296:                             ;   in Loop: Header=BB19_12 Depth=1
	s_or_b32 exec_lo, exec_lo, s6
	s_mov_b32 s5, -1
	s_mov_b32 s6, exec_lo
	v_cmpx_gt_i32_e32 0x47, v1
; %bb.297:                              ;   in Loop: Header=BB19_12 Depth=1
	v_cmp_eq_u32_e32 vcc_lo, 0, v1
	s_or_not1_b32 s5, vcc_lo, exec_lo
; %bb.298:                              ;   in Loop: Header=BB19_12 Depth=1
	s_or_b32 exec_lo, exec_lo, s6
	s_and_saveexec_b32 s6, s5
	s_cbranch_execz .LBB19_371
; %bb.299:                              ;   in Loop: Header=BB19_12 Depth=1
	s_clause 0x1
	scratch_load_b32 v0, off, off offset:624
	scratch_load_b64 v[1:2], off, off offset:560
	s_waitcnt vmcnt(1)
	v_add_nc_u32_e32 v0, s33, v0
	s_waitcnt vmcnt(0)
	v_or_b32_e32 v1, s103, v1
	s_delay_alu instid0(VALU_DEP_1) | instskip(SKIP_2) | instid1(VALU_DEP_3)
	v_cmp_gt_i32_e64 s5, s84, v1
	v_mov_b32_e32 v1, 0x47
	v_cmp_gt_i32_e32 vcc_lo, s28, v0
	s_and_b32 s5, vcc_lo, s5
	s_delay_alu instid0(SALU_CYCLE_1)
	s_and_saveexec_b32 s8, s5
	s_cbranch_execz .LBB19_301
; %bb.300:                              ;   in Loop: Header=BB19_12 Depth=1
	scratch_load_b32 v1, off, off offset:756 ; 4-byte Folded Reload
	s_waitcnt vmcnt(0)
	v_add_nc_u32_e32 v5, 0, v1
	scratch_load_b32 v1, off, off offset:760 ; 4-byte Folded Reload
	s_waitcnt vmcnt(0)
	ds_load_2addr_stride64_b32 v[1:2], v1 offset1:15
	ds_load_2addr_b32 v[3:4], v5 offset0:56 offset1:57
	ds_load_b32 v5, v5 offset:4064
	s_clause 0x1
	scratch_load_b64 v[13:14], off, off offset:560
	scratch_load_b64 v[16:17], off, off offset:468
	s_waitcnt lgkmcnt(1)
	v_fma_mix_f32 v6, v3, v1, 0 op_sel_hi:[0,1,0]
	v_fma_mix_f32 v1, v3, v1, 0 op_sel:[0,1,0] op_sel_hi:[0,1,0]
	s_waitcnt lgkmcnt(0)
	s_delay_alu instid0(VALU_DEP_2) | instskip(NEXT) | instid1(VALU_DEP_2)
	v_fma_mix_f32 v6, v5, v2, v6 op_sel_hi:[0,1,0]
	v_fma_mix_f32 v5, v5, v2, v1 op_sel:[0,1,0] op_sel_hi:[0,1,0]
	s_delay_alu instid0(VALU_DEP_2) | instskip(NEXT) | instid1(VALU_DEP_2)
	v_div_scale_f32 v7, null, v4, v4, v6
	v_div_scale_f32 v8, null, v4, v4, v5
	v_div_scale_f32 v11, vcc_lo, v6, v4, v6
	s_delay_alu instid0(VALU_DEP_3) | instskip(NEXT) | instid1(VALU_DEP_2)
	v_rcp_f32_e32 v9, v7
	v_rcp_f32_e32 v10, v8
	v_div_scale_f32 v12, s5, v5, v4, v5
	s_waitcnt_depctr 0xfff
	v_fma_f32 v1, -v7, v9, 1.0
	v_fma_f32 v2, -v8, v10, 1.0
	s_delay_alu instid0(VALU_DEP_1) | instskip(SKIP_2) | instid1(VALU_DEP_2)
	v_dual_fmac_f32 v9, v1, v9 :: v_dual_fmac_f32 v10, v2, v10
	s_waitcnt vmcnt(1)
	v_mad_u64_u32 v[1:2], null, v0, s29, v[13:14]
	v_dual_mul_f32 v0, v11, v9 :: v_dual_mul_f32 v13, v12, v10
	s_delay_alu instid0(VALU_DEP_1) | instskip(NEXT) | instid1(VALU_DEP_2)
	v_fma_f32 v14, -v7, v0, v11
	v_fma_f32 v15, -v8, v13, v12
	s_waitcnt vmcnt(0)
	s_delay_alu instid0(VALU_DEP_4) | instskip(NEXT) | instid1(VALU_DEP_2)
	v_mad_u64_u32 v[2:3], null, v1, 56, v[16:17]
	v_dual_fmac_f32 v0, v14, v9 :: v_dual_fmac_f32 v13, v15, v10
	s_delay_alu instid0(VALU_DEP_1) | instskip(NEXT) | instid1(VALU_DEP_3)
	v_fma_f32 v1, -v7, v0, v11
	v_ashrrev_i32_e32 v3, 31, v2
	s_delay_alu instid0(VALU_DEP_3) | instskip(NEXT) | instid1(VALU_DEP_3)
	v_fma_f32 v7, -v8, v13, v12
	v_div_fmas_f32 v8, v1, v9, v0
	s_mov_b32 vcc_lo, s5
	s_delay_alu instid0(VALU_DEP_3) | instskip(NEXT) | instid1(VALU_DEP_3)
	v_lshlrev_b64 v[0:1], 3, v[2:3]
	v_div_fmas_f32 v7, v7, v10, v13
	s_delay_alu instid0(VALU_DEP_3) | instskip(NEXT) | instid1(VALU_DEP_2)
	v_div_fixup_f32 v2, v8, v4, v6
	v_div_fixup_f32 v3, v7, v4, v5
	s_delay_alu instid0(VALU_DEP_4)
	v_add_co_u32 v4, vcc_lo, s59, v0
	v_add_co_ci_u32_e32 v5, vcc_lo, s77, v1, vcc_lo
	v_mov_b32_e32 v1, 0
	global_store_b64 v[4:5], v[2:3], off
.LBB19_301:                             ;   in Loop: Header=BB19_12 Depth=1
	s_or_b32 exec_lo, exec_lo, s8
	s_mov_b32 s5, -1
	s_mov_b32 s8, exec_lo
	v_cmpx_gt_i32_e32 0x47, v1
; %bb.302:                              ;   in Loop: Header=BB19_12 Depth=1
	v_cmp_eq_u32_e32 vcc_lo, 0, v1
	s_or_not1_b32 s5, vcc_lo, exec_lo
; %bb.303:                              ;   in Loop: Header=BB19_12 Depth=1
	s_or_b32 exec_lo, exec_lo, s8
	s_delay_alu instid0(SALU_CYCLE_1)
	s_and_b32 exec_lo, exec_lo, s5
	s_cbranch_execz .LBB19_371
; %bb.304:                              ;   in Loop: Header=BB19_12 Depth=1
	scratch_load_b32 v0, off, off offset:764 ; 4-byte Folded Reload
	s_waitcnt vmcnt(0)
	v_dual_mov_b32 v1, 0x47 :: v_dual_add_nc_u32 v0, s33, v0
	s_delay_alu instid0(VALU_DEP_1) | instskip(SKIP_1) | instid1(SALU_CYCLE_1)
	v_cmp_gt_i32_e32 vcc_lo, s28, v0
	s_and_b32 s5, vcc_lo, s4
	s_and_saveexec_b32 s8, s5
	s_cbranch_execz .LBB19_306
; %bb.305:                              ;   in Loop: Header=BB19_12 Depth=1
	scratch_load_b32 v1, off, off offset:800 ; 4-byte Folded Reload
	s_waitcnt vmcnt(0)
	v_add_nc_u32_e32 v5, 0, v1
	scratch_load_b32 v1, off, off offset:804 ; 4-byte Folded Reload
	s_waitcnt vmcnt(0)
	ds_load_2addr_stride64_b32 v[1:2], v1 offset1:15
	ds_load_2addr_b32 v[3:4], v5 offset0:56 offset1:57
	ds_load_b32 v5, v5 offset:4064
	s_clause 0x1
	scratch_load_b64 v[13:14], off, off offset:460
	scratch_load_b64 v[16:17], off, off offset:468
	s_waitcnt lgkmcnt(1)
	v_fma_mix_f32 v6, v3, v1, 0 op_sel_hi:[0,1,0]
	v_fma_mix_f32 v1, v3, v1, 0 op_sel:[0,1,0] op_sel_hi:[0,1,0]
	s_waitcnt lgkmcnt(0)
	s_delay_alu instid0(VALU_DEP_2) | instskip(NEXT) | instid1(VALU_DEP_2)
	v_fma_mix_f32 v6, v5, v2, v6 op_sel_hi:[0,1,0]
	v_fma_mix_f32 v5, v5, v2, v1 op_sel:[0,1,0] op_sel_hi:[0,1,0]
	s_delay_alu instid0(VALU_DEP_2) | instskip(NEXT) | instid1(VALU_DEP_2)
	v_div_scale_f32 v7, null, v4, v4, v6
	v_div_scale_f32 v8, null, v4, v4, v5
	v_div_scale_f32 v11, vcc_lo, v6, v4, v6
	s_delay_alu instid0(VALU_DEP_3) | instskip(NEXT) | instid1(VALU_DEP_2)
	v_rcp_f32_e32 v9, v7
	v_rcp_f32_e32 v10, v8
	v_div_scale_f32 v12, s5, v5, v4, v5
	s_waitcnt_depctr 0xfff
	v_fma_f32 v1, -v7, v9, 1.0
	v_fma_f32 v2, -v8, v10, 1.0
	s_delay_alu instid0(VALU_DEP_1) | instskip(SKIP_2) | instid1(VALU_DEP_2)
	v_dual_fmac_f32 v9, v1, v9 :: v_dual_fmac_f32 v10, v2, v10
	s_waitcnt vmcnt(1)
	v_mad_u64_u32 v[1:2], null, v0, s29, v[13:14]
	v_dual_mul_f32 v0, v11, v9 :: v_dual_mul_f32 v13, v12, v10
	s_delay_alu instid0(VALU_DEP_1) | instskip(NEXT) | instid1(VALU_DEP_2)
	v_fma_f32 v14, -v7, v0, v11
	v_fma_f32 v15, -v8, v13, v12
	s_waitcnt vmcnt(0)
	s_delay_alu instid0(VALU_DEP_4) | instskip(NEXT) | instid1(VALU_DEP_2)
	v_mad_u64_u32 v[2:3], null, v1, 56, v[16:17]
	v_dual_fmac_f32 v0, v14, v9 :: v_dual_fmac_f32 v13, v15, v10
	s_delay_alu instid0(VALU_DEP_1) | instskip(NEXT) | instid1(VALU_DEP_3)
	v_fma_f32 v1, -v7, v0, v11
	v_ashrrev_i32_e32 v3, 31, v2
	s_delay_alu instid0(VALU_DEP_3) | instskip(NEXT) | instid1(VALU_DEP_3)
	v_fma_f32 v7, -v8, v13, v12
	v_div_fmas_f32 v8, v1, v9, v0
	s_mov_b32 vcc_lo, s5
	s_delay_alu instid0(VALU_DEP_3) | instskip(NEXT) | instid1(VALU_DEP_3)
	v_lshlrev_b64 v[0:1], 3, v[2:3]
	v_div_fmas_f32 v7, v7, v10, v13
	s_delay_alu instid0(VALU_DEP_3) | instskip(NEXT) | instid1(VALU_DEP_2)
	v_div_fixup_f32 v2, v8, v4, v6
	v_div_fixup_f32 v3, v7, v4, v5
	s_delay_alu instid0(VALU_DEP_4)
	v_add_co_u32 v4, vcc_lo, s59, v0
	v_add_co_ci_u32_e32 v5, vcc_lo, s77, v1, vcc_lo
	v_mov_b32_e32 v1, 0
	global_store_b64 v[4:5], v[2:3], off
.LBB19_306:                             ;   in Loop: Header=BB19_12 Depth=1
	s_or_b32 exec_lo, exec_lo, s8
	s_mov_b32 s5, -1
	s_mov_b32 s8, exec_lo
	v_cmpx_gt_i32_e32 0x47, v1
; %bb.307:                              ;   in Loop: Header=BB19_12 Depth=1
	v_cmp_eq_u32_e32 vcc_lo, 0, v1
	s_or_not1_b32 s5, vcc_lo, exec_lo
; %bb.308:                              ;   in Loop: Header=BB19_12 Depth=1
	s_or_b32 exec_lo, exec_lo, s8
	s_delay_alu instid0(SALU_CYCLE_1)
	s_and_b32 exec_lo, exec_lo, s5
	s_cbranch_execz .LBB19_371
; %bb.309:                              ;   in Loop: Header=BB19_12 Depth=1
	s_clause 0x1
	scratch_load_b32 v0, off, off offset:832
	scratch_load_b64 v[1:2], off, off offset:792
	s_waitcnt vmcnt(1)
	v_add_nc_u32_e32 v0, s33, v0
	s_waitcnt vmcnt(0)
	v_or_b32_e32 v1, s103, v1
	s_delay_alu instid0(VALU_DEP_1) | instskip(SKIP_2) | instid1(VALU_DEP_3)
	v_cmp_gt_i32_e64 s5, s84, v1
	v_mov_b32_e32 v1, 0x47
	v_cmp_gt_i32_e32 vcc_lo, s28, v0
	s_and_b32 s5, vcc_lo, s5
	s_delay_alu instid0(SALU_CYCLE_1)
	s_and_saveexec_b32 s8, s5
	s_cbranch_execz .LBB19_311
; %bb.310:                              ;   in Loop: Header=BB19_12 Depth=1
	scratch_load_b32 v1, off, off offset:844 ; 4-byte Folded Reload
	s_waitcnt vmcnt(0)
	v_add_nc_u32_e32 v5, 0, v1
	scratch_load_b32 v1, off, off offset:848 ; 4-byte Folded Reload
	s_waitcnt vmcnt(0)
	ds_load_2addr_stride64_b32 v[1:2], v1 offset1:15
	ds_load_2addr_b32 v[3:4], v5 offset0:56 offset1:57
	ds_load_b32 v5, v5 offset:4064
	s_clause 0x1
	scratch_load_b64 v[13:14], off, off offset:792
	scratch_load_b64 v[16:17], off, off offset:468
	s_waitcnt lgkmcnt(1)
	v_fma_mix_f32 v6, v3, v1, 0 op_sel_hi:[0,1,0]
	v_fma_mix_f32 v1, v3, v1, 0 op_sel:[0,1,0] op_sel_hi:[0,1,0]
	s_waitcnt lgkmcnt(0)
	s_delay_alu instid0(VALU_DEP_2) | instskip(NEXT) | instid1(VALU_DEP_2)
	v_fma_mix_f32 v6, v5, v2, v6 op_sel_hi:[0,1,0]
	v_fma_mix_f32 v5, v5, v2, v1 op_sel:[0,1,0] op_sel_hi:[0,1,0]
	s_delay_alu instid0(VALU_DEP_2) | instskip(NEXT) | instid1(VALU_DEP_2)
	v_div_scale_f32 v7, null, v4, v4, v6
	v_div_scale_f32 v8, null, v4, v4, v5
	v_div_scale_f32 v11, vcc_lo, v6, v4, v6
	s_delay_alu instid0(VALU_DEP_3) | instskip(NEXT) | instid1(VALU_DEP_2)
	v_rcp_f32_e32 v9, v7
	v_rcp_f32_e32 v10, v8
	v_div_scale_f32 v12, s5, v5, v4, v5
	s_waitcnt_depctr 0xfff
	v_fma_f32 v1, -v7, v9, 1.0
	v_fma_f32 v2, -v8, v10, 1.0
	s_delay_alu instid0(VALU_DEP_1) | instskip(SKIP_2) | instid1(VALU_DEP_2)
	v_dual_fmac_f32 v9, v1, v9 :: v_dual_fmac_f32 v10, v2, v10
	s_waitcnt vmcnt(1)
	v_mad_u64_u32 v[1:2], null, v0, s29, v[13:14]
	v_dual_mul_f32 v0, v11, v9 :: v_dual_mul_f32 v13, v12, v10
	s_delay_alu instid0(VALU_DEP_1) | instskip(NEXT) | instid1(VALU_DEP_2)
	v_fma_f32 v14, -v7, v0, v11
	v_fma_f32 v15, -v8, v13, v12
	s_waitcnt vmcnt(0)
	s_delay_alu instid0(VALU_DEP_4) | instskip(NEXT) | instid1(VALU_DEP_2)
	v_mad_u64_u32 v[2:3], null, v1, 56, v[16:17]
	v_dual_fmac_f32 v0, v14, v9 :: v_dual_fmac_f32 v13, v15, v10
	s_delay_alu instid0(VALU_DEP_1) | instskip(NEXT) | instid1(VALU_DEP_3)
	v_fma_f32 v1, -v7, v0, v11
	v_ashrrev_i32_e32 v3, 31, v2
	s_delay_alu instid0(VALU_DEP_3) | instskip(NEXT) | instid1(VALU_DEP_3)
	v_fma_f32 v7, -v8, v13, v12
	v_div_fmas_f32 v8, v1, v9, v0
	s_mov_b32 vcc_lo, s5
	s_delay_alu instid0(VALU_DEP_3) | instskip(NEXT) | instid1(VALU_DEP_3)
	v_lshlrev_b64 v[0:1], 3, v[2:3]
	v_div_fmas_f32 v7, v7, v10, v13
	s_delay_alu instid0(VALU_DEP_3) | instskip(NEXT) | instid1(VALU_DEP_2)
	v_div_fixup_f32 v2, v8, v4, v6
	v_div_fixup_f32 v3, v7, v4, v5
	s_delay_alu instid0(VALU_DEP_4)
	v_add_co_u32 v4, vcc_lo, s59, v0
	v_add_co_ci_u32_e32 v5, vcc_lo, s77, v1, vcc_lo
	v_mov_b32_e32 v1, 0
	global_store_b64 v[4:5], v[2:3], off
.LBB19_311:                             ;   in Loop: Header=BB19_12 Depth=1
	s_or_b32 exec_lo, exec_lo, s8
	s_mov_b32 s5, -1
	s_mov_b32 s8, exec_lo
	v_cmpx_gt_i32_e32 0x47, v1
; %bb.312:                              ;   in Loop: Header=BB19_12 Depth=1
	v_cmp_eq_u32_e32 vcc_lo, 0, v1
	s_or_not1_b32 s5, vcc_lo, exec_lo
; %bb.313:                              ;   in Loop: Header=BB19_12 Depth=1
	s_or_b32 exec_lo, exec_lo, s8
	s_delay_alu instid0(SALU_CYCLE_1)
	s_and_b32 exec_lo, exec_lo, s5
	s_cbranch_execz .LBB19_371
; %bb.314:                              ;   in Loop: Header=BB19_12 Depth=1
	scratch_load_b32 v0, off, off offset:852 ; 4-byte Folded Reload
	s_waitcnt vmcnt(0)
	v_dual_mov_b32 v1, 0x47 :: v_dual_add_nc_u32 v0, s33, v0
	s_delay_alu instid0(VALU_DEP_1) | instskip(SKIP_1) | instid1(SALU_CYCLE_1)
	v_cmp_gt_i32_e32 vcc_lo, s28, v0
	s_and_b32 s5, vcc_lo, s4
	s_and_saveexec_b32 s8, s5
	s_cbranch_execz .LBB19_316
; %bb.315:                              ;   in Loop: Header=BB19_12 Depth=1
	scratch_load_b32 v1, off, off offset:908 ; 4-byte Folded Reload
	s_waitcnt vmcnt(0)
	v_add_nc_u32_e32 v5, 0, v1
	scratch_load_b32 v1, off, off offset:912 ; 4-byte Folded Reload
	s_waitcnt vmcnt(0)
	ds_load_2addr_stride64_b32 v[1:2], v1 offset1:15
	ds_load_2addr_b32 v[3:4], v5 offset0:56 offset1:57
	ds_load_b32 v5, v5 offset:4064
	s_clause 0x1
	scratch_load_b64 v[13:14], off, off offset:460
	scratch_load_b64 v[16:17], off, off offset:468
	s_waitcnt lgkmcnt(1)
	v_fma_mix_f32 v6, v3, v1, 0 op_sel_hi:[0,1,0]
	v_fma_mix_f32 v1, v3, v1, 0 op_sel:[0,1,0] op_sel_hi:[0,1,0]
	s_waitcnt lgkmcnt(0)
	s_delay_alu instid0(VALU_DEP_2) | instskip(NEXT) | instid1(VALU_DEP_2)
	v_fma_mix_f32 v6, v5, v2, v6 op_sel_hi:[0,1,0]
	v_fma_mix_f32 v5, v5, v2, v1 op_sel:[0,1,0] op_sel_hi:[0,1,0]
	s_delay_alu instid0(VALU_DEP_2) | instskip(NEXT) | instid1(VALU_DEP_2)
	v_div_scale_f32 v7, null, v4, v4, v6
	v_div_scale_f32 v8, null, v4, v4, v5
	v_div_scale_f32 v11, vcc_lo, v6, v4, v6
	s_delay_alu instid0(VALU_DEP_3) | instskip(NEXT) | instid1(VALU_DEP_2)
	v_rcp_f32_e32 v9, v7
	v_rcp_f32_e32 v10, v8
	v_div_scale_f32 v12, s5, v5, v4, v5
	s_waitcnt_depctr 0xfff
	v_fma_f32 v1, -v7, v9, 1.0
	v_fma_f32 v2, -v8, v10, 1.0
	s_delay_alu instid0(VALU_DEP_1) | instskip(SKIP_2) | instid1(VALU_DEP_2)
	v_dual_fmac_f32 v9, v1, v9 :: v_dual_fmac_f32 v10, v2, v10
	s_waitcnt vmcnt(1)
	v_mad_u64_u32 v[1:2], null, v0, s29, v[13:14]
	v_dual_mul_f32 v0, v11, v9 :: v_dual_mul_f32 v13, v12, v10
	s_delay_alu instid0(VALU_DEP_1) | instskip(NEXT) | instid1(VALU_DEP_2)
	v_fma_f32 v14, -v7, v0, v11
	v_fma_f32 v15, -v8, v13, v12
	s_waitcnt vmcnt(0)
	s_delay_alu instid0(VALU_DEP_4) | instskip(NEXT) | instid1(VALU_DEP_2)
	v_mad_u64_u32 v[2:3], null, v1, 56, v[16:17]
	v_dual_fmac_f32 v0, v14, v9 :: v_dual_fmac_f32 v13, v15, v10
	s_delay_alu instid0(VALU_DEP_1) | instskip(NEXT) | instid1(VALU_DEP_3)
	v_fma_f32 v1, -v7, v0, v11
	v_ashrrev_i32_e32 v3, 31, v2
	s_delay_alu instid0(VALU_DEP_3) | instskip(NEXT) | instid1(VALU_DEP_3)
	v_fma_f32 v7, -v8, v13, v12
	v_div_fmas_f32 v8, v1, v9, v0
	s_mov_b32 vcc_lo, s5
	s_delay_alu instid0(VALU_DEP_3) | instskip(NEXT) | instid1(VALU_DEP_3)
	v_lshlrev_b64 v[0:1], 3, v[2:3]
	v_div_fmas_f32 v7, v7, v10, v13
	s_delay_alu instid0(VALU_DEP_3) | instskip(NEXT) | instid1(VALU_DEP_2)
	v_div_fixup_f32 v2, v8, v4, v6
	v_div_fixup_f32 v3, v7, v4, v5
	s_delay_alu instid0(VALU_DEP_4)
	v_add_co_u32 v4, vcc_lo, s59, v0
	v_add_co_ci_u32_e32 v5, vcc_lo, s77, v1, vcc_lo
	v_mov_b32_e32 v1, 0
	global_store_b64 v[4:5], v[2:3], off
.LBB19_316:                             ;   in Loop: Header=BB19_12 Depth=1
	s_or_b32 exec_lo, exec_lo, s8
	s_mov_b32 s5, -1
	s_mov_b32 s8, exec_lo
	v_cmpx_gt_i32_e32 0x47, v1
; %bb.317:                              ;   in Loop: Header=BB19_12 Depth=1
	v_cmp_eq_u32_e32 vcc_lo, 0, v1
	s_or_not1_b32 s5, vcc_lo, exec_lo
; %bb.318:                              ;   in Loop: Header=BB19_12 Depth=1
	s_or_b32 exec_lo, exec_lo, s8
	s_delay_alu instid0(SALU_CYCLE_1)
	s_and_b32 exec_lo, exec_lo, s5
	s_cbranch_execz .LBB19_371
; %bb.319:                              ;   in Loop: Header=BB19_12 Depth=1
	s_clause 0x1
	scratch_load_b32 v0, off, off offset:928
	scratch_load_b64 v[1:2], off, off offset:900
	s_waitcnt vmcnt(1)
	v_add_nc_u32_e32 v0, s33, v0
	s_waitcnt vmcnt(0)
	v_or_b32_e32 v1, s103, v1
	s_delay_alu instid0(VALU_DEP_1) | instskip(SKIP_2) | instid1(VALU_DEP_3)
	v_cmp_gt_i32_e64 s5, s84, v1
	v_mov_b32_e32 v1, 0x47
	v_cmp_gt_i32_e32 vcc_lo, s28, v0
	s_and_b32 s5, vcc_lo, s5
	s_delay_alu instid0(SALU_CYCLE_1)
	s_and_saveexec_b32 s8, s5
	s_cbranch_execz .LBB19_321
; %bb.320:                              ;   in Loop: Header=BB19_12 Depth=1
	scratch_load_b32 v1, off, off offset:932 ; 4-byte Folded Reload
	s_waitcnt vmcnt(0)
	v_add_nc_u32_e32 v5, 0, v1
	scratch_load_b32 v1, off, off offset:936 ; 4-byte Folded Reload
	s_waitcnt vmcnt(0)
	ds_load_2addr_stride64_b32 v[1:2], v1 offset1:15
	ds_load_2addr_b32 v[3:4], v5 offset0:56 offset1:57
	ds_load_b32 v5, v5 offset:4064
	s_clause 0x1
	scratch_load_b64 v[13:14], off, off offset:900
	scratch_load_b64 v[16:17], off, off offset:468
	s_waitcnt lgkmcnt(1)
	v_fma_mix_f32 v6, v3, v1, 0 op_sel_hi:[0,1,0]
	v_fma_mix_f32 v1, v3, v1, 0 op_sel:[0,1,0] op_sel_hi:[0,1,0]
	s_waitcnt lgkmcnt(0)
	s_delay_alu instid0(VALU_DEP_2) | instskip(NEXT) | instid1(VALU_DEP_2)
	v_fma_mix_f32 v6, v5, v2, v6 op_sel_hi:[0,1,0]
	v_fma_mix_f32 v5, v5, v2, v1 op_sel:[0,1,0] op_sel_hi:[0,1,0]
	s_delay_alu instid0(VALU_DEP_2) | instskip(NEXT) | instid1(VALU_DEP_2)
	v_div_scale_f32 v7, null, v4, v4, v6
	v_div_scale_f32 v8, null, v4, v4, v5
	v_div_scale_f32 v11, vcc_lo, v6, v4, v6
	s_delay_alu instid0(VALU_DEP_3) | instskip(NEXT) | instid1(VALU_DEP_2)
	v_rcp_f32_e32 v9, v7
	v_rcp_f32_e32 v10, v8
	v_div_scale_f32 v12, s5, v5, v4, v5
	s_waitcnt_depctr 0xfff
	v_fma_f32 v1, -v7, v9, 1.0
	v_fma_f32 v2, -v8, v10, 1.0
	s_delay_alu instid0(VALU_DEP_1) | instskip(SKIP_2) | instid1(VALU_DEP_2)
	v_dual_fmac_f32 v9, v1, v9 :: v_dual_fmac_f32 v10, v2, v10
	s_waitcnt vmcnt(1)
	v_mad_u64_u32 v[1:2], null, v0, s29, v[13:14]
	v_dual_mul_f32 v0, v11, v9 :: v_dual_mul_f32 v13, v12, v10
	s_delay_alu instid0(VALU_DEP_1) | instskip(NEXT) | instid1(VALU_DEP_2)
	v_fma_f32 v14, -v7, v0, v11
	v_fma_f32 v15, -v8, v13, v12
	s_waitcnt vmcnt(0)
	s_delay_alu instid0(VALU_DEP_4) | instskip(NEXT) | instid1(VALU_DEP_2)
	v_mad_u64_u32 v[2:3], null, v1, 56, v[16:17]
	v_dual_fmac_f32 v0, v14, v9 :: v_dual_fmac_f32 v13, v15, v10
	s_delay_alu instid0(VALU_DEP_1) | instskip(NEXT) | instid1(VALU_DEP_3)
	v_fma_f32 v1, -v7, v0, v11
	v_ashrrev_i32_e32 v3, 31, v2
	s_delay_alu instid0(VALU_DEP_3) | instskip(NEXT) | instid1(VALU_DEP_3)
	v_fma_f32 v7, -v8, v13, v12
	v_div_fmas_f32 v8, v1, v9, v0
	s_mov_b32 vcc_lo, s5
	s_delay_alu instid0(VALU_DEP_3) | instskip(NEXT) | instid1(VALU_DEP_3)
	v_lshlrev_b64 v[0:1], 3, v[2:3]
	v_div_fmas_f32 v7, v7, v10, v13
	s_delay_alu instid0(VALU_DEP_3) | instskip(NEXT) | instid1(VALU_DEP_2)
	v_div_fixup_f32 v2, v8, v4, v6
	v_div_fixup_f32 v3, v7, v4, v5
	s_delay_alu instid0(VALU_DEP_4)
	v_add_co_u32 v4, vcc_lo, s59, v0
	v_add_co_ci_u32_e32 v5, vcc_lo, s77, v1, vcc_lo
	v_mov_b32_e32 v1, 0
	global_store_b64 v[4:5], v[2:3], off
.LBB19_321:                             ;   in Loop: Header=BB19_12 Depth=1
	s_or_b32 exec_lo, exec_lo, s8
	s_mov_b32 s5, -1
	s_mov_b32 s8, exec_lo
	v_cmpx_gt_i32_e32 0x47, v1
; %bb.322:                              ;   in Loop: Header=BB19_12 Depth=1
	v_cmp_eq_u32_e32 vcc_lo, 0, v1
	s_or_not1_b32 s5, vcc_lo, exec_lo
; %bb.323:                              ;   in Loop: Header=BB19_12 Depth=1
	s_or_b32 exec_lo, exec_lo, s8
	s_delay_alu instid0(SALU_CYCLE_1)
	s_and_b32 exec_lo, exec_lo, s5
	s_cbranch_execz .LBB19_371
; %bb.324:                              ;   in Loop: Header=BB19_12 Depth=1
	scratch_load_b32 v0, off, off offset:940 ; 4-byte Folded Reload
	s_waitcnt vmcnt(0)
	v_dual_mov_b32 v1, 0x47 :: v_dual_add_nc_u32 v0, s33, v0
	s_delay_alu instid0(VALU_DEP_1) | instskip(SKIP_1) | instid1(SALU_CYCLE_1)
	v_cmp_gt_i32_e32 vcc_lo, s28, v0
	s_and_b32 s5, vcc_lo, s4
	s_and_saveexec_b32 s8, s5
	s_cbranch_execz .LBB19_326
; %bb.325:                              ;   in Loop: Header=BB19_12 Depth=1
	scratch_load_b32 v1, off, off offset:964 ; 4-byte Folded Reload
	s_waitcnt vmcnt(0)
	v_add_nc_u32_e32 v5, 0, v1
	scratch_load_b32 v1, off, off offset:968 ; 4-byte Folded Reload
	s_waitcnt vmcnt(0)
	ds_load_2addr_stride64_b32 v[1:2], v1 offset1:15
	ds_load_2addr_b32 v[3:4], v5 offset0:56 offset1:57
	ds_load_b32 v5, v5 offset:4064
	s_clause 0x1
	scratch_load_b64 v[13:14], off, off offset:460
	scratch_load_b64 v[16:17], off, off offset:468
	s_waitcnt lgkmcnt(1)
	v_fma_mix_f32 v6, v3, v1, 0 op_sel_hi:[0,1,0]
	v_fma_mix_f32 v1, v3, v1, 0 op_sel:[0,1,0] op_sel_hi:[0,1,0]
	s_waitcnt lgkmcnt(0)
	s_delay_alu instid0(VALU_DEP_2) | instskip(NEXT) | instid1(VALU_DEP_2)
	v_fma_mix_f32 v6, v5, v2, v6 op_sel_hi:[0,1,0]
	v_fma_mix_f32 v5, v5, v2, v1 op_sel:[0,1,0] op_sel_hi:[0,1,0]
	s_delay_alu instid0(VALU_DEP_2) | instskip(NEXT) | instid1(VALU_DEP_2)
	v_div_scale_f32 v7, null, v4, v4, v6
	v_div_scale_f32 v8, null, v4, v4, v5
	v_div_scale_f32 v11, vcc_lo, v6, v4, v6
	s_delay_alu instid0(VALU_DEP_3) | instskip(NEXT) | instid1(VALU_DEP_2)
	v_rcp_f32_e32 v9, v7
	v_rcp_f32_e32 v10, v8
	v_div_scale_f32 v12, s5, v5, v4, v5
	s_waitcnt_depctr 0xfff
	v_fma_f32 v1, -v7, v9, 1.0
	v_fma_f32 v2, -v8, v10, 1.0
	s_delay_alu instid0(VALU_DEP_1) | instskip(SKIP_2) | instid1(VALU_DEP_2)
	v_dual_fmac_f32 v9, v1, v9 :: v_dual_fmac_f32 v10, v2, v10
	s_waitcnt vmcnt(1)
	v_mad_u64_u32 v[1:2], null, v0, s29, v[13:14]
	v_dual_mul_f32 v0, v11, v9 :: v_dual_mul_f32 v13, v12, v10
	s_delay_alu instid0(VALU_DEP_1) | instskip(NEXT) | instid1(VALU_DEP_2)
	v_fma_f32 v14, -v7, v0, v11
	v_fma_f32 v15, -v8, v13, v12
	s_waitcnt vmcnt(0)
	s_delay_alu instid0(VALU_DEP_4) | instskip(NEXT) | instid1(VALU_DEP_2)
	v_mad_u64_u32 v[2:3], null, v1, 56, v[16:17]
	v_dual_fmac_f32 v0, v14, v9 :: v_dual_fmac_f32 v13, v15, v10
	s_delay_alu instid0(VALU_DEP_1) | instskip(NEXT) | instid1(VALU_DEP_3)
	v_fma_f32 v1, -v7, v0, v11
	v_ashrrev_i32_e32 v3, 31, v2
	s_delay_alu instid0(VALU_DEP_3) | instskip(NEXT) | instid1(VALU_DEP_3)
	v_fma_f32 v7, -v8, v13, v12
	v_div_fmas_f32 v8, v1, v9, v0
	s_mov_b32 vcc_lo, s5
	s_delay_alu instid0(VALU_DEP_3) | instskip(NEXT) | instid1(VALU_DEP_3)
	v_lshlrev_b64 v[0:1], 3, v[2:3]
	v_div_fmas_f32 v7, v7, v10, v13
	s_delay_alu instid0(VALU_DEP_3) | instskip(NEXT) | instid1(VALU_DEP_2)
	v_div_fixup_f32 v2, v8, v4, v6
	v_div_fixup_f32 v3, v7, v4, v5
	s_delay_alu instid0(VALU_DEP_4)
	v_add_co_u32 v4, vcc_lo, s59, v0
	v_add_co_ci_u32_e32 v5, vcc_lo, s77, v1, vcc_lo
	v_mov_b32_e32 v1, 0
	global_store_b64 v[4:5], v[2:3], off
.LBB19_326:                             ;   in Loop: Header=BB19_12 Depth=1
	s_or_b32 exec_lo, exec_lo, s8
	s_mov_b32 s5, -1
	s_mov_b32 s8, exec_lo
	v_cmpx_gt_i32_e32 0x47, v1
; %bb.327:                              ;   in Loop: Header=BB19_12 Depth=1
	v_cmp_eq_u32_e32 vcc_lo, 0, v1
	s_or_not1_b32 s5, vcc_lo, exec_lo
; %bb.328:                              ;   in Loop: Header=BB19_12 Depth=1
	s_or_b32 exec_lo, exec_lo, s8
	s_delay_alu instid0(SALU_CYCLE_1)
	s_and_b32 exec_lo, exec_lo, s5
	s_cbranch_execz .LBB19_371
; %bb.329:                              ;   in Loop: Header=BB19_12 Depth=1
	s_clause 0x1
	scratch_load_b32 v0, off, off offset:984
	scratch_load_b64 v[1:2], off, off offset:956
	s_waitcnt vmcnt(1)
	v_add_nc_u32_e32 v0, s33, v0
	s_waitcnt vmcnt(0)
	v_or_b32_e32 v1, s103, v1
	s_delay_alu instid0(VALU_DEP_1) | instskip(SKIP_2) | instid1(VALU_DEP_3)
	v_cmp_gt_i32_e64 s5, s84, v1
	v_mov_b32_e32 v1, 0x47
	v_cmp_gt_i32_e32 vcc_lo, s28, v0
	s_and_b32 s5, vcc_lo, s5
	s_delay_alu instid0(SALU_CYCLE_1)
	s_and_saveexec_b32 s8, s5
	s_cbranch_execz .LBB19_331
; %bb.330:                              ;   in Loop: Header=BB19_12 Depth=1
	scratch_load_b32 v1, off, off offset:988 ; 4-byte Folded Reload
	s_waitcnt vmcnt(0)
	v_add_nc_u32_e32 v5, 0, v1
	scratch_load_b32 v1, off, off offset:992 ; 4-byte Folded Reload
	s_waitcnt vmcnt(0)
	ds_load_2addr_stride64_b32 v[1:2], v1 offset1:15
	ds_load_2addr_b32 v[3:4], v5 offset0:56 offset1:57
	ds_load_b32 v5, v5 offset:4064
	s_clause 0x1
	scratch_load_b64 v[13:14], off, off offset:956
	scratch_load_b64 v[16:17], off, off offset:468
	s_waitcnt lgkmcnt(1)
	v_fma_mix_f32 v6, v3, v1, 0 op_sel_hi:[0,1,0]
	v_fma_mix_f32 v1, v3, v1, 0 op_sel:[0,1,0] op_sel_hi:[0,1,0]
	s_waitcnt lgkmcnt(0)
	s_delay_alu instid0(VALU_DEP_2) | instskip(NEXT) | instid1(VALU_DEP_2)
	v_fma_mix_f32 v6, v5, v2, v6 op_sel_hi:[0,1,0]
	v_fma_mix_f32 v5, v5, v2, v1 op_sel:[0,1,0] op_sel_hi:[0,1,0]
	s_delay_alu instid0(VALU_DEP_2) | instskip(NEXT) | instid1(VALU_DEP_2)
	v_div_scale_f32 v7, null, v4, v4, v6
	v_div_scale_f32 v8, null, v4, v4, v5
	v_div_scale_f32 v11, vcc_lo, v6, v4, v6
	s_delay_alu instid0(VALU_DEP_3) | instskip(NEXT) | instid1(VALU_DEP_2)
	v_rcp_f32_e32 v9, v7
	v_rcp_f32_e32 v10, v8
	v_div_scale_f32 v12, s5, v5, v4, v5
	s_waitcnt_depctr 0xfff
	v_fma_f32 v1, -v7, v9, 1.0
	v_fma_f32 v2, -v8, v10, 1.0
	s_delay_alu instid0(VALU_DEP_1) | instskip(SKIP_2) | instid1(VALU_DEP_2)
	v_dual_fmac_f32 v9, v1, v9 :: v_dual_fmac_f32 v10, v2, v10
	s_waitcnt vmcnt(1)
	v_mad_u64_u32 v[1:2], null, v0, s29, v[13:14]
	v_dual_mul_f32 v0, v11, v9 :: v_dual_mul_f32 v13, v12, v10
	s_delay_alu instid0(VALU_DEP_1) | instskip(NEXT) | instid1(VALU_DEP_2)
	v_fma_f32 v14, -v7, v0, v11
	v_fma_f32 v15, -v8, v13, v12
	s_waitcnt vmcnt(0)
	s_delay_alu instid0(VALU_DEP_4) | instskip(NEXT) | instid1(VALU_DEP_2)
	v_mad_u64_u32 v[2:3], null, v1, 56, v[16:17]
	v_dual_fmac_f32 v0, v14, v9 :: v_dual_fmac_f32 v13, v15, v10
	s_delay_alu instid0(VALU_DEP_1) | instskip(NEXT) | instid1(VALU_DEP_3)
	v_fma_f32 v1, -v7, v0, v11
	v_ashrrev_i32_e32 v3, 31, v2
	s_delay_alu instid0(VALU_DEP_3) | instskip(NEXT) | instid1(VALU_DEP_3)
	v_fma_f32 v7, -v8, v13, v12
	v_div_fmas_f32 v8, v1, v9, v0
	s_mov_b32 vcc_lo, s5
	s_delay_alu instid0(VALU_DEP_3) | instskip(NEXT) | instid1(VALU_DEP_3)
	v_lshlrev_b64 v[0:1], 3, v[2:3]
	v_div_fmas_f32 v7, v7, v10, v13
	s_delay_alu instid0(VALU_DEP_3) | instskip(NEXT) | instid1(VALU_DEP_2)
	v_div_fixup_f32 v2, v8, v4, v6
	v_div_fixup_f32 v3, v7, v4, v5
	s_delay_alu instid0(VALU_DEP_4)
	v_add_co_u32 v4, vcc_lo, s59, v0
	v_add_co_ci_u32_e32 v5, vcc_lo, s77, v1, vcc_lo
	v_mov_b32_e32 v1, 0
	global_store_b64 v[4:5], v[2:3], off
.LBB19_331:                             ;   in Loop: Header=BB19_12 Depth=1
	s_or_b32 exec_lo, exec_lo, s8
	s_mov_b32 s5, -1
	s_mov_b32 s8, exec_lo
	v_cmpx_gt_i32_e32 0x47, v1
; %bb.332:                              ;   in Loop: Header=BB19_12 Depth=1
	v_cmp_eq_u32_e32 vcc_lo, 0, v1
	s_or_not1_b32 s5, vcc_lo, exec_lo
; %bb.333:                              ;   in Loop: Header=BB19_12 Depth=1
	s_or_b32 exec_lo, exec_lo, s8
	s_delay_alu instid0(SALU_CYCLE_1)
	s_and_b32 exec_lo, exec_lo, s5
	s_cbranch_execz .LBB19_371
; %bb.334:                              ;   in Loop: Header=BB19_12 Depth=1
	scratch_load_b32 v0, off, off offset:996 ; 4-byte Folded Reload
	s_waitcnt vmcnt(0)
	v_dual_mov_b32 v1, 0x47 :: v_dual_add_nc_u32 v0, s33, v0
	s_delay_alu instid0(VALU_DEP_1) | instskip(SKIP_1) | instid1(SALU_CYCLE_1)
	v_cmp_gt_i32_e32 vcc_lo, s28, v0
	s_and_b32 s5, vcc_lo, s4
	s_and_saveexec_b32 s8, s5
	s_cbranch_execz .LBB19_336
; %bb.335:                              ;   in Loop: Header=BB19_12 Depth=1
	scratch_load_b32 v1, off, off offset:1016 ; 4-byte Folded Reload
	s_waitcnt vmcnt(0)
	v_add_nc_u32_e32 v5, 0, v1
	scratch_load_b32 v1, off, off offset:1020 ; 4-byte Folded Reload
	s_waitcnt vmcnt(0)
	ds_load_2addr_stride64_b32 v[1:2], v1 offset1:15
	ds_load_2addr_b32 v[3:4], v5 offset0:56 offset1:57
	ds_load_b32 v5, v5 offset:4064
	s_clause 0x1
	scratch_load_b64 v[13:14], off, off offset:460
	scratch_load_b64 v[16:17], off, off offset:468
	s_waitcnt lgkmcnt(1)
	v_fma_mix_f32 v6, v3, v1, 0 op_sel_hi:[0,1,0]
	v_fma_mix_f32 v1, v3, v1, 0 op_sel:[0,1,0] op_sel_hi:[0,1,0]
	s_waitcnt lgkmcnt(0)
	s_delay_alu instid0(VALU_DEP_2) | instskip(NEXT) | instid1(VALU_DEP_2)
	v_fma_mix_f32 v6, v5, v2, v6 op_sel_hi:[0,1,0]
	v_fma_mix_f32 v5, v5, v2, v1 op_sel:[0,1,0] op_sel_hi:[0,1,0]
	s_delay_alu instid0(VALU_DEP_2) | instskip(NEXT) | instid1(VALU_DEP_2)
	v_div_scale_f32 v7, null, v4, v4, v6
	v_div_scale_f32 v8, null, v4, v4, v5
	v_div_scale_f32 v11, vcc_lo, v6, v4, v6
	s_delay_alu instid0(VALU_DEP_3) | instskip(NEXT) | instid1(VALU_DEP_2)
	v_rcp_f32_e32 v9, v7
	v_rcp_f32_e32 v10, v8
	v_div_scale_f32 v12, s5, v5, v4, v5
	s_waitcnt_depctr 0xfff
	v_fma_f32 v1, -v7, v9, 1.0
	v_fma_f32 v2, -v8, v10, 1.0
	s_delay_alu instid0(VALU_DEP_1) | instskip(SKIP_2) | instid1(VALU_DEP_2)
	v_dual_fmac_f32 v9, v1, v9 :: v_dual_fmac_f32 v10, v2, v10
	s_waitcnt vmcnt(1)
	v_mad_u64_u32 v[1:2], null, v0, s29, v[13:14]
	v_dual_mul_f32 v0, v11, v9 :: v_dual_mul_f32 v13, v12, v10
	s_delay_alu instid0(VALU_DEP_1) | instskip(NEXT) | instid1(VALU_DEP_2)
	v_fma_f32 v14, -v7, v0, v11
	v_fma_f32 v15, -v8, v13, v12
	s_waitcnt vmcnt(0)
	s_delay_alu instid0(VALU_DEP_4) | instskip(NEXT) | instid1(VALU_DEP_2)
	v_mad_u64_u32 v[2:3], null, v1, 56, v[16:17]
	v_dual_fmac_f32 v0, v14, v9 :: v_dual_fmac_f32 v13, v15, v10
	s_delay_alu instid0(VALU_DEP_1) | instskip(NEXT) | instid1(VALU_DEP_3)
	v_fma_f32 v1, -v7, v0, v11
	v_ashrrev_i32_e32 v3, 31, v2
	s_delay_alu instid0(VALU_DEP_3) | instskip(NEXT) | instid1(VALU_DEP_3)
	v_fma_f32 v7, -v8, v13, v12
	v_div_fmas_f32 v8, v1, v9, v0
	s_mov_b32 vcc_lo, s5
	s_delay_alu instid0(VALU_DEP_3) | instskip(NEXT) | instid1(VALU_DEP_3)
	v_lshlrev_b64 v[0:1], 3, v[2:3]
	v_div_fmas_f32 v7, v7, v10, v13
	s_delay_alu instid0(VALU_DEP_3) | instskip(NEXT) | instid1(VALU_DEP_2)
	v_div_fixup_f32 v2, v8, v4, v6
	v_div_fixup_f32 v3, v7, v4, v5
	s_delay_alu instid0(VALU_DEP_4)
	v_add_co_u32 v4, vcc_lo, s59, v0
	v_add_co_ci_u32_e32 v5, vcc_lo, s77, v1, vcc_lo
	v_mov_b32_e32 v1, 0
	global_store_b64 v[4:5], v[2:3], off
.LBB19_336:                             ;   in Loop: Header=BB19_12 Depth=1
	s_or_b32 exec_lo, exec_lo, s8
	s_mov_b32 s5, -1
	s_mov_b32 s8, exec_lo
	v_cmpx_gt_i32_e32 0x47, v1
; %bb.337:                              ;   in Loop: Header=BB19_12 Depth=1
	v_cmp_eq_u32_e32 vcc_lo, 0, v1
	s_or_not1_b32 s5, vcc_lo, exec_lo
; %bb.338:                              ;   in Loop: Header=BB19_12 Depth=1
	s_or_b32 exec_lo, exec_lo, s8
	s_delay_alu instid0(SALU_CYCLE_1)
	s_and_b32 exec_lo, exec_lo, s5
	s_cbranch_execz .LBB19_371
; %bb.339:                              ;   in Loop: Header=BB19_12 Depth=1
	s_clause 0x1
	scratch_load_b32 v0, off, off offset:1024
	scratch_load_b64 v[1:2], off, off offset:1008
	s_waitcnt vmcnt(1)
	v_add_nc_u32_e32 v0, s33, v0
	s_waitcnt vmcnt(0)
	v_or_b32_e32 v1, s103, v1
	s_delay_alu instid0(VALU_DEP_1) | instskip(SKIP_2) | instid1(VALU_DEP_3)
	v_cmp_gt_i32_e64 s5, s84, v1
	v_mov_b32_e32 v1, 0x47
	v_cmp_gt_i32_e32 vcc_lo, s28, v0
	s_and_b32 s5, vcc_lo, s5
	s_delay_alu instid0(SALU_CYCLE_1)
	s_and_saveexec_b32 s8, s5
	s_cbranch_execz .LBB19_341
; %bb.340:                              ;   in Loop: Header=BB19_12 Depth=1
	scratch_load_b32 v1, off, off offset:1028 ; 4-byte Folded Reload
	s_waitcnt vmcnt(0)
	v_add_nc_u32_e32 v5, 0, v1
	scratch_load_b32 v1, off, off offset:1032 ; 4-byte Folded Reload
	s_waitcnt vmcnt(0)
	ds_load_2addr_stride64_b32 v[1:2], v1 offset1:15
	ds_load_2addr_b32 v[3:4], v5 offset0:56 offset1:57
	ds_load_b32 v5, v5 offset:4064
	s_clause 0x1
	scratch_load_b64 v[13:14], off, off offset:1008
	scratch_load_b64 v[16:17], off, off offset:468
	s_waitcnt lgkmcnt(1)
	v_fma_mix_f32 v6, v3, v1, 0 op_sel_hi:[0,1,0]
	v_fma_mix_f32 v1, v3, v1, 0 op_sel:[0,1,0] op_sel_hi:[0,1,0]
	s_waitcnt lgkmcnt(0)
	s_delay_alu instid0(VALU_DEP_2) | instskip(NEXT) | instid1(VALU_DEP_2)
	v_fma_mix_f32 v6, v5, v2, v6 op_sel_hi:[0,1,0]
	v_fma_mix_f32 v5, v5, v2, v1 op_sel:[0,1,0] op_sel_hi:[0,1,0]
	s_delay_alu instid0(VALU_DEP_2) | instskip(NEXT) | instid1(VALU_DEP_2)
	v_div_scale_f32 v7, null, v4, v4, v6
	v_div_scale_f32 v8, null, v4, v4, v5
	v_div_scale_f32 v11, vcc_lo, v6, v4, v6
	s_delay_alu instid0(VALU_DEP_3) | instskip(NEXT) | instid1(VALU_DEP_2)
	v_rcp_f32_e32 v9, v7
	v_rcp_f32_e32 v10, v8
	v_div_scale_f32 v12, s5, v5, v4, v5
	s_waitcnt_depctr 0xfff
	v_fma_f32 v1, -v7, v9, 1.0
	v_fma_f32 v2, -v8, v10, 1.0
	s_delay_alu instid0(VALU_DEP_1) | instskip(SKIP_2) | instid1(VALU_DEP_2)
	v_dual_fmac_f32 v9, v1, v9 :: v_dual_fmac_f32 v10, v2, v10
	s_waitcnt vmcnt(1)
	v_mad_u64_u32 v[1:2], null, v0, s29, v[13:14]
	v_dual_mul_f32 v0, v11, v9 :: v_dual_mul_f32 v13, v12, v10
	s_delay_alu instid0(VALU_DEP_1) | instskip(NEXT) | instid1(VALU_DEP_2)
	v_fma_f32 v14, -v7, v0, v11
	v_fma_f32 v15, -v8, v13, v12
	s_waitcnt vmcnt(0)
	s_delay_alu instid0(VALU_DEP_4) | instskip(NEXT) | instid1(VALU_DEP_2)
	v_mad_u64_u32 v[2:3], null, v1, 56, v[16:17]
	v_dual_fmac_f32 v0, v14, v9 :: v_dual_fmac_f32 v13, v15, v10
	s_delay_alu instid0(VALU_DEP_1) | instskip(NEXT) | instid1(VALU_DEP_3)
	v_fma_f32 v1, -v7, v0, v11
	v_ashrrev_i32_e32 v3, 31, v2
	s_delay_alu instid0(VALU_DEP_3) | instskip(NEXT) | instid1(VALU_DEP_3)
	v_fma_f32 v7, -v8, v13, v12
	v_div_fmas_f32 v8, v1, v9, v0
	s_mov_b32 vcc_lo, s5
	s_delay_alu instid0(VALU_DEP_3) | instskip(NEXT) | instid1(VALU_DEP_3)
	v_lshlrev_b64 v[0:1], 3, v[2:3]
	v_div_fmas_f32 v7, v7, v10, v13
	s_delay_alu instid0(VALU_DEP_3) | instskip(NEXT) | instid1(VALU_DEP_2)
	v_div_fixup_f32 v2, v8, v4, v6
	v_div_fixup_f32 v3, v7, v4, v5
	s_delay_alu instid0(VALU_DEP_4)
	v_add_co_u32 v4, vcc_lo, s59, v0
	v_add_co_ci_u32_e32 v5, vcc_lo, s77, v1, vcc_lo
	v_mov_b32_e32 v1, 0
	global_store_b64 v[4:5], v[2:3], off
.LBB19_341:                             ;   in Loop: Header=BB19_12 Depth=1
	s_or_b32 exec_lo, exec_lo, s8
	s_mov_b32 s5, -1
	s_mov_b32 s8, exec_lo
	v_cmpx_gt_i32_e32 0x47, v1
; %bb.342:                              ;   in Loop: Header=BB19_12 Depth=1
	v_cmp_eq_u32_e32 vcc_lo, 0, v1
	s_or_not1_b32 s5, vcc_lo, exec_lo
; %bb.343:                              ;   in Loop: Header=BB19_12 Depth=1
	s_or_b32 exec_lo, exec_lo, s8
	s_delay_alu instid0(SALU_CYCLE_1)
	s_and_b32 exec_lo, exec_lo, s5
	s_cbranch_execz .LBB19_371
; %bb.344:                              ;   in Loop: Header=BB19_12 Depth=1
	scratch_load_b32 v0, off, off offset:1036 ; 4-byte Folded Reload
	s_waitcnt vmcnt(0)
	v_dual_mov_b32 v1, 0x47 :: v_dual_add_nc_u32 v0, s33, v0
	s_delay_alu instid0(VALU_DEP_1) | instskip(SKIP_1) | instid1(SALU_CYCLE_1)
	v_cmp_gt_i32_e32 vcc_lo, s28, v0
	s_and_b32 s5, vcc_lo, s4
	s_and_saveexec_b32 s8, s5
	s_cbranch_execz .LBB19_346
; %bb.345:                              ;   in Loop: Header=BB19_12 Depth=1
	scratch_load_b32 v1, off, off offset:1048 ; 4-byte Folded Reload
	s_waitcnt vmcnt(0)
	v_add_nc_u32_e32 v5, 0, v1
	scratch_load_b32 v1, off, off offset:1052 ; 4-byte Folded Reload
	s_waitcnt vmcnt(0)
	ds_load_2addr_stride64_b32 v[1:2], v1 offset1:15
	ds_load_2addr_b32 v[3:4], v5 offset0:56 offset1:57
	ds_load_b32 v5, v5 offset:4064
	s_clause 0x1
	scratch_load_b64 v[13:14], off, off offset:460
	scratch_load_b64 v[16:17], off, off offset:468
	s_waitcnt lgkmcnt(1)
	v_fma_mix_f32 v6, v3, v1, 0 op_sel_hi:[0,1,0]
	v_fma_mix_f32 v1, v3, v1, 0 op_sel:[0,1,0] op_sel_hi:[0,1,0]
	s_waitcnt lgkmcnt(0)
	s_delay_alu instid0(VALU_DEP_2) | instskip(NEXT) | instid1(VALU_DEP_2)
	v_fma_mix_f32 v6, v5, v2, v6 op_sel_hi:[0,1,0]
	v_fma_mix_f32 v5, v5, v2, v1 op_sel:[0,1,0] op_sel_hi:[0,1,0]
	s_delay_alu instid0(VALU_DEP_2) | instskip(NEXT) | instid1(VALU_DEP_2)
	v_div_scale_f32 v7, null, v4, v4, v6
	v_div_scale_f32 v8, null, v4, v4, v5
	v_div_scale_f32 v11, vcc_lo, v6, v4, v6
	s_delay_alu instid0(VALU_DEP_3) | instskip(NEXT) | instid1(VALU_DEP_2)
	v_rcp_f32_e32 v9, v7
	v_rcp_f32_e32 v10, v8
	v_div_scale_f32 v12, s5, v5, v4, v5
	s_waitcnt_depctr 0xfff
	v_fma_f32 v1, -v7, v9, 1.0
	v_fma_f32 v2, -v8, v10, 1.0
	s_delay_alu instid0(VALU_DEP_1) | instskip(SKIP_2) | instid1(VALU_DEP_2)
	v_dual_fmac_f32 v9, v1, v9 :: v_dual_fmac_f32 v10, v2, v10
	s_waitcnt vmcnt(1)
	v_mad_u64_u32 v[1:2], null, v0, s29, v[13:14]
	v_dual_mul_f32 v0, v11, v9 :: v_dual_mul_f32 v13, v12, v10
	s_delay_alu instid0(VALU_DEP_1) | instskip(NEXT) | instid1(VALU_DEP_2)
	v_fma_f32 v14, -v7, v0, v11
	v_fma_f32 v15, -v8, v13, v12
	s_waitcnt vmcnt(0)
	s_delay_alu instid0(VALU_DEP_4) | instskip(NEXT) | instid1(VALU_DEP_2)
	v_mad_u64_u32 v[2:3], null, v1, 56, v[16:17]
	v_dual_fmac_f32 v0, v14, v9 :: v_dual_fmac_f32 v13, v15, v10
	s_delay_alu instid0(VALU_DEP_1) | instskip(NEXT) | instid1(VALU_DEP_3)
	v_fma_f32 v1, -v7, v0, v11
	v_ashrrev_i32_e32 v3, 31, v2
	s_delay_alu instid0(VALU_DEP_3) | instskip(NEXT) | instid1(VALU_DEP_3)
	v_fma_f32 v7, -v8, v13, v12
	v_div_fmas_f32 v8, v1, v9, v0
	s_mov_b32 vcc_lo, s5
	s_delay_alu instid0(VALU_DEP_3) | instskip(NEXT) | instid1(VALU_DEP_3)
	v_lshlrev_b64 v[0:1], 3, v[2:3]
	v_div_fmas_f32 v7, v7, v10, v13
	s_delay_alu instid0(VALU_DEP_3) | instskip(NEXT) | instid1(VALU_DEP_2)
	v_div_fixup_f32 v2, v8, v4, v6
	v_div_fixup_f32 v3, v7, v4, v5
	s_delay_alu instid0(VALU_DEP_4)
	v_add_co_u32 v4, vcc_lo, s59, v0
	v_add_co_ci_u32_e32 v5, vcc_lo, s77, v1, vcc_lo
	v_mov_b32_e32 v1, 0
	global_store_b64 v[4:5], v[2:3], off
.LBB19_346:                             ;   in Loop: Header=BB19_12 Depth=1
	s_or_b32 exec_lo, exec_lo, s8
	s_mov_b32 s5, -1
	s_mov_b32 s8, exec_lo
	v_cmpx_gt_i32_e32 0x47, v1
; %bb.347:                              ;   in Loop: Header=BB19_12 Depth=1
	v_cmp_eq_u32_e32 vcc_lo, 0, v1
	s_or_not1_b32 s5, vcc_lo, exec_lo
; %bb.348:                              ;   in Loop: Header=BB19_12 Depth=1
	s_or_b32 exec_lo, exec_lo, s8
	s_delay_alu instid0(SALU_CYCLE_1)
	s_and_b32 exec_lo, exec_lo, s5
	s_cbranch_execz .LBB19_371
; %bb.349:                              ;   in Loop: Header=BB19_12 Depth=1
	s_clause 0x1
	scratch_load_b32 v0, off, off offset:1056
	scratch_load_b64 v[1:2], off, off offset:1040
	s_waitcnt vmcnt(1)
	v_add_nc_u32_e32 v0, s33, v0
	s_waitcnt vmcnt(0)
	v_or_b32_e32 v1, s103, v1
	s_delay_alu instid0(VALU_DEP_1) | instskip(SKIP_2) | instid1(VALU_DEP_3)
	v_cmp_gt_i32_e64 s5, s84, v1
	v_mov_b32_e32 v1, 0x47
	v_cmp_gt_i32_e32 vcc_lo, s28, v0
	s_and_b32 s5, vcc_lo, s5
	s_delay_alu instid0(SALU_CYCLE_1)
	s_and_saveexec_b32 s8, s5
	s_cbranch_execz .LBB19_351
; %bb.350:                              ;   in Loop: Header=BB19_12 Depth=1
	scratch_load_b32 v1, off, off offset:1060 ; 4-byte Folded Reload
	s_waitcnt vmcnt(0)
	v_add_nc_u32_e32 v5, 0, v1
	scratch_load_b32 v1, off, off offset:1064 ; 4-byte Folded Reload
	s_waitcnt vmcnt(0)
	ds_load_2addr_stride64_b32 v[1:2], v1 offset1:15
	ds_load_2addr_b32 v[3:4], v5 offset0:56 offset1:57
	ds_load_b32 v5, v5 offset:4064
	s_clause 0x1
	scratch_load_b64 v[13:14], off, off offset:1040
	scratch_load_b64 v[16:17], off, off offset:468
	s_waitcnt lgkmcnt(1)
	v_fma_mix_f32 v6, v3, v1, 0 op_sel_hi:[0,1,0]
	v_fma_mix_f32 v1, v3, v1, 0 op_sel:[0,1,0] op_sel_hi:[0,1,0]
	s_waitcnt lgkmcnt(0)
	s_delay_alu instid0(VALU_DEP_2) | instskip(NEXT) | instid1(VALU_DEP_2)
	v_fma_mix_f32 v6, v5, v2, v6 op_sel_hi:[0,1,0]
	v_fma_mix_f32 v5, v5, v2, v1 op_sel:[0,1,0] op_sel_hi:[0,1,0]
	s_delay_alu instid0(VALU_DEP_2) | instskip(NEXT) | instid1(VALU_DEP_2)
	v_div_scale_f32 v7, null, v4, v4, v6
	v_div_scale_f32 v8, null, v4, v4, v5
	v_div_scale_f32 v11, vcc_lo, v6, v4, v6
	s_delay_alu instid0(VALU_DEP_3) | instskip(NEXT) | instid1(VALU_DEP_2)
	v_rcp_f32_e32 v9, v7
	v_rcp_f32_e32 v10, v8
	v_div_scale_f32 v12, s5, v5, v4, v5
	s_waitcnt_depctr 0xfff
	v_fma_f32 v1, -v7, v9, 1.0
	v_fma_f32 v2, -v8, v10, 1.0
	s_delay_alu instid0(VALU_DEP_1) | instskip(SKIP_2) | instid1(VALU_DEP_2)
	v_dual_fmac_f32 v9, v1, v9 :: v_dual_fmac_f32 v10, v2, v10
	s_waitcnt vmcnt(1)
	v_mad_u64_u32 v[1:2], null, v0, s29, v[13:14]
	v_dual_mul_f32 v0, v11, v9 :: v_dual_mul_f32 v13, v12, v10
	s_delay_alu instid0(VALU_DEP_1) | instskip(NEXT) | instid1(VALU_DEP_2)
	v_fma_f32 v14, -v7, v0, v11
	v_fma_f32 v15, -v8, v13, v12
	s_waitcnt vmcnt(0)
	s_delay_alu instid0(VALU_DEP_4) | instskip(NEXT) | instid1(VALU_DEP_2)
	v_mad_u64_u32 v[2:3], null, v1, 56, v[16:17]
	v_dual_fmac_f32 v0, v14, v9 :: v_dual_fmac_f32 v13, v15, v10
	s_delay_alu instid0(VALU_DEP_1) | instskip(NEXT) | instid1(VALU_DEP_3)
	v_fma_f32 v1, -v7, v0, v11
	v_ashrrev_i32_e32 v3, 31, v2
	s_delay_alu instid0(VALU_DEP_3) | instskip(NEXT) | instid1(VALU_DEP_3)
	v_fma_f32 v7, -v8, v13, v12
	v_div_fmas_f32 v8, v1, v9, v0
	s_mov_b32 vcc_lo, s5
	s_delay_alu instid0(VALU_DEP_3) | instskip(NEXT) | instid1(VALU_DEP_3)
	v_lshlrev_b64 v[0:1], 3, v[2:3]
	v_div_fmas_f32 v7, v7, v10, v13
	s_delay_alu instid0(VALU_DEP_3) | instskip(NEXT) | instid1(VALU_DEP_2)
	v_div_fixup_f32 v2, v8, v4, v6
	v_div_fixup_f32 v3, v7, v4, v5
	s_delay_alu instid0(VALU_DEP_4)
	v_add_co_u32 v4, vcc_lo, s59, v0
	v_add_co_ci_u32_e32 v5, vcc_lo, s77, v1, vcc_lo
	v_mov_b32_e32 v1, 0
	global_store_b64 v[4:5], v[2:3], off
.LBB19_351:                             ;   in Loop: Header=BB19_12 Depth=1
	s_or_b32 exec_lo, exec_lo, s8
	s_mov_b32 s5, -1
	s_mov_b32 s8, exec_lo
	v_cmpx_gt_i32_e32 0x47, v1
; %bb.352:                              ;   in Loop: Header=BB19_12 Depth=1
	v_cmp_eq_u32_e32 vcc_lo, 0, v1
	s_or_not1_b32 s5, vcc_lo, exec_lo
; %bb.353:                              ;   in Loop: Header=BB19_12 Depth=1
	s_or_b32 exec_lo, exec_lo, s8
	s_delay_alu instid0(SALU_CYCLE_1)
	s_and_b32 exec_lo, exec_lo, s5
	s_cbranch_execz .LBB19_371
; %bb.354:                              ;   in Loop: Header=BB19_12 Depth=1
	scratch_load_b32 v0, off, off offset:1068 ; 4-byte Folded Reload
	s_waitcnt vmcnt(0)
	v_dual_mov_b32 v1, 0x47 :: v_dual_add_nc_u32 v0, s33, v0
	s_delay_alu instid0(VALU_DEP_1) | instskip(SKIP_1) | instid1(SALU_CYCLE_1)
	v_cmp_gt_i32_e32 vcc_lo, s28, v0
	s_and_b32 s5, vcc_lo, s4
	s_and_saveexec_b32 s8, s5
	s_cbranch_execz .LBB19_356
; %bb.355:                              ;   in Loop: Header=BB19_12 Depth=1
	scratch_load_b32 v1, off, off offset:1080 ; 4-byte Folded Reload
	s_waitcnt vmcnt(0)
	v_add_nc_u32_e32 v5, 0, v1
	scratch_load_b32 v1, off, off offset:1084 ; 4-byte Folded Reload
	s_waitcnt vmcnt(0)
	ds_load_2addr_stride64_b32 v[1:2], v1 offset1:15
	ds_load_2addr_b32 v[3:4], v5 offset0:56 offset1:57
	ds_load_b32 v5, v5 offset:4064
	s_clause 0x1
	scratch_load_b64 v[13:14], off, off offset:460
	scratch_load_b64 v[16:17], off, off offset:468
	s_waitcnt lgkmcnt(1)
	v_fma_mix_f32 v6, v3, v1, 0 op_sel_hi:[0,1,0]
	v_fma_mix_f32 v1, v3, v1, 0 op_sel:[0,1,0] op_sel_hi:[0,1,0]
	s_waitcnt lgkmcnt(0)
	s_delay_alu instid0(VALU_DEP_2) | instskip(NEXT) | instid1(VALU_DEP_2)
	v_fma_mix_f32 v6, v5, v2, v6 op_sel_hi:[0,1,0]
	v_fma_mix_f32 v5, v5, v2, v1 op_sel:[0,1,0] op_sel_hi:[0,1,0]
	s_delay_alu instid0(VALU_DEP_2) | instskip(NEXT) | instid1(VALU_DEP_2)
	v_div_scale_f32 v7, null, v4, v4, v6
	v_div_scale_f32 v8, null, v4, v4, v5
	v_div_scale_f32 v11, vcc_lo, v6, v4, v6
	s_delay_alu instid0(VALU_DEP_3) | instskip(NEXT) | instid1(VALU_DEP_2)
	v_rcp_f32_e32 v9, v7
	v_rcp_f32_e32 v10, v8
	v_div_scale_f32 v12, s5, v5, v4, v5
	s_waitcnt_depctr 0xfff
	v_fma_f32 v1, -v7, v9, 1.0
	v_fma_f32 v2, -v8, v10, 1.0
	s_delay_alu instid0(VALU_DEP_1) | instskip(SKIP_2) | instid1(VALU_DEP_2)
	v_dual_fmac_f32 v9, v1, v9 :: v_dual_fmac_f32 v10, v2, v10
	s_waitcnt vmcnt(1)
	v_mad_u64_u32 v[1:2], null, v0, s29, v[13:14]
	v_dual_mul_f32 v0, v11, v9 :: v_dual_mul_f32 v13, v12, v10
	s_delay_alu instid0(VALU_DEP_1) | instskip(NEXT) | instid1(VALU_DEP_2)
	v_fma_f32 v14, -v7, v0, v11
	v_fma_f32 v15, -v8, v13, v12
	s_waitcnt vmcnt(0)
	s_delay_alu instid0(VALU_DEP_4) | instskip(NEXT) | instid1(VALU_DEP_2)
	v_mad_u64_u32 v[2:3], null, v1, 56, v[16:17]
	v_dual_fmac_f32 v0, v14, v9 :: v_dual_fmac_f32 v13, v15, v10
	s_delay_alu instid0(VALU_DEP_1) | instskip(NEXT) | instid1(VALU_DEP_3)
	v_fma_f32 v1, -v7, v0, v11
	v_ashrrev_i32_e32 v3, 31, v2
	s_delay_alu instid0(VALU_DEP_3) | instskip(NEXT) | instid1(VALU_DEP_3)
	v_fma_f32 v7, -v8, v13, v12
	v_div_fmas_f32 v8, v1, v9, v0
	s_mov_b32 vcc_lo, s5
	s_delay_alu instid0(VALU_DEP_3) | instskip(NEXT) | instid1(VALU_DEP_3)
	v_lshlrev_b64 v[0:1], 3, v[2:3]
	v_div_fmas_f32 v7, v7, v10, v13
	s_delay_alu instid0(VALU_DEP_3) | instskip(NEXT) | instid1(VALU_DEP_2)
	v_div_fixup_f32 v2, v8, v4, v6
	v_div_fixup_f32 v3, v7, v4, v5
	s_delay_alu instid0(VALU_DEP_4)
	v_add_co_u32 v4, vcc_lo, s59, v0
	v_add_co_ci_u32_e32 v5, vcc_lo, s77, v1, vcc_lo
	v_mov_b32_e32 v1, 0
	global_store_b64 v[4:5], v[2:3], off
.LBB19_356:                             ;   in Loop: Header=BB19_12 Depth=1
	s_or_b32 exec_lo, exec_lo, s8
	s_mov_b32 s5, -1
	s_mov_b32 s8, exec_lo
	v_cmpx_gt_i32_e32 0x47, v1
; %bb.357:                              ;   in Loop: Header=BB19_12 Depth=1
	v_cmp_eq_u32_e32 vcc_lo, 0, v1
	s_or_not1_b32 s5, vcc_lo, exec_lo
; %bb.358:                              ;   in Loop: Header=BB19_12 Depth=1
	s_or_b32 exec_lo, exec_lo, s8
	s_delay_alu instid0(SALU_CYCLE_1)
	s_and_b32 exec_lo, exec_lo, s5
	s_cbranch_execz .LBB19_371
; %bb.359:                              ;   in Loop: Header=BB19_12 Depth=1
	s_clause 0x1
	scratch_load_b32 v0, off, off offset:1088
	scratch_load_b64 v[1:2], off, off offset:1072
	s_waitcnt vmcnt(1)
	v_add_nc_u32_e32 v0, s33, v0
	s_waitcnt vmcnt(0)
	v_or_b32_e32 v1, s103, v1
	s_delay_alu instid0(VALU_DEP_1) | instskip(SKIP_2) | instid1(VALU_DEP_3)
	v_cmp_gt_i32_e64 s5, s84, v1
	v_mov_b32_e32 v1, 0x47
	v_cmp_gt_i32_e32 vcc_lo, s28, v0
	s_and_b32 s5, vcc_lo, s5
	s_delay_alu instid0(SALU_CYCLE_1)
	s_and_saveexec_b32 s8, s5
	s_cbranch_execz .LBB19_361
; %bb.360:                              ;   in Loop: Header=BB19_12 Depth=1
	scratch_load_b32 v1, off, off offset:1092 ; 4-byte Folded Reload
	s_waitcnt vmcnt(0)
	v_add_nc_u32_e32 v5, 0, v1
	scratch_load_b32 v1, off, off offset:1096 ; 4-byte Folded Reload
	s_waitcnt vmcnt(0)
	ds_load_2addr_stride64_b32 v[1:2], v1 offset1:15
	ds_load_2addr_b32 v[3:4], v5 offset0:56 offset1:57
	ds_load_b32 v5, v5 offset:4064
	s_clause 0x1
	scratch_load_b64 v[13:14], off, off offset:1072
	scratch_load_b64 v[16:17], off, off offset:468
	s_waitcnt lgkmcnt(1)
	v_fma_mix_f32 v6, v3, v1, 0 op_sel_hi:[0,1,0]
	v_fma_mix_f32 v1, v3, v1, 0 op_sel:[0,1,0] op_sel_hi:[0,1,0]
	s_waitcnt lgkmcnt(0)
	s_delay_alu instid0(VALU_DEP_2) | instskip(NEXT) | instid1(VALU_DEP_2)
	v_fma_mix_f32 v6, v5, v2, v6 op_sel_hi:[0,1,0]
	v_fma_mix_f32 v5, v5, v2, v1 op_sel:[0,1,0] op_sel_hi:[0,1,0]
	s_delay_alu instid0(VALU_DEP_2) | instskip(NEXT) | instid1(VALU_DEP_2)
	v_div_scale_f32 v7, null, v4, v4, v6
	v_div_scale_f32 v8, null, v4, v4, v5
	v_div_scale_f32 v11, vcc_lo, v6, v4, v6
	s_delay_alu instid0(VALU_DEP_3) | instskip(NEXT) | instid1(VALU_DEP_2)
	v_rcp_f32_e32 v9, v7
	v_rcp_f32_e32 v10, v8
	v_div_scale_f32 v12, s5, v5, v4, v5
	s_waitcnt_depctr 0xfff
	v_fma_f32 v1, -v7, v9, 1.0
	v_fma_f32 v2, -v8, v10, 1.0
	s_delay_alu instid0(VALU_DEP_1) | instskip(SKIP_2) | instid1(VALU_DEP_2)
	v_dual_fmac_f32 v9, v1, v9 :: v_dual_fmac_f32 v10, v2, v10
	s_waitcnt vmcnt(1)
	v_mad_u64_u32 v[1:2], null, v0, s29, v[13:14]
	v_dual_mul_f32 v0, v11, v9 :: v_dual_mul_f32 v13, v12, v10
	s_delay_alu instid0(VALU_DEP_1) | instskip(NEXT) | instid1(VALU_DEP_2)
	v_fma_f32 v14, -v7, v0, v11
	v_fma_f32 v15, -v8, v13, v12
	s_waitcnt vmcnt(0)
	s_delay_alu instid0(VALU_DEP_4) | instskip(NEXT) | instid1(VALU_DEP_2)
	v_mad_u64_u32 v[2:3], null, v1, 56, v[16:17]
	v_dual_fmac_f32 v0, v14, v9 :: v_dual_fmac_f32 v13, v15, v10
	s_delay_alu instid0(VALU_DEP_1) | instskip(NEXT) | instid1(VALU_DEP_3)
	v_fma_f32 v1, -v7, v0, v11
	v_ashrrev_i32_e32 v3, 31, v2
	s_delay_alu instid0(VALU_DEP_3) | instskip(NEXT) | instid1(VALU_DEP_3)
	v_fma_f32 v7, -v8, v13, v12
	v_div_fmas_f32 v8, v1, v9, v0
	s_mov_b32 vcc_lo, s5
	s_delay_alu instid0(VALU_DEP_3) | instskip(NEXT) | instid1(VALU_DEP_3)
	v_lshlrev_b64 v[0:1], 3, v[2:3]
	v_div_fmas_f32 v7, v7, v10, v13
	s_delay_alu instid0(VALU_DEP_3) | instskip(NEXT) | instid1(VALU_DEP_2)
	v_div_fixup_f32 v2, v8, v4, v6
	v_div_fixup_f32 v3, v7, v4, v5
	s_delay_alu instid0(VALU_DEP_4)
	v_add_co_u32 v4, vcc_lo, s59, v0
	v_add_co_ci_u32_e32 v5, vcc_lo, s77, v1, vcc_lo
	v_mov_b32_e32 v1, 0
	global_store_b64 v[4:5], v[2:3], off
.LBB19_361:                             ;   in Loop: Header=BB19_12 Depth=1
	s_or_b32 exec_lo, exec_lo, s8
	s_mov_b32 s5, -1
	s_mov_b32 s8, exec_lo
	v_cmpx_gt_i32_e32 0x47, v1
; %bb.362:                              ;   in Loop: Header=BB19_12 Depth=1
	v_cmp_eq_u32_e32 vcc_lo, 0, v1
	s_or_not1_b32 s5, vcc_lo, exec_lo
; %bb.363:                              ;   in Loop: Header=BB19_12 Depth=1
	s_or_b32 exec_lo, exec_lo, s8
	s_delay_alu instid0(SALU_CYCLE_1)
	s_and_b32 exec_lo, exec_lo, s5
	s_cbranch_execz .LBB19_371
; %bb.364:                              ;   in Loop: Header=BB19_12 Depth=1
	scratch_load_b32 v0, off, off offset:1100 ; 4-byte Folded Reload
	s_waitcnt vmcnt(0)
	v_dual_mov_b32 v1, 0x47 :: v_dual_add_nc_u32 v0, s33, v0
	s_delay_alu instid0(VALU_DEP_1) | instskip(SKIP_1) | instid1(SALU_CYCLE_1)
	v_cmp_gt_i32_e32 vcc_lo, s28, v0
	s_and_b32 s4, vcc_lo, s4
	s_and_saveexec_b32 s5, s4
	s_cbranch_execz .LBB19_366
; %bb.365:                              ;   in Loop: Header=BB19_12 Depth=1
	scratch_load_b32 v1, off, off offset:1112 ; 4-byte Folded Reload
	s_waitcnt vmcnt(0)
	v_add_nc_u32_e32 v5, 0, v1
	scratch_load_b32 v1, off, off offset:1116 ; 4-byte Folded Reload
	s_waitcnt vmcnt(0)
	ds_load_2addr_stride64_b32 v[1:2], v1 offset1:15
	ds_load_2addr_b32 v[3:4], v5 offset0:56 offset1:57
	ds_load_b32 v5, v5 offset:4064
	s_clause 0x1
	scratch_load_b64 v[13:14], off, off offset:460
	scratch_load_b64 v[16:17], off, off offset:468
	s_waitcnt lgkmcnt(1)
	v_fma_mix_f32 v6, v3, v1, 0 op_sel_hi:[0,1,0]
	v_fma_mix_f32 v1, v3, v1, 0 op_sel:[0,1,0] op_sel_hi:[0,1,0]
	s_waitcnt lgkmcnt(0)
	s_delay_alu instid0(VALU_DEP_2) | instskip(NEXT) | instid1(VALU_DEP_2)
	v_fma_mix_f32 v6, v5, v2, v6 op_sel_hi:[0,1,0]
	v_fma_mix_f32 v5, v5, v2, v1 op_sel:[0,1,0] op_sel_hi:[0,1,0]
	s_delay_alu instid0(VALU_DEP_2) | instskip(NEXT) | instid1(VALU_DEP_2)
	v_div_scale_f32 v7, null, v4, v4, v6
	v_div_scale_f32 v8, null, v4, v4, v5
	v_div_scale_f32 v11, vcc_lo, v6, v4, v6
	s_delay_alu instid0(VALU_DEP_3) | instskip(NEXT) | instid1(VALU_DEP_2)
	v_rcp_f32_e32 v9, v7
	v_rcp_f32_e32 v10, v8
	v_div_scale_f32 v12, s4, v5, v4, v5
	s_waitcnt_depctr 0xfff
	v_fma_f32 v1, -v7, v9, 1.0
	v_fma_f32 v2, -v8, v10, 1.0
	s_delay_alu instid0(VALU_DEP_1) | instskip(SKIP_2) | instid1(VALU_DEP_2)
	v_dual_fmac_f32 v9, v1, v9 :: v_dual_fmac_f32 v10, v2, v10
	s_waitcnt vmcnt(1)
	v_mad_u64_u32 v[1:2], null, v0, s29, v[13:14]
	v_dual_mul_f32 v0, v11, v9 :: v_dual_mul_f32 v13, v12, v10
	s_delay_alu instid0(VALU_DEP_1) | instskip(NEXT) | instid1(VALU_DEP_2)
	v_fma_f32 v14, -v7, v0, v11
	v_fma_f32 v15, -v8, v13, v12
	s_waitcnt vmcnt(0)
	s_delay_alu instid0(VALU_DEP_4) | instskip(NEXT) | instid1(VALU_DEP_2)
	v_mad_u64_u32 v[2:3], null, v1, 56, v[16:17]
	v_dual_fmac_f32 v0, v14, v9 :: v_dual_fmac_f32 v13, v15, v10
	s_delay_alu instid0(VALU_DEP_1) | instskip(NEXT) | instid1(VALU_DEP_3)
	v_fma_f32 v1, -v7, v0, v11
	v_ashrrev_i32_e32 v3, 31, v2
	s_delay_alu instid0(VALU_DEP_3) | instskip(NEXT) | instid1(VALU_DEP_3)
	v_fma_f32 v7, -v8, v13, v12
	v_div_fmas_f32 v8, v1, v9, v0
	s_mov_b32 vcc_lo, s4
	s_delay_alu instid0(VALU_DEP_3) | instskip(NEXT) | instid1(VALU_DEP_3)
	v_lshlrev_b64 v[0:1], 3, v[2:3]
	v_div_fmas_f32 v7, v7, v10, v13
	s_delay_alu instid0(VALU_DEP_3) | instskip(NEXT) | instid1(VALU_DEP_2)
	v_div_fixup_f32 v2, v8, v4, v6
	v_div_fixup_f32 v3, v7, v4, v5
	s_delay_alu instid0(VALU_DEP_4)
	v_add_co_u32 v4, vcc_lo, s59, v0
	v_add_co_ci_u32_e32 v5, vcc_lo, s77, v1, vcc_lo
	v_mov_b32_e32 v1, 0
	global_store_b64 v[4:5], v[2:3], off
.LBB19_366:                             ;   in Loop: Header=BB19_12 Depth=1
	s_or_b32 exec_lo, exec_lo, s5
	s_mov_b32 s4, -1
	s_mov_b32 s5, exec_lo
	v_cmpx_gt_i32_e32 0x47, v1
; %bb.367:                              ;   in Loop: Header=BB19_12 Depth=1
	v_cmp_eq_u32_e32 vcc_lo, 0, v1
	s_or_not1_b32 s4, vcc_lo, exec_lo
; %bb.368:                              ;   in Loop: Header=BB19_12 Depth=1
	s_or_b32 exec_lo, exec_lo, s5
	s_delay_alu instid0(SALU_CYCLE_1)
	s_and_b32 exec_lo, exec_lo, s4
	s_cbranch_execz .LBB19_371
; %bb.369:                              ;   in Loop: Header=BB19_12 Depth=1
	s_clause 0x1
	scratch_load_b32 v0, off, off offset:1120
	scratch_load_b64 v[1:2], off, off offset:1104
	s_waitcnt vmcnt(1)
	v_add_nc_u32_e32 v0, s33, v0
	s_waitcnt vmcnt(0)
	v_or_b32_e32 v1, s103, v1
	s_delay_alu instid0(VALU_DEP_2) | instskip(NEXT) | instid1(VALU_DEP_2)
	v_cmp_gt_i32_e32 vcc_lo, s28, v0
	v_cmp_gt_i32_e64 s4, s84, v1
	s_delay_alu instid0(VALU_DEP_1) | instskip(NEXT) | instid1(SALU_CYCLE_1)
	s_and_b32 s4, vcc_lo, s4
	s_and_b32 exec_lo, exec_lo, s4
	s_cbranch_execz .LBB19_371
; %bb.370:                              ;   in Loop: Header=BB19_12 Depth=1
	scratch_load_b32 v1, off, off offset:1124 ; 4-byte Folded Reload
	s_waitcnt vmcnt(0)
	v_add_nc_u32_e32 v5, 0, v1
	scratch_load_b32 v1, off, off offset:1128 ; 4-byte Folded Reload
	s_waitcnt vmcnt(0)
	ds_load_2addr_stride64_b32 v[1:2], v1 offset1:15
	ds_load_2addr_b32 v[3:4], v5 offset0:56 offset1:57
	ds_load_b32 v5, v5 offset:4064
	s_clause 0x1
	scratch_load_b64 v[13:14], off, off offset:1104
	scratch_load_b64 v[16:17], off, off offset:468
	s_waitcnt lgkmcnt(1)
	v_fma_mix_f32 v6, v3, v1, 0 op_sel_hi:[0,1,0]
	v_fma_mix_f32 v1, v3, v1, 0 op_sel:[0,1,0] op_sel_hi:[0,1,0]
	s_waitcnt lgkmcnt(0)
	s_delay_alu instid0(VALU_DEP_2) | instskip(NEXT) | instid1(VALU_DEP_2)
	v_fma_mix_f32 v6, v5, v2, v6 op_sel_hi:[0,1,0]
	v_fma_mix_f32 v5, v5, v2, v1 op_sel:[0,1,0] op_sel_hi:[0,1,0]
	s_delay_alu instid0(VALU_DEP_2) | instskip(NEXT) | instid1(VALU_DEP_2)
	v_div_scale_f32 v7, null, v4, v4, v6
	v_div_scale_f32 v8, null, v4, v4, v5
	v_div_scale_f32 v11, vcc_lo, v6, v4, v6
	s_delay_alu instid0(VALU_DEP_3) | instskip(NEXT) | instid1(VALU_DEP_2)
	v_rcp_f32_e32 v9, v7
	v_rcp_f32_e32 v10, v8
	v_div_scale_f32 v12, s4, v5, v4, v5
	s_waitcnt_depctr 0xfff
	v_fma_f32 v1, -v7, v9, 1.0
	v_fma_f32 v2, -v8, v10, 1.0
	s_delay_alu instid0(VALU_DEP_1) | instskip(SKIP_2) | instid1(VALU_DEP_2)
	v_dual_fmac_f32 v9, v1, v9 :: v_dual_fmac_f32 v10, v2, v10
	s_waitcnt vmcnt(1)
	v_mad_u64_u32 v[1:2], null, v0, s29, v[13:14]
	v_dual_mul_f32 v0, v11, v9 :: v_dual_mul_f32 v13, v12, v10
	s_delay_alu instid0(VALU_DEP_1) | instskip(SKIP_1) | instid1(VALU_DEP_3)
	v_fma_f32 v14, -v7, v0, v11
	s_waitcnt vmcnt(0)
	v_mad_u64_u32 v[2:3], null, v1, 56, v[16:17]
	s_delay_alu instid0(VALU_DEP_3) | instskip(NEXT) | instid1(VALU_DEP_1)
	v_fma_f32 v15, -v8, v13, v12
	v_dual_fmac_f32 v0, v14, v9 :: v_dual_fmac_f32 v13, v15, v10
	s_delay_alu instid0(VALU_DEP_3) | instskip(NEXT) | instid1(VALU_DEP_2)
	v_ashrrev_i32_e32 v3, 31, v2
	v_fma_f32 v1, -v7, v0, v11
	s_delay_alu instid0(VALU_DEP_3) | instskip(NEXT) | instid1(VALU_DEP_2)
	v_fma_f32 v7, -v8, v13, v12
	v_div_fmas_f32 v8, v1, v9, v0
	s_delay_alu instid0(VALU_DEP_4) | instskip(SKIP_1) | instid1(VALU_DEP_3)
	v_lshlrev_b64 v[0:1], 3, v[2:3]
	s_mov_b32 vcc_lo, s4
	v_div_fmas_f32 v7, v7, v10, v13
	s_delay_alu instid0(VALU_DEP_3) | instskip(NEXT) | instid1(VALU_DEP_3)
	v_div_fixup_f32 v2, v8, v4, v6
	v_add_co_u32 v0, vcc_lo, s59, v0
	s_delay_alu instid0(VALU_DEP_3)
	v_div_fixup_f32 v3, v7, v4, v5
	v_add_co_ci_u32_e32 v1, vcc_lo, s77, v1, vcc_lo
	global_store_b64 v[0:1], v[2:3], off
.LBB19_371:                             ;   in Loop: Header=BB19_12 Depth=1
	s_or_b32 exec_lo, exec_lo, s6
	s_clause 0x1
	scratch_load_b32 v0, off, off offset:540
	scratch_load_b64 v[1:2], off, off offset:448
	s_waitcnt vmcnt(1)
	v_add_nc_u32_e32 v0, s33, v0
	s_waitcnt vmcnt(0)
	v_or_b32_e32 v1, s103, v1
	s_delay_alu instid0(VALU_DEP_1) | instskip(SKIP_2) | instid1(VALU_DEP_3)
	v_cmp_gt_i32_e64 s4, s84, v1
	v_mov_b32_e32 v1, 0x47
	v_cmp_gt_i32_e32 vcc_lo, s28, v0
	s_and_b32 s5, vcc_lo, s4
	s_delay_alu instid0(SALU_CYCLE_1)
	s_and_saveexec_b32 s8, s5
	s_cbranch_execz .LBB19_373
; %bb.372:                              ;   in Loop: Header=BB19_12 Depth=1
	s_clause 0x1
	scratch_load_b32 v1, off, off offset:604
	scratch_load_b32 v2, off, off offset:600
	s_waitcnt vmcnt(1)
	v_add_nc_u32_e32 v1, 0x80, v1
	s_waitcnt vmcnt(0)
	v_add_nc_u32_e32 v5, 0, v2
	ds_load_2addr_stride64_b32 v[1:2], v1 offset1:15
	ds_load_2addr_b32 v[3:4], v5 offset0:56 offset1:57
	ds_load_b32 v5, v5 offset:4064
	scratch_load_b64 v[11:12], off, off offset:448 ; 8-byte Folded Reload
	s_waitcnt lgkmcnt(1)
	v_fma_mix_f32 v6, v3, v1, 0 op_sel_hi:[0,1,0]
	v_fma_mix_f32 v1, v3, v1, 0 op_sel:[0,1,0] op_sel_hi:[0,1,0]
	s_waitcnt lgkmcnt(0)
	s_delay_alu instid0(VALU_DEP_2) | instskip(NEXT) | instid1(VALU_DEP_2)
	v_fma_mix_f32 v3, v5, v2, v6 op_sel_hi:[0,1,0]
	v_fma_mix_f32 v5, v5, v2, v1 op_sel:[0,1,0] op_sel_hi:[0,1,0]
	s_delay_alu instid0(VALU_DEP_2) | instskip(NEXT) | instid1(VALU_DEP_2)
	v_div_scale_f32 v6, null, v4, v4, v3
	v_div_scale_f32 v7, null, v4, v4, v5
	s_delay_alu instid0(VALU_DEP_2) | instskip(NEXT) | instid1(VALU_DEP_1)
	v_rcp_f32_e32 v8, v6
	v_rcp_f32_e32 v9, v7
	s_waitcnt_depctr 0xfff
	v_fma_f32 v10, -v6, v8, 1.0
	s_delay_alu instid0(VALU_DEP_1)
	v_fmac_f32_e32 v8, v10, v8
	v_div_scale_f32 v10, s5, v5, v4, v5
	s_waitcnt vmcnt(0)
	v_mad_u64_u32 v[1:2], null, v0, s29, v[11:12]
	v_div_scale_f32 v0, vcc_lo, v3, v4, v3
	v_fma_f32 v2, -v7, v9, 1.0
	s_delay_alu instid0(VALU_DEP_3) | instskip(NEXT) | instid1(VALU_DEP_2)
	v_mul_lo_u32 v1, v1, 56
	v_dual_fmac_f32 v9, v2, v9 :: v_dual_mul_f32 v2, v0, v8
	s_delay_alu instid0(VALU_DEP_1) | instskip(NEXT) | instid1(VALU_DEP_1)
	v_fma_f32 v12, -v6, v2, v0
	v_dual_fmac_f32 v2, v12, v8 :: v_dual_mul_f32 v11, v10, v9
	s_delay_alu instid0(VALU_DEP_4) | instskip(NEXT) | instid1(VALU_DEP_2)
	v_ashrrev_i32_e32 v12, 31, v1
	v_fma_f32 v6, -v6, v2, v0
	scratch_load_b32 v0, off, off offset:552 ; 4-byte Folded Reload
	v_fma_f32 v13, -v7, v11, v10
	v_div_fmas_f32 v2, v6, v8, v2
	s_mov_b32 vcc_lo, s5
	s_delay_alu instid0(VALU_DEP_2) | instskip(NEXT) | instid1(VALU_DEP_2)
	v_fmac_f32_e32 v11, v13, v9
	v_div_fixup_f32 v2, v2, v4, v3
	s_delay_alu instid0(VALU_DEP_2) | instskip(NEXT) | instid1(VALU_DEP_1)
	v_fma_f32 v7, -v7, v11, v10
	v_div_fmas_f32 v6, v7, v9, v11
	s_delay_alu instid0(VALU_DEP_1) | instskip(SKIP_2) | instid1(VALU_DEP_1)
	v_div_fixup_f32 v3, v6, v4, v5
	s_waitcnt vmcnt(0)
	v_add_co_u32 v0, s6, v1, v0
	v_add_co_ci_u32_e64 v1, s6, 0, v12, s6
	s_delay_alu instid0(VALU_DEP_1) | instskip(NEXT) | instid1(VALU_DEP_1)
	v_lshlrev_b64 v[0:1], 3, v[0:1]
	v_add_co_u32 v4, vcc_lo, s59, v0
	s_delay_alu instid0(VALU_DEP_2)
	v_add_co_ci_u32_e32 v5, vcc_lo, s77, v1, vcc_lo
	v_mov_b32_e32 v1, 0
	global_store_b64 v[4:5], v[2:3], off offset:256
.LBB19_373:                             ;   in Loop: Header=BB19_12 Depth=1
	s_or_b32 exec_lo, exec_lo, s8
	s_mov_b32 s5, -1
	s_mov_b32 s6, exec_lo
	v_cmpx_gt_i32_e32 0x47, v1
; %bb.374:                              ;   in Loop: Header=BB19_12 Depth=1
	v_cmp_eq_u32_e32 vcc_lo, 0, v1
	s_or_not1_b32 s5, vcc_lo, exec_lo
; %bb.375:                              ;   in Loop: Header=BB19_12 Depth=1
	s_or_b32 exec_lo, exec_lo, s6
	s_and_saveexec_b32 s8, s5
	s_cbranch_execz .LBB19_408
; %bb.376:                              ;   in Loop: Header=BB19_12 Depth=1
	scratch_load_b32 v0, off, off offset:608 ; 4-byte Folded Reload
	s_waitcnt vmcnt(0)
	v_dual_mov_b32 v1, 0x47 :: v_dual_add_nc_u32 v0, s33, v0
	s_delay_alu instid0(VALU_DEP_1) | instskip(SKIP_1) | instid1(SALU_CYCLE_1)
	v_cmp_gt_i32_e32 vcc_lo, s28, v0
	s_and_b32 s5, vcc_lo, s4
	s_and_saveexec_b32 s9, s5
	s_cbranch_execz .LBB19_378
; %bb.377:                              ;   in Loop: Header=BB19_12 Depth=1
	s_clause 0x1
	scratch_load_b32 v1, off, off offset:772
	scratch_load_b32 v2, off, off offset:768
	s_waitcnt vmcnt(1)
	v_add_nc_u32_e32 v1, 0x80, v1
	s_waitcnt vmcnt(0)
	v_add_nc_u32_e32 v5, 0, v2
	ds_load_2addr_stride64_b32 v[1:2], v1 offset1:15
	ds_load_2addr_b32 v[3:4], v5 offset0:56 offset1:57
	ds_load_b32 v5, v5 offset:4064
	scratch_load_b64 v[11:12], off, off offset:448 ; 8-byte Folded Reload
	s_waitcnt lgkmcnt(1)
	v_fma_mix_f32 v6, v3, v1, 0 op_sel_hi:[0,1,0]
	v_fma_mix_f32 v1, v3, v1, 0 op_sel:[0,1,0] op_sel_hi:[0,1,0]
	s_waitcnt lgkmcnt(0)
	s_delay_alu instid0(VALU_DEP_2) | instskip(NEXT) | instid1(VALU_DEP_2)
	v_fma_mix_f32 v3, v5, v2, v6 op_sel_hi:[0,1,0]
	v_fma_mix_f32 v5, v5, v2, v1 op_sel:[0,1,0] op_sel_hi:[0,1,0]
	s_delay_alu instid0(VALU_DEP_2) | instskip(NEXT) | instid1(VALU_DEP_2)
	v_div_scale_f32 v6, null, v4, v4, v3
	v_div_scale_f32 v7, null, v4, v4, v5
	s_delay_alu instid0(VALU_DEP_2) | instskip(NEXT) | instid1(VALU_DEP_1)
	v_rcp_f32_e32 v8, v6
	v_rcp_f32_e32 v9, v7
	s_waitcnt_depctr 0xfff
	v_fma_f32 v10, -v6, v8, 1.0
	s_delay_alu instid0(VALU_DEP_1)
	v_fmac_f32_e32 v8, v10, v8
	v_div_scale_f32 v10, s5, v5, v4, v5
	s_waitcnt vmcnt(0)
	v_mad_u64_u32 v[1:2], null, v0, s29, v[11:12]
	v_div_scale_f32 v0, vcc_lo, v3, v4, v3
	v_fma_f32 v2, -v7, v9, 1.0
	s_delay_alu instid0(VALU_DEP_3) | instskip(NEXT) | instid1(VALU_DEP_2)
	v_mul_lo_u32 v1, v1, 56
	v_dual_fmac_f32 v9, v2, v9 :: v_dual_mul_f32 v2, v0, v8
	s_delay_alu instid0(VALU_DEP_1) | instskip(NEXT) | instid1(VALU_DEP_1)
	v_fma_f32 v12, -v6, v2, v0
	v_dual_fmac_f32 v2, v12, v8 :: v_dual_mul_f32 v11, v10, v9
	s_delay_alu instid0(VALU_DEP_4) | instskip(NEXT) | instid1(VALU_DEP_2)
	v_ashrrev_i32_e32 v12, 31, v1
	v_fma_f32 v6, -v6, v2, v0
	scratch_load_b32 v0, off, off offset:552 ; 4-byte Folded Reload
	v_fma_f32 v13, -v7, v11, v10
	v_div_fmas_f32 v2, v6, v8, v2
	s_mov_b32 vcc_lo, s5
	s_delay_alu instid0(VALU_DEP_2) | instskip(NEXT) | instid1(VALU_DEP_2)
	v_fmac_f32_e32 v11, v13, v9
	v_div_fixup_f32 v2, v2, v4, v3
	s_delay_alu instid0(VALU_DEP_2) | instskip(NEXT) | instid1(VALU_DEP_1)
	v_fma_f32 v7, -v7, v11, v10
	v_div_fmas_f32 v6, v7, v9, v11
	s_delay_alu instid0(VALU_DEP_1) | instskip(SKIP_2) | instid1(VALU_DEP_1)
	v_div_fixup_f32 v3, v6, v4, v5
	s_waitcnt vmcnt(0)
	v_add_co_u32 v0, s6, v1, v0
	v_add_co_ci_u32_e64 v1, s6, 0, v12, s6
	s_delay_alu instid0(VALU_DEP_1) | instskip(NEXT) | instid1(VALU_DEP_1)
	v_lshlrev_b64 v[0:1], 3, v[0:1]
	v_add_co_u32 v4, vcc_lo, s59, v0
	s_delay_alu instid0(VALU_DEP_2)
	v_add_co_ci_u32_e32 v5, vcc_lo, s77, v1, vcc_lo
	v_mov_b32_e32 v1, 0
	global_store_b64 v[4:5], v[2:3], off offset:256
.LBB19_378:                             ;   in Loop: Header=BB19_12 Depth=1
	s_or_b32 exec_lo, exec_lo, s9
	s_mov_b32 s5, -1
	s_mov_b32 s6, exec_lo
	v_cmpx_gt_i32_e32 0x47, v1
; %bb.379:                              ;   in Loop: Header=BB19_12 Depth=1
	v_cmp_eq_u32_e32 vcc_lo, 0, v1
	s_or_not1_b32 s5, vcc_lo, exec_lo
; %bb.380:                              ;   in Loop: Header=BB19_12 Depth=1
	s_or_b32 exec_lo, exec_lo, s6
	s_delay_alu instid0(SALU_CYCLE_1)
	s_and_b32 exec_lo, exec_lo, s5
	s_cbranch_execz .LBB19_408
; %bb.381:                              ;   in Loop: Header=BB19_12 Depth=1
	scratch_load_b32 v0, off, off offset:776 ; 4-byte Folded Reload
	s_waitcnt vmcnt(0)
	v_dual_mov_b32 v1, 0x47 :: v_dual_add_nc_u32 v0, s33, v0
	s_delay_alu instid0(VALU_DEP_1) | instskip(SKIP_1) | instid1(SALU_CYCLE_1)
	v_cmp_gt_i32_e32 vcc_lo, s28, v0
	s_and_b32 s5, vcc_lo, s4
	s_and_saveexec_b32 s9, s5
	s_cbranch_execz .LBB19_383
; %bb.382:                              ;   in Loop: Header=BB19_12 Depth=1
	s_clause 0x1
	scratch_load_b32 v1, off, off offset:812
	scratch_load_b32 v2, off, off offset:808
	s_waitcnt vmcnt(1)
	v_add_nc_u32_e32 v1, 0x80, v1
	s_waitcnt vmcnt(0)
	v_add_nc_u32_e32 v5, 0, v2
	ds_load_2addr_stride64_b32 v[1:2], v1 offset1:15
	ds_load_2addr_b32 v[3:4], v5 offset0:56 offset1:57
	ds_load_b32 v5, v5 offset:4064
	scratch_load_b64 v[11:12], off, off offset:448 ; 8-byte Folded Reload
	s_waitcnt lgkmcnt(1)
	v_fma_mix_f32 v6, v3, v1, 0 op_sel_hi:[0,1,0]
	v_fma_mix_f32 v1, v3, v1, 0 op_sel:[0,1,0] op_sel_hi:[0,1,0]
	s_waitcnt lgkmcnt(0)
	s_delay_alu instid0(VALU_DEP_2) | instskip(NEXT) | instid1(VALU_DEP_2)
	v_fma_mix_f32 v3, v5, v2, v6 op_sel_hi:[0,1,0]
	v_fma_mix_f32 v5, v5, v2, v1 op_sel:[0,1,0] op_sel_hi:[0,1,0]
	s_delay_alu instid0(VALU_DEP_2) | instskip(NEXT) | instid1(VALU_DEP_2)
	v_div_scale_f32 v6, null, v4, v4, v3
	v_div_scale_f32 v7, null, v4, v4, v5
	s_delay_alu instid0(VALU_DEP_2) | instskip(NEXT) | instid1(VALU_DEP_1)
	v_rcp_f32_e32 v8, v6
	v_rcp_f32_e32 v9, v7
	s_waitcnt_depctr 0xfff
	v_fma_f32 v10, -v6, v8, 1.0
	s_delay_alu instid0(VALU_DEP_1)
	v_fmac_f32_e32 v8, v10, v8
	v_div_scale_f32 v10, s5, v5, v4, v5
	s_waitcnt vmcnt(0)
	v_mad_u64_u32 v[1:2], null, v0, s29, v[11:12]
	v_div_scale_f32 v0, vcc_lo, v3, v4, v3
	v_fma_f32 v2, -v7, v9, 1.0
	s_delay_alu instid0(VALU_DEP_3) | instskip(NEXT) | instid1(VALU_DEP_2)
	v_mul_lo_u32 v1, v1, 56
	v_dual_fmac_f32 v9, v2, v9 :: v_dual_mul_f32 v2, v0, v8
	s_delay_alu instid0(VALU_DEP_1) | instskip(NEXT) | instid1(VALU_DEP_1)
	v_fma_f32 v12, -v6, v2, v0
	v_dual_fmac_f32 v2, v12, v8 :: v_dual_mul_f32 v11, v10, v9
	s_delay_alu instid0(VALU_DEP_4) | instskip(NEXT) | instid1(VALU_DEP_2)
	v_ashrrev_i32_e32 v12, 31, v1
	v_fma_f32 v6, -v6, v2, v0
	scratch_load_b32 v0, off, off offset:552 ; 4-byte Folded Reload
	v_fma_f32 v13, -v7, v11, v10
	v_div_fmas_f32 v2, v6, v8, v2
	s_mov_b32 vcc_lo, s5
	s_delay_alu instid0(VALU_DEP_2) | instskip(NEXT) | instid1(VALU_DEP_2)
	v_fmac_f32_e32 v11, v13, v9
	v_div_fixup_f32 v2, v2, v4, v3
	s_delay_alu instid0(VALU_DEP_2) | instskip(NEXT) | instid1(VALU_DEP_1)
	v_fma_f32 v7, -v7, v11, v10
	v_div_fmas_f32 v6, v7, v9, v11
	s_delay_alu instid0(VALU_DEP_1) | instskip(SKIP_2) | instid1(VALU_DEP_1)
	v_div_fixup_f32 v3, v6, v4, v5
	s_waitcnt vmcnt(0)
	v_add_co_u32 v0, s6, v1, v0
	v_add_co_ci_u32_e64 v1, s6, 0, v12, s6
	s_delay_alu instid0(VALU_DEP_1) | instskip(NEXT) | instid1(VALU_DEP_1)
	v_lshlrev_b64 v[0:1], 3, v[0:1]
	v_add_co_u32 v4, vcc_lo, s59, v0
	s_delay_alu instid0(VALU_DEP_2)
	v_add_co_ci_u32_e32 v5, vcc_lo, s77, v1, vcc_lo
	v_mov_b32_e32 v1, 0
	global_store_b64 v[4:5], v[2:3], off offset:256
.LBB19_383:                             ;   in Loop: Header=BB19_12 Depth=1
	s_or_b32 exec_lo, exec_lo, s9
	s_mov_b32 s5, -1
	s_mov_b32 s6, exec_lo
	v_cmpx_gt_i32_e32 0x47, v1
; %bb.384:                              ;   in Loop: Header=BB19_12 Depth=1
	v_cmp_eq_u32_e32 vcc_lo, 0, v1
	s_or_not1_b32 s5, vcc_lo, exec_lo
; %bb.385:                              ;   in Loop: Header=BB19_12 Depth=1
	s_or_b32 exec_lo, exec_lo, s6
	s_delay_alu instid0(SALU_CYCLE_1)
	s_and_b32 exec_lo, exec_lo, s5
	s_cbranch_execz .LBB19_408
; %bb.386:                              ;   in Loop: Header=BB19_12 Depth=1
	scratch_load_b32 v0, off, off offset:816 ; 4-byte Folded Reload
	s_waitcnt vmcnt(0)
	v_dual_mov_b32 v1, 0x47 :: v_dual_add_nc_u32 v0, s33, v0
	s_delay_alu instid0(VALU_DEP_1) | instskip(SKIP_1) | instid1(SALU_CYCLE_1)
	v_cmp_gt_i32_e32 vcc_lo, s28, v0
	s_and_b32 s5, vcc_lo, s4
	s_and_saveexec_b32 s9, s5
	s_cbranch_execz .LBB19_388
; %bb.387:                              ;   in Loop: Header=BB19_12 Depth=1
	s_clause 0x1
	scratch_load_b32 v1, off, off offset:860
	scratch_load_b32 v2, off, off offset:856
	s_waitcnt vmcnt(1)
	v_add_nc_u32_e32 v1, 0x80, v1
	s_waitcnt vmcnt(0)
	v_add_nc_u32_e32 v5, 0, v2
	ds_load_2addr_stride64_b32 v[1:2], v1 offset1:15
	ds_load_2addr_b32 v[3:4], v5 offset0:56 offset1:57
	ds_load_b32 v5, v5 offset:4064
	scratch_load_b64 v[11:12], off, off offset:448 ; 8-byte Folded Reload
	s_waitcnt lgkmcnt(1)
	v_fma_mix_f32 v6, v3, v1, 0 op_sel_hi:[0,1,0]
	v_fma_mix_f32 v1, v3, v1, 0 op_sel:[0,1,0] op_sel_hi:[0,1,0]
	s_waitcnt lgkmcnt(0)
	s_delay_alu instid0(VALU_DEP_2) | instskip(NEXT) | instid1(VALU_DEP_2)
	v_fma_mix_f32 v3, v5, v2, v6 op_sel_hi:[0,1,0]
	v_fma_mix_f32 v5, v5, v2, v1 op_sel:[0,1,0] op_sel_hi:[0,1,0]
	s_delay_alu instid0(VALU_DEP_2) | instskip(NEXT) | instid1(VALU_DEP_2)
	v_div_scale_f32 v6, null, v4, v4, v3
	v_div_scale_f32 v7, null, v4, v4, v5
	s_delay_alu instid0(VALU_DEP_2) | instskip(NEXT) | instid1(VALU_DEP_1)
	v_rcp_f32_e32 v8, v6
	v_rcp_f32_e32 v9, v7
	s_waitcnt_depctr 0xfff
	v_fma_f32 v10, -v6, v8, 1.0
	s_delay_alu instid0(VALU_DEP_1)
	v_fmac_f32_e32 v8, v10, v8
	v_div_scale_f32 v10, s5, v5, v4, v5
	s_waitcnt vmcnt(0)
	v_mad_u64_u32 v[1:2], null, v0, s29, v[11:12]
	v_div_scale_f32 v0, vcc_lo, v3, v4, v3
	v_fma_f32 v2, -v7, v9, 1.0
	s_delay_alu instid0(VALU_DEP_3) | instskip(NEXT) | instid1(VALU_DEP_2)
	v_mul_lo_u32 v1, v1, 56
	v_dual_fmac_f32 v9, v2, v9 :: v_dual_mul_f32 v2, v0, v8
	s_delay_alu instid0(VALU_DEP_1) | instskip(NEXT) | instid1(VALU_DEP_1)
	v_fma_f32 v12, -v6, v2, v0
	v_dual_fmac_f32 v2, v12, v8 :: v_dual_mul_f32 v11, v10, v9
	s_delay_alu instid0(VALU_DEP_4) | instskip(NEXT) | instid1(VALU_DEP_2)
	v_ashrrev_i32_e32 v12, 31, v1
	v_fma_f32 v6, -v6, v2, v0
	scratch_load_b32 v0, off, off offset:552 ; 4-byte Folded Reload
	v_fma_f32 v13, -v7, v11, v10
	v_div_fmas_f32 v2, v6, v8, v2
	s_mov_b32 vcc_lo, s5
	s_delay_alu instid0(VALU_DEP_2) | instskip(NEXT) | instid1(VALU_DEP_2)
	v_fmac_f32_e32 v11, v13, v9
	v_div_fixup_f32 v2, v2, v4, v3
	s_delay_alu instid0(VALU_DEP_2) | instskip(NEXT) | instid1(VALU_DEP_1)
	v_fma_f32 v7, -v7, v11, v10
	v_div_fmas_f32 v6, v7, v9, v11
	s_delay_alu instid0(VALU_DEP_1) | instskip(SKIP_2) | instid1(VALU_DEP_1)
	v_div_fixup_f32 v3, v6, v4, v5
	s_waitcnt vmcnt(0)
	v_add_co_u32 v0, s6, v1, v0
	v_add_co_ci_u32_e64 v1, s6, 0, v12, s6
	s_delay_alu instid0(VALU_DEP_1) | instskip(NEXT) | instid1(VALU_DEP_1)
	v_lshlrev_b64 v[0:1], 3, v[0:1]
	v_add_co_u32 v4, vcc_lo, s59, v0
	s_delay_alu instid0(VALU_DEP_2)
	v_add_co_ci_u32_e32 v5, vcc_lo, s77, v1, vcc_lo
	v_mov_b32_e32 v1, 0
	global_store_b64 v[4:5], v[2:3], off offset:256
.LBB19_388:                             ;   in Loop: Header=BB19_12 Depth=1
	s_or_b32 exec_lo, exec_lo, s9
	s_mov_b32 s5, -1
	s_mov_b32 s6, exec_lo
	v_cmpx_gt_i32_e32 0x47, v1
; %bb.389:                              ;   in Loop: Header=BB19_12 Depth=1
	v_cmp_eq_u32_e32 vcc_lo, 0, v1
	s_or_not1_b32 s5, vcc_lo, exec_lo
; %bb.390:                              ;   in Loop: Header=BB19_12 Depth=1
	s_or_b32 exec_lo, exec_lo, s6
	s_delay_alu instid0(SALU_CYCLE_1)
	s_and_b32 exec_lo, exec_lo, s5
	s_cbranch_execz .LBB19_408
; %bb.391:                              ;   in Loop: Header=BB19_12 Depth=1
	scratch_load_b32 v0, off, off offset:864 ; 4-byte Folded Reload
	s_waitcnt vmcnt(0)
	v_dual_mov_b32 v1, 0x47 :: v_dual_add_nc_u32 v0, s33, v0
	s_delay_alu instid0(VALU_DEP_1) | instskip(SKIP_1) | instid1(SALU_CYCLE_1)
	v_cmp_gt_i32_e32 vcc_lo, s28, v0
	s_and_b32 s5, vcc_lo, s4
	s_and_saveexec_b32 s9, s5
	s_cbranch_execz .LBB19_393
; %bb.392:                              ;   in Loop: Header=BB19_12 Depth=1
	s_clause 0x1
	scratch_load_b32 v1, off, off offset:920
	scratch_load_b32 v2, off, off offset:916
	s_waitcnt vmcnt(1)
	v_add_nc_u32_e32 v1, 0x80, v1
	s_waitcnt vmcnt(0)
	v_add_nc_u32_e32 v5, 0, v2
	ds_load_2addr_stride64_b32 v[1:2], v1 offset1:15
	ds_load_2addr_b32 v[3:4], v5 offset0:56 offset1:57
	ds_load_b32 v5, v5 offset:4064
	scratch_load_b64 v[11:12], off, off offset:448 ; 8-byte Folded Reload
	s_waitcnt lgkmcnt(1)
	v_fma_mix_f32 v6, v3, v1, 0 op_sel_hi:[0,1,0]
	v_fma_mix_f32 v1, v3, v1, 0 op_sel:[0,1,0] op_sel_hi:[0,1,0]
	s_waitcnt lgkmcnt(0)
	s_delay_alu instid0(VALU_DEP_2) | instskip(NEXT) | instid1(VALU_DEP_2)
	v_fma_mix_f32 v3, v5, v2, v6 op_sel_hi:[0,1,0]
	v_fma_mix_f32 v5, v5, v2, v1 op_sel:[0,1,0] op_sel_hi:[0,1,0]
	s_delay_alu instid0(VALU_DEP_2) | instskip(NEXT) | instid1(VALU_DEP_2)
	v_div_scale_f32 v6, null, v4, v4, v3
	v_div_scale_f32 v7, null, v4, v4, v5
	s_delay_alu instid0(VALU_DEP_2) | instskip(NEXT) | instid1(VALU_DEP_1)
	v_rcp_f32_e32 v8, v6
	v_rcp_f32_e32 v9, v7
	s_waitcnt_depctr 0xfff
	v_fma_f32 v10, -v6, v8, 1.0
	s_delay_alu instid0(VALU_DEP_1)
	v_fmac_f32_e32 v8, v10, v8
	v_div_scale_f32 v10, s5, v5, v4, v5
	s_waitcnt vmcnt(0)
	v_mad_u64_u32 v[1:2], null, v0, s29, v[11:12]
	v_div_scale_f32 v0, vcc_lo, v3, v4, v3
	v_fma_f32 v2, -v7, v9, 1.0
	s_delay_alu instid0(VALU_DEP_3) | instskip(NEXT) | instid1(VALU_DEP_2)
	v_mul_lo_u32 v1, v1, 56
	v_dual_fmac_f32 v9, v2, v9 :: v_dual_mul_f32 v2, v0, v8
	s_delay_alu instid0(VALU_DEP_1) | instskip(NEXT) | instid1(VALU_DEP_1)
	v_fma_f32 v12, -v6, v2, v0
	v_dual_fmac_f32 v2, v12, v8 :: v_dual_mul_f32 v11, v10, v9
	s_delay_alu instid0(VALU_DEP_4) | instskip(NEXT) | instid1(VALU_DEP_2)
	v_ashrrev_i32_e32 v12, 31, v1
	v_fma_f32 v6, -v6, v2, v0
	scratch_load_b32 v0, off, off offset:552 ; 4-byte Folded Reload
	v_fma_f32 v13, -v7, v11, v10
	v_div_fmas_f32 v2, v6, v8, v2
	s_mov_b32 vcc_lo, s5
	s_delay_alu instid0(VALU_DEP_2) | instskip(NEXT) | instid1(VALU_DEP_2)
	v_fmac_f32_e32 v11, v13, v9
	v_div_fixup_f32 v2, v2, v4, v3
	s_delay_alu instid0(VALU_DEP_2) | instskip(NEXT) | instid1(VALU_DEP_1)
	v_fma_f32 v7, -v7, v11, v10
	v_div_fmas_f32 v6, v7, v9, v11
	s_delay_alu instid0(VALU_DEP_1) | instskip(SKIP_2) | instid1(VALU_DEP_1)
	v_div_fixup_f32 v3, v6, v4, v5
	s_waitcnt vmcnt(0)
	v_add_co_u32 v0, s6, v1, v0
	v_add_co_ci_u32_e64 v1, s6, 0, v12, s6
	s_delay_alu instid0(VALU_DEP_1) | instskip(NEXT) | instid1(VALU_DEP_1)
	v_lshlrev_b64 v[0:1], 3, v[0:1]
	v_add_co_u32 v4, vcc_lo, s59, v0
	s_delay_alu instid0(VALU_DEP_2)
	v_add_co_ci_u32_e32 v5, vcc_lo, s77, v1, vcc_lo
	v_mov_b32_e32 v1, 0
	global_store_b64 v[4:5], v[2:3], off offset:256
.LBB19_393:                             ;   in Loop: Header=BB19_12 Depth=1
	s_or_b32 exec_lo, exec_lo, s9
	s_mov_b32 s5, -1
	s_mov_b32 s6, exec_lo
	v_cmpx_gt_i32_e32 0x47, v1
; %bb.394:                              ;   in Loop: Header=BB19_12 Depth=1
	v_cmp_eq_u32_e32 vcc_lo, 0, v1
	s_or_not1_b32 s5, vcc_lo, exec_lo
; %bb.395:                              ;   in Loop: Header=BB19_12 Depth=1
	s_or_b32 exec_lo, exec_lo, s6
	s_delay_alu instid0(SALU_CYCLE_1)
	s_and_b32 exec_lo, exec_lo, s5
	s_cbranch_execz .LBB19_408
; %bb.396:                              ;   in Loop: Header=BB19_12 Depth=1
	scratch_load_b32 v0, off, off offset:924 ; 4-byte Folded Reload
	s_waitcnt vmcnt(0)
	v_dual_mov_b32 v1, 0x47 :: v_dual_add_nc_u32 v0, s33, v0
	s_delay_alu instid0(VALU_DEP_1) | instskip(SKIP_1) | instid1(SALU_CYCLE_1)
	v_cmp_gt_i32_e32 vcc_lo, s28, v0
	s_and_b32 s5, vcc_lo, s4
	s_and_saveexec_b32 s9, s5
	s_cbranch_execz .LBB19_398
; %bb.397:                              ;   in Loop: Header=BB19_12 Depth=1
	s_clause 0x1
	scratch_load_b32 v1, off, off offset:948
	scratch_load_b32 v2, off, off offset:944
	s_waitcnt vmcnt(1)
	v_add_nc_u32_e32 v1, 0x80, v1
	s_waitcnt vmcnt(0)
	v_add_nc_u32_e32 v5, 0, v2
	ds_load_2addr_stride64_b32 v[1:2], v1 offset1:15
	ds_load_2addr_b32 v[3:4], v5 offset0:56 offset1:57
	ds_load_b32 v5, v5 offset:4064
	scratch_load_b64 v[11:12], off, off offset:448 ; 8-byte Folded Reload
	s_waitcnt lgkmcnt(1)
	v_fma_mix_f32 v6, v3, v1, 0 op_sel_hi:[0,1,0]
	v_fma_mix_f32 v1, v3, v1, 0 op_sel:[0,1,0] op_sel_hi:[0,1,0]
	s_waitcnt lgkmcnt(0)
	s_delay_alu instid0(VALU_DEP_2) | instskip(NEXT) | instid1(VALU_DEP_2)
	v_fma_mix_f32 v3, v5, v2, v6 op_sel_hi:[0,1,0]
	v_fma_mix_f32 v5, v5, v2, v1 op_sel:[0,1,0] op_sel_hi:[0,1,0]
	s_delay_alu instid0(VALU_DEP_2) | instskip(NEXT) | instid1(VALU_DEP_2)
	v_div_scale_f32 v6, null, v4, v4, v3
	v_div_scale_f32 v7, null, v4, v4, v5
	s_delay_alu instid0(VALU_DEP_2) | instskip(NEXT) | instid1(VALU_DEP_1)
	v_rcp_f32_e32 v8, v6
	v_rcp_f32_e32 v9, v7
	s_waitcnt_depctr 0xfff
	v_fma_f32 v10, -v6, v8, 1.0
	s_delay_alu instid0(VALU_DEP_1)
	v_fmac_f32_e32 v8, v10, v8
	v_div_scale_f32 v10, s5, v5, v4, v5
	s_waitcnt vmcnt(0)
	v_mad_u64_u32 v[1:2], null, v0, s29, v[11:12]
	v_div_scale_f32 v0, vcc_lo, v3, v4, v3
	v_fma_f32 v2, -v7, v9, 1.0
	s_delay_alu instid0(VALU_DEP_3) | instskip(NEXT) | instid1(VALU_DEP_2)
	v_mul_lo_u32 v1, v1, 56
	v_dual_fmac_f32 v9, v2, v9 :: v_dual_mul_f32 v2, v0, v8
	s_delay_alu instid0(VALU_DEP_1) | instskip(NEXT) | instid1(VALU_DEP_1)
	v_fma_f32 v12, -v6, v2, v0
	v_dual_fmac_f32 v2, v12, v8 :: v_dual_mul_f32 v11, v10, v9
	s_delay_alu instid0(VALU_DEP_4) | instskip(NEXT) | instid1(VALU_DEP_2)
	v_ashrrev_i32_e32 v12, 31, v1
	v_fma_f32 v6, -v6, v2, v0
	scratch_load_b32 v0, off, off offset:552 ; 4-byte Folded Reload
	v_fma_f32 v13, -v7, v11, v10
	v_div_fmas_f32 v2, v6, v8, v2
	s_mov_b32 vcc_lo, s5
	s_delay_alu instid0(VALU_DEP_2) | instskip(NEXT) | instid1(VALU_DEP_2)
	v_fmac_f32_e32 v11, v13, v9
	v_div_fixup_f32 v2, v2, v4, v3
	s_delay_alu instid0(VALU_DEP_2) | instskip(NEXT) | instid1(VALU_DEP_1)
	v_fma_f32 v7, -v7, v11, v10
	v_div_fmas_f32 v6, v7, v9, v11
	s_delay_alu instid0(VALU_DEP_1) | instskip(SKIP_2) | instid1(VALU_DEP_1)
	v_div_fixup_f32 v3, v6, v4, v5
	s_waitcnt vmcnt(0)
	v_add_co_u32 v0, s6, v1, v0
	v_add_co_ci_u32_e64 v1, s6, 0, v12, s6
	s_delay_alu instid0(VALU_DEP_1) | instskip(NEXT) | instid1(VALU_DEP_1)
	v_lshlrev_b64 v[0:1], 3, v[0:1]
	v_add_co_u32 v4, vcc_lo, s59, v0
	s_delay_alu instid0(VALU_DEP_2)
	v_add_co_ci_u32_e32 v5, vcc_lo, s77, v1, vcc_lo
	v_mov_b32_e32 v1, 0
	global_store_b64 v[4:5], v[2:3], off offset:256
.LBB19_398:                             ;   in Loop: Header=BB19_12 Depth=1
	s_or_b32 exec_lo, exec_lo, s9
	s_mov_b32 s5, -1
	s_mov_b32 s6, exec_lo
	v_cmpx_gt_i32_e32 0x47, v1
; %bb.399:                              ;   in Loop: Header=BB19_12 Depth=1
	v_cmp_eq_u32_e32 vcc_lo, 0, v1
	s_or_not1_b32 s5, vcc_lo, exec_lo
; %bb.400:                              ;   in Loop: Header=BB19_12 Depth=1
	s_or_b32 exec_lo, exec_lo, s6
	s_delay_alu instid0(SALU_CYCLE_1)
	s_and_b32 exec_lo, exec_lo, s5
	s_cbranch_execz .LBB19_408
; %bb.401:                              ;   in Loop: Header=BB19_12 Depth=1
	scratch_load_b32 v0, off, off offset:952 ; 4-byte Folded Reload
	s_waitcnt vmcnt(0)
	v_dual_mov_b32 v1, 0x47 :: v_dual_add_nc_u32 v0, s33, v0
	s_delay_alu instid0(VALU_DEP_1) | instskip(SKIP_1) | instid1(SALU_CYCLE_1)
	v_cmp_gt_i32_e32 vcc_lo, s28, v0
	s_and_b32 s5, vcc_lo, s4
	s_and_saveexec_b32 s9, s5
	s_cbranch_execz .LBB19_403
; %bb.402:                              ;   in Loop: Header=BB19_12 Depth=1
	s_clause 0x1
	scratch_load_b32 v1, off, off offset:976
	scratch_load_b32 v2, off, off offset:972
	s_waitcnt vmcnt(1)
	v_add_nc_u32_e32 v1, 0x80, v1
	s_waitcnt vmcnt(0)
	v_add_nc_u32_e32 v5, 0, v2
	ds_load_2addr_stride64_b32 v[1:2], v1 offset1:15
	ds_load_2addr_b32 v[3:4], v5 offset0:56 offset1:57
	ds_load_b32 v5, v5 offset:4064
	scratch_load_b64 v[11:12], off, off offset:448 ; 8-byte Folded Reload
	s_waitcnt lgkmcnt(1)
	v_fma_mix_f32 v6, v3, v1, 0 op_sel_hi:[0,1,0]
	v_fma_mix_f32 v1, v3, v1, 0 op_sel:[0,1,0] op_sel_hi:[0,1,0]
	s_waitcnt lgkmcnt(0)
	s_delay_alu instid0(VALU_DEP_2) | instskip(NEXT) | instid1(VALU_DEP_2)
	v_fma_mix_f32 v3, v5, v2, v6 op_sel_hi:[0,1,0]
	v_fma_mix_f32 v5, v5, v2, v1 op_sel:[0,1,0] op_sel_hi:[0,1,0]
	s_delay_alu instid0(VALU_DEP_2) | instskip(NEXT) | instid1(VALU_DEP_2)
	v_div_scale_f32 v6, null, v4, v4, v3
	v_div_scale_f32 v7, null, v4, v4, v5
	s_delay_alu instid0(VALU_DEP_2) | instskip(NEXT) | instid1(VALU_DEP_1)
	v_rcp_f32_e32 v8, v6
	v_rcp_f32_e32 v9, v7
	s_waitcnt_depctr 0xfff
	v_fma_f32 v10, -v6, v8, 1.0
	s_delay_alu instid0(VALU_DEP_1)
	v_fmac_f32_e32 v8, v10, v8
	v_div_scale_f32 v10, s5, v5, v4, v5
	s_waitcnt vmcnt(0)
	v_mad_u64_u32 v[1:2], null, v0, s29, v[11:12]
	v_div_scale_f32 v0, vcc_lo, v3, v4, v3
	v_fma_f32 v2, -v7, v9, 1.0
	s_delay_alu instid0(VALU_DEP_3) | instskip(NEXT) | instid1(VALU_DEP_2)
	v_mul_lo_u32 v1, v1, 56
	v_dual_fmac_f32 v9, v2, v9 :: v_dual_mul_f32 v2, v0, v8
	s_delay_alu instid0(VALU_DEP_1) | instskip(NEXT) | instid1(VALU_DEP_1)
	v_fma_f32 v12, -v6, v2, v0
	v_dual_fmac_f32 v2, v12, v8 :: v_dual_mul_f32 v11, v10, v9
	s_delay_alu instid0(VALU_DEP_4) | instskip(NEXT) | instid1(VALU_DEP_2)
	v_ashrrev_i32_e32 v12, 31, v1
	v_fma_f32 v6, -v6, v2, v0
	scratch_load_b32 v0, off, off offset:552 ; 4-byte Folded Reload
	v_fma_f32 v13, -v7, v11, v10
	v_div_fmas_f32 v2, v6, v8, v2
	s_mov_b32 vcc_lo, s5
	s_delay_alu instid0(VALU_DEP_2) | instskip(NEXT) | instid1(VALU_DEP_2)
	v_fmac_f32_e32 v11, v13, v9
	v_div_fixup_f32 v2, v2, v4, v3
	s_delay_alu instid0(VALU_DEP_2) | instskip(NEXT) | instid1(VALU_DEP_1)
	v_fma_f32 v7, -v7, v11, v10
	v_div_fmas_f32 v6, v7, v9, v11
	s_delay_alu instid0(VALU_DEP_1) | instskip(SKIP_2) | instid1(VALU_DEP_1)
	v_div_fixup_f32 v3, v6, v4, v5
	s_waitcnt vmcnt(0)
	v_add_co_u32 v0, s6, v1, v0
	v_add_co_ci_u32_e64 v1, s6, 0, v12, s6
	s_delay_alu instid0(VALU_DEP_1) | instskip(NEXT) | instid1(VALU_DEP_1)
	v_lshlrev_b64 v[0:1], 3, v[0:1]
	v_add_co_u32 v4, vcc_lo, s59, v0
	s_delay_alu instid0(VALU_DEP_2)
	v_add_co_ci_u32_e32 v5, vcc_lo, s77, v1, vcc_lo
	v_mov_b32_e32 v1, 0
	global_store_b64 v[4:5], v[2:3], off offset:256
.LBB19_403:                             ;   in Loop: Header=BB19_12 Depth=1
	s_or_b32 exec_lo, exec_lo, s9
	s_mov_b32 s5, -1
	s_mov_b32 s6, exec_lo
	v_cmpx_gt_i32_e32 0x47, v1
; %bb.404:                              ;   in Loop: Header=BB19_12 Depth=1
	v_cmp_eq_u32_e32 vcc_lo, 0, v1
	s_or_not1_b32 s5, vcc_lo, exec_lo
; %bb.405:                              ;   in Loop: Header=BB19_12 Depth=1
	s_or_b32 exec_lo, exec_lo, s6
	s_delay_alu instid0(SALU_CYCLE_1)
	s_and_b32 exec_lo, exec_lo, s5
	s_cbranch_execz .LBB19_408
; %bb.406:                              ;   in Loop: Header=BB19_12 Depth=1
	scratch_load_b32 v0, off, off offset:980 ; 4-byte Folded Reload
	s_waitcnt vmcnt(0)
	v_add_nc_u32_e32 v0, s33, v0
	s_delay_alu instid0(VALU_DEP_1) | instskip(SKIP_1) | instid1(SALU_CYCLE_1)
	v_cmp_gt_i32_e32 vcc_lo, s28, v0
	s_and_b32 s4, vcc_lo, s4
	s_and_b32 exec_lo, exec_lo, s4
	s_cbranch_execz .LBB19_408
; %bb.407:                              ;   in Loop: Header=BB19_12 Depth=1
	s_clause 0x1
	scratch_load_b32 v1, off, off offset:1004
	scratch_load_b32 v2, off, off offset:1000
	s_waitcnt vmcnt(1)
	v_add_nc_u32_e32 v1, 0x80, v1
	s_waitcnt vmcnt(0)
	v_add_nc_u32_e32 v5, 0, v2
	ds_load_2addr_stride64_b32 v[1:2], v1 offset1:15
	ds_load_2addr_b32 v[3:4], v5 offset0:56 offset1:57
	ds_load_b32 v5, v5 offset:4064
	scratch_load_b64 v[11:12], off, off offset:448 ; 8-byte Folded Reload
	s_waitcnt lgkmcnt(1)
	v_fma_mix_f32 v6, v3, v1, 0 op_sel_hi:[0,1,0]
	v_fma_mix_f32 v1, v3, v1, 0 op_sel:[0,1,0] op_sel_hi:[0,1,0]
	s_waitcnt lgkmcnt(0)
	s_delay_alu instid0(VALU_DEP_2) | instskip(NEXT) | instid1(VALU_DEP_2)
	v_fma_mix_f32 v3, v5, v2, v6 op_sel_hi:[0,1,0]
	v_fma_mix_f32 v5, v5, v2, v1 op_sel:[0,1,0] op_sel_hi:[0,1,0]
	s_delay_alu instid0(VALU_DEP_2) | instskip(NEXT) | instid1(VALU_DEP_2)
	v_div_scale_f32 v6, null, v4, v4, v3
	v_div_scale_f32 v7, null, v4, v4, v5
	s_delay_alu instid0(VALU_DEP_2) | instskip(NEXT) | instid1(VALU_DEP_1)
	v_rcp_f32_e32 v8, v6
	v_rcp_f32_e32 v9, v7
	s_waitcnt_depctr 0xfff
	v_fma_f32 v10, -v6, v8, 1.0
	s_delay_alu instid0(VALU_DEP_1)
	v_fmac_f32_e32 v8, v10, v8
	v_div_scale_f32 v10, s4, v5, v4, v5
	s_waitcnt vmcnt(0)
	v_mad_u64_u32 v[1:2], null, v0, s29, v[11:12]
	v_div_scale_f32 v0, vcc_lo, v3, v4, v3
	v_fma_f32 v2, -v7, v9, 1.0
	s_delay_alu instid0(VALU_DEP_3) | instskip(NEXT) | instid1(VALU_DEP_2)
	v_mul_lo_u32 v1, v1, 56
	v_dual_fmac_f32 v9, v2, v9 :: v_dual_mul_f32 v2, v0, v8
	s_delay_alu instid0(VALU_DEP_1) | instskip(NEXT) | instid1(VALU_DEP_1)
	v_fma_f32 v12, -v6, v2, v0
	v_dual_fmac_f32 v2, v12, v8 :: v_dual_mul_f32 v11, v10, v9
	s_delay_alu instid0(VALU_DEP_4) | instskip(NEXT) | instid1(VALU_DEP_2)
	v_ashrrev_i32_e32 v12, 31, v1
	v_fma_f32 v6, -v6, v2, v0
	scratch_load_b32 v0, off, off offset:552 ; 4-byte Folded Reload
	v_fma_f32 v13, -v7, v11, v10
	v_div_fmas_f32 v2, v6, v8, v2
	s_mov_b32 vcc_lo, s4
	s_delay_alu instid0(VALU_DEP_2) | instskip(NEXT) | instid1(VALU_DEP_2)
	v_fmac_f32_e32 v11, v13, v9
	v_div_fixup_f32 v2, v2, v4, v3
	s_delay_alu instid0(VALU_DEP_2) | instskip(NEXT) | instid1(VALU_DEP_1)
	v_fma_f32 v7, -v7, v11, v10
	v_div_fmas_f32 v6, v7, v9, v11
	s_delay_alu instid0(VALU_DEP_1) | instskip(SKIP_2) | instid1(VALU_DEP_1)
	v_div_fixup_f32 v3, v6, v4, v5
	s_waitcnt vmcnt(0)
	v_add_co_u32 v0, s5, v1, v0
	v_add_co_ci_u32_e64 v1, s5, 0, v12, s5
	s_delay_alu instid0(VALU_DEP_1) | instskip(NEXT) | instid1(VALU_DEP_1)
	v_lshlrev_b64 v[0:1], 3, v[0:1]
	v_add_co_u32 v0, vcc_lo, s59, v0
	s_delay_alu instid0(VALU_DEP_2)
	v_add_co_ci_u32_e32 v1, vcc_lo, s77, v1, vcc_lo
	global_store_b64 v[0:1], v[2:3], off offset:256
.LBB19_408:                             ;   in Loop: Header=BB19_12 Depth=1
	s_or_b32 exec_lo, exec_lo, s8
	scratch_load_b32 v0, off, off offset:532 ; 4-byte Folded Reload
	s_waitcnt vmcnt(0)
	v_dual_mov_b32 v1, 0x47 :: v_dual_add_nc_u32 v0, s33, v0
	s_delay_alu instid0(VALU_DEP_1) | instskip(SKIP_1) | instid1(SALU_CYCLE_1)
	v_cmp_gt_i32_e32 vcc_lo, s28, v0
	s_and_b32 s4, vcc_lo, s3
	s_and_saveexec_b32 s5, s4
	s_cbranch_execz .LBB19_410
; %bb.409:                              ;   in Loop: Header=BB19_12 Depth=1
	s_clause 0x1
	scratch_load_b32 v1, off, off offset:616
	scratch_load_b32 v2, off, off offset:612
	s_waitcnt vmcnt(1)
	v_add_nc_u32_e32 v1, 0xc0, v1
	s_waitcnt vmcnt(0)
	v_add_nc_u32_e32 v5, 0, v2
	ds_load_2addr_stride64_b32 v[1:2], v1 offset1:15
	ds_load_2addr_b32 v[3:4], v5 offset0:56 offset1:57
	ds_load_b32 v5, v5 offset:4064
	scratch_load_b64 v[11:12], off, off offset:340 ; 8-byte Folded Reload
	s_waitcnt lgkmcnt(1)
	v_fma_mix_f32 v6, v3, v1, 0 op_sel_hi:[0,1,0]
	v_fma_mix_f32 v1, v3, v1, 0 op_sel:[0,1,0] op_sel_hi:[0,1,0]
	s_waitcnt lgkmcnt(0)
	s_delay_alu instid0(VALU_DEP_2) | instskip(NEXT) | instid1(VALU_DEP_2)
	v_fma_mix_f32 v3, v5, v2, v6 op_sel_hi:[0,1,0]
	v_fma_mix_f32 v5, v5, v2, v1 op_sel:[0,1,0] op_sel_hi:[0,1,0]
	s_delay_alu instid0(VALU_DEP_2) | instskip(NEXT) | instid1(VALU_DEP_2)
	v_div_scale_f32 v6, null, v4, v4, v3
	v_div_scale_f32 v7, null, v4, v4, v5
	s_delay_alu instid0(VALU_DEP_2) | instskip(NEXT) | instid1(VALU_DEP_1)
	v_rcp_f32_e32 v8, v6
	v_rcp_f32_e32 v9, v7
	s_waitcnt_depctr 0xfff
	v_fma_f32 v10, -v6, v8, 1.0
	s_delay_alu instid0(VALU_DEP_1)
	v_fmac_f32_e32 v8, v10, v8
	v_div_scale_f32 v10, s4, v5, v4, v5
	s_waitcnt vmcnt(0)
	v_mad_u64_u32 v[1:2], null, v0, s29, v[11:12]
	v_fma_f32 v0, -v7, v9, 1.0
	v_div_scale_f32 v2, vcc_lo, v3, v4, v3
	s_delay_alu instid0(VALU_DEP_2) | instskip(NEXT) | instid1(VALU_DEP_4)
	v_fmac_f32_e32 v9, v0, v9
	v_mul_lo_u32 v0, v1, 56
	s_delay_alu instid0(VALU_DEP_2) | instskip(NEXT) | instid1(VALU_DEP_1)
	v_mul_f32_e32 v12, v10, v9
	v_fma_f32 v13, -v7, v12, v10
	s_delay_alu instid0(VALU_DEP_1) | instskip(SKIP_2) | instid1(VALU_DEP_1)
	v_dual_mul_f32 v11, v2, v8 :: v_dual_fmac_f32 v12, v13, v9
	scratch_load_b32 v13, off, off offset:556 ; 4-byte Folded Reload
	v_fma_f32 v1, -v6, v11, v2
	v_fmac_f32_e32 v11, v1, v8
	v_ashrrev_i32_e32 v1, 31, v0
	s_delay_alu instid0(VALU_DEP_2) | instskip(NEXT) | instid1(VALU_DEP_2)
	v_fma_f32 v2, -v6, v11, v2
	v_or_b32_e32 v1, 0, v1
	v_fma_f32 v6, -v7, v12, v10
	s_delay_alu instid0(VALU_DEP_3) | instskip(SKIP_1) | instid1(VALU_DEP_2)
	v_div_fmas_f32 v2, v2, v8, v11
	s_mov_b32 vcc_lo, s4
	v_div_fmas_f32 v6, v6, v9, v12
	s_delay_alu instid0(VALU_DEP_2) | instskip(NEXT) | instid1(VALU_DEP_2)
	v_div_fixup_f32 v2, v2, v4, v3
	v_div_fixup_f32 v3, v6, v4, v5
	s_waitcnt vmcnt(0)
	v_or_b32_e32 v0, v0, v13
	s_delay_alu instid0(VALU_DEP_1) | instskip(NEXT) | instid1(VALU_DEP_1)
	v_lshlrev_b64 v[0:1], 3, v[0:1]
	v_add_co_u32 v4, vcc_lo, s59, v0
	s_delay_alu instid0(VALU_DEP_2)
	v_add_co_ci_u32_e32 v5, vcc_lo, s77, v1, vcc_lo
	v_mov_b32_e32 v1, 0
	global_store_b64 v[4:5], v[2:3], off offset:384
.LBB19_410:                             ;   in Loop: Header=BB19_12 Depth=1
	s_or_b32 exec_lo, exec_lo, s5
	s_mov_b32 s4, -1
	s_mov_b32 s5, exec_lo
	v_cmpx_gt_i32_e32 0x47, v1
; %bb.411:                              ;   in Loop: Header=BB19_12 Depth=1
	v_cmp_eq_u32_e32 vcc_lo, 0, v1
	s_or_not1_b32 s4, vcc_lo, exec_lo
; %bb.412:                              ;   in Loop: Header=BB19_12 Depth=1
	s_or_b32 exec_lo, exec_lo, s5
	s_delay_alu instid0(SALU_CYCLE_1)
	s_and_b32 exec_lo, exec_lo, s4
	s_cbranch_execz .LBB19_10
; %bb.413:                              ;   in Loop: Header=BB19_12 Depth=1
	scratch_load_b32 v0, off, off offset:620 ; 4-byte Folded Reload
	s_waitcnt vmcnt(0)
	v_dual_mov_b32 v1, 0x47 :: v_dual_add_nc_u32 v0, s33, v0
	s_delay_alu instid0(VALU_DEP_1) | instskip(SKIP_1) | instid1(SALU_CYCLE_1)
	v_cmp_gt_i32_e32 vcc_lo, s28, v0
	s_and_b32 s4, vcc_lo, s3
	s_and_saveexec_b32 s5, s4
	s_cbranch_execz .LBB19_415
; %bb.414:                              ;   in Loop: Header=BB19_12 Depth=1
	s_clause 0x1
	scratch_load_b32 v1, off, off offset:784
	scratch_load_b32 v2, off, off offset:780
	s_waitcnt vmcnt(1)
	v_add_nc_u32_e32 v1, 0xc0, v1
	s_waitcnt vmcnt(0)
	v_add_nc_u32_e32 v5, 0, v2
	ds_load_2addr_stride64_b32 v[1:2], v1 offset1:15
	ds_load_2addr_b32 v[3:4], v5 offset0:56 offset1:57
	ds_load_b32 v5, v5 offset:4064
	scratch_load_b64 v[11:12], off, off offset:340 ; 8-byte Folded Reload
	s_waitcnt lgkmcnt(1)
	v_fma_mix_f32 v6, v3, v1, 0 op_sel_hi:[0,1,0]
	v_fma_mix_f32 v1, v3, v1, 0 op_sel:[0,1,0] op_sel_hi:[0,1,0]
	s_waitcnt lgkmcnt(0)
	s_delay_alu instid0(VALU_DEP_2) | instskip(NEXT) | instid1(VALU_DEP_2)
	v_fma_mix_f32 v3, v5, v2, v6 op_sel_hi:[0,1,0]
	v_fma_mix_f32 v5, v5, v2, v1 op_sel:[0,1,0] op_sel_hi:[0,1,0]
	s_delay_alu instid0(VALU_DEP_2) | instskip(NEXT) | instid1(VALU_DEP_2)
	v_div_scale_f32 v6, null, v4, v4, v3
	v_div_scale_f32 v7, null, v4, v4, v5
	s_delay_alu instid0(VALU_DEP_2) | instskip(NEXT) | instid1(VALU_DEP_1)
	v_rcp_f32_e32 v8, v6
	v_rcp_f32_e32 v9, v7
	s_waitcnt_depctr 0xfff
	v_fma_f32 v10, -v6, v8, 1.0
	s_delay_alu instid0(VALU_DEP_1)
	v_fmac_f32_e32 v8, v10, v8
	v_div_scale_f32 v10, s4, v5, v4, v5
	s_waitcnt vmcnt(0)
	v_mad_u64_u32 v[1:2], null, v0, s29, v[11:12]
	v_fma_f32 v0, -v7, v9, 1.0
	v_div_scale_f32 v2, vcc_lo, v3, v4, v3
	s_delay_alu instid0(VALU_DEP_2) | instskip(NEXT) | instid1(VALU_DEP_4)
	v_fmac_f32_e32 v9, v0, v9
	v_mul_lo_u32 v0, v1, 56
	s_delay_alu instid0(VALU_DEP_2) | instskip(NEXT) | instid1(VALU_DEP_1)
	v_mul_f32_e32 v12, v10, v9
	v_fma_f32 v13, -v7, v12, v10
	s_delay_alu instid0(VALU_DEP_1) | instskip(SKIP_2) | instid1(VALU_DEP_1)
	v_dual_mul_f32 v11, v2, v8 :: v_dual_fmac_f32 v12, v13, v9
	scratch_load_b32 v13, off, off offset:556 ; 4-byte Folded Reload
	v_fma_f32 v1, -v6, v11, v2
	v_fmac_f32_e32 v11, v1, v8
	v_ashrrev_i32_e32 v1, 31, v0
	s_delay_alu instid0(VALU_DEP_2) | instskip(NEXT) | instid1(VALU_DEP_2)
	v_fma_f32 v2, -v6, v11, v2
	v_or_b32_e32 v1, 0, v1
	v_fma_f32 v6, -v7, v12, v10
	s_delay_alu instid0(VALU_DEP_3) | instskip(SKIP_1) | instid1(VALU_DEP_2)
	v_div_fmas_f32 v2, v2, v8, v11
	s_mov_b32 vcc_lo, s4
	v_div_fmas_f32 v6, v6, v9, v12
	s_delay_alu instid0(VALU_DEP_2) | instskip(NEXT) | instid1(VALU_DEP_2)
	v_div_fixup_f32 v2, v2, v4, v3
	v_div_fixup_f32 v3, v6, v4, v5
	s_waitcnt vmcnt(0)
	v_or_b32_e32 v0, v0, v13
	s_delay_alu instid0(VALU_DEP_1) | instskip(NEXT) | instid1(VALU_DEP_1)
	v_lshlrev_b64 v[0:1], 3, v[0:1]
	v_add_co_u32 v4, vcc_lo, s59, v0
	s_delay_alu instid0(VALU_DEP_2)
	v_add_co_ci_u32_e32 v5, vcc_lo, s77, v1, vcc_lo
	v_mov_b32_e32 v1, 0
	global_store_b64 v[4:5], v[2:3], off offset:384
.LBB19_415:                             ;   in Loop: Header=BB19_12 Depth=1
	s_or_b32 exec_lo, exec_lo, s5
	s_mov_b32 s4, -1
	s_mov_b32 s5, exec_lo
	v_cmpx_gt_i32_e32 0x47, v1
; %bb.416:                              ;   in Loop: Header=BB19_12 Depth=1
	v_cmp_eq_u32_e32 vcc_lo, 0, v1
	s_or_not1_b32 s4, vcc_lo, exec_lo
; %bb.417:                              ;   in Loop: Header=BB19_12 Depth=1
	s_or_b32 exec_lo, exec_lo, s5
	s_delay_alu instid0(SALU_CYCLE_1)
	s_and_b32 exec_lo, exec_lo, s4
	s_cbranch_execz .LBB19_10
; %bb.418:                              ;   in Loop: Header=BB19_12 Depth=1
	scratch_load_b32 v0, off, off offset:788 ; 4-byte Folded Reload
	s_waitcnt vmcnt(0)
	v_dual_mov_b32 v1, 0x47 :: v_dual_add_nc_u32 v0, s33, v0
	s_delay_alu instid0(VALU_DEP_1) | instskip(SKIP_1) | instid1(SALU_CYCLE_1)
	v_cmp_gt_i32_e32 vcc_lo, s28, v0
	s_and_b32 s4, vcc_lo, s3
	s_and_saveexec_b32 s5, s4
	s_cbranch_execz .LBB19_420
; %bb.419:                              ;   in Loop: Header=BB19_12 Depth=1
	s_clause 0x1
	scratch_load_b32 v1, off, off offset:824
	scratch_load_b32 v2, off, off offset:820
	s_waitcnt vmcnt(1)
	v_add_nc_u32_e32 v1, 0xc0, v1
	s_waitcnt vmcnt(0)
	v_add_nc_u32_e32 v5, 0, v2
	ds_load_2addr_stride64_b32 v[1:2], v1 offset1:15
	ds_load_2addr_b32 v[3:4], v5 offset0:56 offset1:57
	ds_load_b32 v5, v5 offset:4064
	scratch_load_b64 v[11:12], off, off offset:340 ; 8-byte Folded Reload
	s_waitcnt lgkmcnt(1)
	v_fma_mix_f32 v6, v3, v1, 0 op_sel_hi:[0,1,0]
	v_fma_mix_f32 v1, v3, v1, 0 op_sel:[0,1,0] op_sel_hi:[0,1,0]
	s_waitcnt lgkmcnt(0)
	s_delay_alu instid0(VALU_DEP_2) | instskip(NEXT) | instid1(VALU_DEP_2)
	v_fma_mix_f32 v3, v5, v2, v6 op_sel_hi:[0,1,0]
	v_fma_mix_f32 v5, v5, v2, v1 op_sel:[0,1,0] op_sel_hi:[0,1,0]
	s_delay_alu instid0(VALU_DEP_2) | instskip(NEXT) | instid1(VALU_DEP_2)
	v_div_scale_f32 v6, null, v4, v4, v3
	v_div_scale_f32 v7, null, v4, v4, v5
	s_delay_alu instid0(VALU_DEP_2) | instskip(NEXT) | instid1(VALU_DEP_1)
	v_rcp_f32_e32 v8, v6
	v_rcp_f32_e32 v9, v7
	s_waitcnt_depctr 0xfff
	v_fma_f32 v10, -v6, v8, 1.0
	s_delay_alu instid0(VALU_DEP_1)
	v_fmac_f32_e32 v8, v10, v8
	v_div_scale_f32 v10, s4, v5, v4, v5
	s_waitcnt vmcnt(0)
	v_mad_u64_u32 v[1:2], null, v0, s29, v[11:12]
	v_fma_f32 v0, -v7, v9, 1.0
	v_div_scale_f32 v2, vcc_lo, v3, v4, v3
	s_delay_alu instid0(VALU_DEP_2) | instskip(NEXT) | instid1(VALU_DEP_4)
	v_fmac_f32_e32 v9, v0, v9
	v_mul_lo_u32 v0, v1, 56
	s_delay_alu instid0(VALU_DEP_2) | instskip(NEXT) | instid1(VALU_DEP_1)
	v_mul_f32_e32 v12, v10, v9
	v_fma_f32 v13, -v7, v12, v10
	s_delay_alu instid0(VALU_DEP_1) | instskip(SKIP_2) | instid1(VALU_DEP_1)
	v_dual_mul_f32 v11, v2, v8 :: v_dual_fmac_f32 v12, v13, v9
	scratch_load_b32 v13, off, off offset:556 ; 4-byte Folded Reload
	v_fma_f32 v1, -v6, v11, v2
	v_fmac_f32_e32 v11, v1, v8
	v_ashrrev_i32_e32 v1, 31, v0
	s_delay_alu instid0(VALU_DEP_2) | instskip(NEXT) | instid1(VALU_DEP_2)
	v_fma_f32 v2, -v6, v11, v2
	v_or_b32_e32 v1, 0, v1
	v_fma_f32 v6, -v7, v12, v10
	s_delay_alu instid0(VALU_DEP_3) | instskip(SKIP_1) | instid1(VALU_DEP_2)
	v_div_fmas_f32 v2, v2, v8, v11
	s_mov_b32 vcc_lo, s4
	v_div_fmas_f32 v6, v6, v9, v12
	s_delay_alu instid0(VALU_DEP_2) | instskip(NEXT) | instid1(VALU_DEP_2)
	v_div_fixup_f32 v2, v2, v4, v3
	v_div_fixup_f32 v3, v6, v4, v5
	s_waitcnt vmcnt(0)
	v_or_b32_e32 v0, v0, v13
	s_delay_alu instid0(VALU_DEP_1) | instskip(NEXT) | instid1(VALU_DEP_1)
	v_lshlrev_b64 v[0:1], 3, v[0:1]
	v_add_co_u32 v4, vcc_lo, s59, v0
	s_delay_alu instid0(VALU_DEP_2)
	v_add_co_ci_u32_e32 v5, vcc_lo, s77, v1, vcc_lo
	v_mov_b32_e32 v1, 0
	global_store_b64 v[4:5], v[2:3], off offset:384
.LBB19_420:                             ;   in Loop: Header=BB19_12 Depth=1
	s_or_b32 exec_lo, exec_lo, s5
	s_mov_b32 s4, -1
	s_mov_b32 s5, exec_lo
	v_cmpx_gt_i32_e32 0x47, v1
; %bb.421:                              ;   in Loop: Header=BB19_12 Depth=1
	v_cmp_eq_u32_e32 vcc_lo, 0, v1
	s_or_not1_b32 s4, vcc_lo, exec_lo
; %bb.422:                              ;   in Loop: Header=BB19_12 Depth=1
	s_or_b32 exec_lo, exec_lo, s5
	s_delay_alu instid0(SALU_CYCLE_1)
	s_and_b32 exec_lo, exec_lo, s4
	s_cbranch_execz .LBB19_10
; %bb.423:                              ;   in Loop: Header=BB19_12 Depth=1
	scratch_load_b32 v0, off, off offset:828 ; 4-byte Folded Reload
	s_waitcnt vmcnt(0)
	v_add_nc_u32_e32 v0, s33, v0
	s_delay_alu instid0(VALU_DEP_1) | instskip(SKIP_1) | instid1(SALU_CYCLE_1)
	v_cmp_gt_i32_e32 vcc_lo, s28, v0
	s_and_b32 s3, vcc_lo, s3
	s_and_b32 exec_lo, exec_lo, s3
	s_cbranch_execz .LBB19_10
; %bb.424:                              ;   in Loop: Header=BB19_12 Depth=1
	s_clause 0x1
	scratch_load_b32 v1, off, off offset:872
	scratch_load_b32 v2, off, off offset:868
	s_waitcnt vmcnt(1)
	v_add_nc_u32_e32 v1, 0xc0, v1
	s_waitcnt vmcnt(0)
	v_add_nc_u32_e32 v5, 0, v2
	ds_load_2addr_stride64_b32 v[1:2], v1 offset1:15
	ds_load_2addr_b32 v[3:4], v5 offset0:56 offset1:57
	ds_load_b32 v5, v5 offset:4064
	scratch_load_b64 v[11:12], off, off offset:340 ; 8-byte Folded Reload
	s_waitcnt lgkmcnt(1)
	v_fma_mix_f32 v6, v3, v1, 0 op_sel_hi:[0,1,0]
	v_fma_mix_f32 v1, v3, v1, 0 op_sel:[0,1,0] op_sel_hi:[0,1,0]
	s_waitcnt lgkmcnt(0)
	s_delay_alu instid0(VALU_DEP_2) | instskip(NEXT) | instid1(VALU_DEP_2)
	v_fma_mix_f32 v3, v5, v2, v6 op_sel_hi:[0,1,0]
	v_fma_mix_f32 v5, v5, v2, v1 op_sel:[0,1,0] op_sel_hi:[0,1,0]
	s_delay_alu instid0(VALU_DEP_2) | instskip(NEXT) | instid1(VALU_DEP_2)
	v_div_scale_f32 v6, null, v4, v4, v3
	v_div_scale_f32 v7, null, v4, v4, v5
	s_delay_alu instid0(VALU_DEP_2) | instskip(NEXT) | instid1(VALU_DEP_1)
	v_rcp_f32_e32 v8, v6
	v_rcp_f32_e32 v9, v7
	s_waitcnt_depctr 0xfff
	v_fma_f32 v10, -v6, v8, 1.0
	s_delay_alu instid0(VALU_DEP_1)
	v_fmac_f32_e32 v8, v10, v8
	v_div_scale_f32 v10, s3, v5, v4, v5
	s_waitcnt vmcnt(0)
	v_mad_u64_u32 v[1:2], null, v0, s29, v[11:12]
	v_fma_f32 v0, -v7, v9, 1.0
	v_div_scale_f32 v2, vcc_lo, v3, v4, v3
	s_delay_alu instid0(VALU_DEP_2) | instskip(NEXT) | instid1(VALU_DEP_4)
	v_fmac_f32_e32 v9, v0, v9
	v_mul_lo_u32 v0, v1, 56
	s_delay_alu instid0(VALU_DEP_2) | instskip(NEXT) | instid1(VALU_DEP_1)
	v_mul_f32_e32 v12, v10, v9
	v_fma_f32 v13, -v7, v12, v10
	s_delay_alu instid0(VALU_DEP_1) | instskip(SKIP_2) | instid1(VALU_DEP_1)
	v_dual_mul_f32 v11, v2, v8 :: v_dual_fmac_f32 v12, v13, v9
	scratch_load_b32 v13, off, off offset:556 ; 4-byte Folded Reload
	v_fma_f32 v1, -v6, v11, v2
	v_fmac_f32_e32 v11, v1, v8
	v_ashrrev_i32_e32 v1, 31, v0
	s_delay_alu instid0(VALU_DEP_2) | instskip(NEXT) | instid1(VALU_DEP_2)
	v_fma_f32 v2, -v6, v11, v2
	v_or_b32_e32 v1, 0, v1
	v_fma_f32 v6, -v7, v12, v10
	s_delay_alu instid0(VALU_DEP_3) | instskip(SKIP_1) | instid1(VALU_DEP_2)
	v_div_fmas_f32 v2, v2, v8, v11
	s_mov_b32 vcc_lo, s3
	v_div_fmas_f32 v6, v6, v9, v12
	s_delay_alu instid0(VALU_DEP_2) | instskip(NEXT) | instid1(VALU_DEP_2)
	v_div_fixup_f32 v2, v2, v4, v3
	v_div_fixup_f32 v3, v6, v4, v5
	s_waitcnt vmcnt(0)
	v_or_b32_e32 v0, v0, v13
	s_delay_alu instid0(VALU_DEP_1) | instskip(NEXT) | instid1(VALU_DEP_1)
	v_lshlrev_b64 v[0:1], 3, v[0:1]
	v_add_co_u32 v0, vcc_lo, s59, v0
	s_delay_alu instid0(VALU_DEP_2)
	v_add_co_ci_u32_e32 v1, vcc_lo, s77, v1, vcc_lo
	global_store_b64 v[0:1], v[2:3], off offset:384
	s_branch .LBB19_10
.LBB19_425:
	s_clause 0x8
	scratch_load_b32 v189, off, off offset:836
	scratch_load_b32 v191, off, off offset:840
	;; [unrolled: 1-line block ×8, first 2 shown]
	scratch_load_b64 v[232:233], off, off offset:468
	v_readlane_b32 s24, v255, 3
	v_readlane_b32 s15, v255, 4
	v_readlane_b32 s12, v255, 9
	v_readlane_b32 s16, v255, 5
	v_lshlrev_b32_e32 v192, 1, v214
	v_readlane_b32 s17, v255, 6
	s_and_not1_b32 vcc_lo, exec_lo, s3
	s_cbranch_vccnz .LBB19_8
.LBB19_426:
	s_abs_i32 s0, s88
	s_abs_i32 s3, s68
	v_cvt_f32_u32_e32 v0, s0
	s_sub_i32 s2, 0, s0
	v_readlane_b32 s10, v255, 0
	v_mov_b32_e32 v56, s9
	s_delay_alu instid0(VALU_DEP_3) | instskip(SKIP_2) | instid1(VALU_DEP_1)
	v_rcp_iflag_f32_e32 v0, v0
	s_waitcnt_depctr 0xfff
	v_mul_f32_e32 v0, 0x4f7ffffe, v0
	v_cvt_u32_f32_e32 v0, v0
	s_delay_alu instid0(VALU_DEP_1) | instskip(NEXT) | instid1(VALU_DEP_1)
	v_readfirstlane_b32 s1, v0
	s_mul_i32 s2, s2, s1
	s_delay_alu instid0(SALU_CYCLE_1) | instskip(NEXT) | instid1(SALU_CYCLE_1)
	s_mul_hi_u32 s2, s1, s2
	s_add_i32 s1, s1, s2
	s_xor_b32 s2, s68, s88
	s_mul_hi_u32 s1, s3, s1
	s_ashr_i32 s2, s2, 31
	s_mul_i32 s4, s1, s0
	s_delay_alu instid0(SALU_CYCLE_1)
	s_sub_i32 s3, s3, s4
	s_add_i32 s4, s1, 1
	s_sub_i32 s5, s3, s0
	s_cmp_ge_u32 s3, s0
	s_cselect_b32 s1, s4, s1
	s_cselect_b32 s3, s5, s3
	s_add_i32 s4, s1, 1
	s_cmp_ge_u32 s3, s0
	s_cselect_b32 s0, s4, s1
	s_abs_i32 s1, s87
	s_xor_b32 s0, s0, s2
	v_cvt_f32_u32_e32 v0, s1
	s_sub_i32 s2, s0, s2
	s_sub_i32 s0, 0, s1
	s_mul_i32 s4, s2, s88
	s_delay_alu instid0(VALU_DEP_1) | instskip(SKIP_1) | instid1(SALU_CYCLE_1)
	v_rcp_iflag_f32_e32 v0, v0
	s_sub_i32 s4, s68, s4
	s_abs_i32 s5, s4
	s_waitcnt_depctr 0xfff
	v_mul_f32_e32 v0, 0x4f7ffffe, v0
	s_delay_alu instid0(VALU_DEP_1) | instskip(NEXT) | instid1(VALU_DEP_1)
	v_cvt_u32_f32_e32 v0, v0
	v_readfirstlane_b32 s3, v0
	s_delay_alu instid0(VALU_DEP_1) | instskip(NEXT) | instid1(SALU_CYCLE_1)
	s_mul_i32 s0, s0, s3
	s_mul_hi_u32 s0, s3, s0
	s_delay_alu instid0(SALU_CYCLE_1) | instskip(NEXT) | instid1(SALU_CYCLE_1)
	s_add_i32 s3, s3, s0
	s_mul_hi_u32 s0, s5, s3
	s_xor_b32 s3, s4, s87
	s_mul_i32 s6, s0, s1
	s_ashr_i32 s3, s3, 31
	s_sub_i32 s5, s5, s6
	s_add_i32 s6, s0, 1
	s_sub_i32 s7, s5, s1
	s_cmp_ge_u32 s5, s1
	s_cselect_b32 s0, s6, s0
	s_cselect_b32 s5, s7, s5
	s_add_i32 s6, s0, 1
	s_cmp_ge_u32 s5, s1
	s_cselect_b32 s0, s6, s0
	s_abs_i32 s1, s10
	s_xor_b32 s0, s0, s3
	v_cvt_f32_u32_e32 v0, s1
	s_sub_i32 s3, s0, s3
	s_sub_i32 s0, 0, s1
	s_mul_i32 s6, s3, s87
	s_delay_alu instid0(VALU_DEP_1) | instskip(SKIP_1) | instid1(SALU_CYCLE_1)
	v_rcp_iflag_f32_e32 v0, v0
	s_sub_i32 s4, s4, s6
	s_abs_i32 s6, s4
	s_waitcnt_depctr 0xfff
	v_mul_f32_e32 v0, 0x4f7ffffe, v0
	s_delay_alu instid0(VALU_DEP_1) | instskip(NEXT) | instid1(VALU_DEP_1)
	v_cvt_u32_f32_e32 v0, v0
	v_readfirstlane_b32 s5, v0
	s_delay_alu instid0(VALU_DEP_1) | instskip(NEXT) | instid1(SALU_CYCLE_1)
	s_mul_i32 s0, s0, s5
	s_mul_hi_u32 s0, s5, s0
	s_delay_alu instid0(SALU_CYCLE_1) | instskip(NEXT) | instid1(SALU_CYCLE_1)
	s_add_i32 s5, s5, s0
	s_mul_hi_u32 s0, s6, s5
	s_xor_b32 s5, s4, s10
	s_mul_i32 s7, s0, s1
	s_ashr_i32 s5, s5, 31
	s_sub_i32 s6, s6, s7
	s_add_i32 s7, s0, 1
	s_sub_i32 s8, s6, s1
	s_cmp_ge_u32 s6, s1
	s_cselect_b32 s0, s7, s0
	s_cselect_b32 s6, s8, s6
	s_add_i32 s7, s0, 1
	s_cmp_ge_u32 s6, s1
	s_cselect_b32 s0, s7, s0
	s_delay_alu instid0(SALU_CYCLE_1) | instskip(NEXT) | instid1(SALU_CYCLE_1)
	s_xor_b32 s0, s0, s5
	s_sub_i32 s0, s0, s5
	s_delay_alu instid0(SALU_CYCLE_1) | instskip(NEXT) | instid1(SALU_CYCLE_1)
	s_mul_i32 s1, s0, s10
	s_sub_i32 s1, s4, s1
	s_delay_alu instid0(SALU_CYCLE_1) | instskip(SKIP_4) | instid1(SALU_CYCLE_1)
	s_abs_i32 s4, s1
	s_ashr_i32 s1, s1, 31
	s_mul_hi_u32 s5, s4, s92
	s_xor_b32 s1, s1, s91
	s_mul_i32 s6, s5, s90
	s_sub_i32 s4, s4, s6
	s_add_i32 s6, s5, 1
	s_sub_i32 s7, s4, s90
	s_cmp_ge_u32 s4, s90
	s_cselect_b32 s5, s6, s5
	s_cselect_b32 s4, s7, s4
	s_add_i32 s6, s5, 1
	s_cmp_ge_u32 s4, s90
	s_cselect_b32 s5, s6, s5
	s_abs_i32 s4, s16
	s_xor_b32 s5, s5, s1
	v_cvt_f32_u32_e32 v0, s4
	s_sub_i32 s1, s5, s1
	s_cmp_eq_u64 s[46:47], 0
	s_delay_alu instid0(VALU_DEP_1) | instskip(SKIP_2) | instid1(VALU_DEP_1)
	v_rcp_iflag_f32_e32 v0, v0
	s_waitcnt_depctr 0xfff
	v_mul_f32_e32 v0, 0x4f7ffffe, v0
	v_cvt_u32_f32_e32 v0, v0
	s_delay_alu instid0(VALU_DEP_1)
	v_readfirstlane_b32 s7, v0
	s_cbranch_scc1 .LBB19_428
; %bb.427:
	s_mul_i32 s5, s2, s85
	v_mov_b32_e32 v0, 0
	s_add_i32 s10, s1, s5
	s_delay_alu instid0(SALU_CYCLE_1) | instskip(NEXT) | instid1(SALU_CYCLE_1)
	s_ashr_i32 s11, s10, 31
	s_lshl_b64 s[10:11], s[10:11], 2
	s_delay_alu instid0(SALU_CYCLE_1) | instskip(SKIP_4) | instid1(VALU_DEP_1)
	s_add_u32 s10, s46, s10
	s_addc_u32 s11, s47, s11
	global_load_b32 v0, v0, s[10:11]
	s_waitcnt vmcnt(0)
	v_ashrrev_i32_e32 v1, 31, v0
	v_lshrrev_b32_e32 v1, 26, v1
	s_delay_alu instid0(VALU_DEP_1) | instskip(NEXT) | instid1(VALU_DEP_1)
	v_add_nc_u32_e32 v0, v0, v1
	v_ashrrev_i32_e32 v0, 6, v0
	s_delay_alu instid0(VALU_DEP_1)
	v_min_i32_e32 v56, s9, v0
.LBB19_428:
	scratch_load_b32 v0, off, off offset:364 ; 4-byte Folded Reload
	s_mul_i32 s5, s3, s84
	s_lshl_b32 s8, s0, 2
	s_mul_i32 s0, s2, s67
	s_add_i32 s5, s8, s5
	s_ashr_i32 s6, s0, 31
	s_mul_i32 s5, s5, s66
	s_add_u32 s0, s36, s0
	s_addc_u32 s6, s37, s6
	s_ashr_i32 s9, s5, 31
	s_add_u32 s5, s0, s5
	s_addc_u32 s6, s6, s9
	s_lshl_b32 s1, s1, 3
	v_or_b32_e32 v1, s8, v238
	s_delay_alu instid0(VALU_DEP_1) | instskip(SKIP_3) | instid1(VALU_DEP_1)
	v_cmp_gt_i32_e32 vcc_lo, s84, v1
	s_xor_b32 s9, vcc_lo, -1
	s_waitcnt vmcnt(0)
	v_add_nc_u32_e32 v0, s1, v0
	v_cmp_le_i32_e64 s0, s28, v0
	s_delay_alu instid0(VALU_DEP_1) | instskip(NEXT) | instid1(SALU_CYCLE_1)
	s_or_b32 s0, s0, s9
	s_and_saveexec_b32 s10, s0
	s_delay_alu instid0(SALU_CYCLE_1)
	s_xor_b32 s0, exec_lo, s10
	s_cbranch_execz .LBB19_430
; %bb.429:
	v_mad_u32_u24 v0, v214, 60, v232
	v_mov_b32_e32 v1, 0
	s_delay_alu instid0(VALU_DEP_2)
	v_lshl_add_u32 v0, v0, 2, 0
	ds_store_b32 v0, v1
                                        ; implicit-def: $vgpr0
.LBB19_430:
	s_and_not1_saveexec_b32 s0, s0
	s_cbranch_execz .LBB19_432
; %bb.431:
	v_mul_lo_u32 v0, v0, s69
	v_mul_lo_u32 v1, v238, s12
	s_delay_alu instid0(VALU_DEP_1) | instskip(NEXT) | instid1(VALU_DEP_1)
	v_add3_u32 v0, v1, v232, v0
	v_ashrrev_i32_e32 v1, 31, v0
	s_delay_alu instid0(VALU_DEP_1) | instskip(NEXT) | instid1(VALU_DEP_1)
	v_lshlrev_b64 v[0:1], 3, v[0:1]
	v_add_co_u32 v0, vcc_lo, s5, v0
	s_delay_alu instid0(VALU_DEP_2) | instskip(SKIP_4) | instid1(VALU_DEP_1)
	v_add_co_ci_u32_e32 v1, vcc_lo, s6, v1, vcc_lo
	global_load_b64 v[0:1], v[0:1], off
	s_waitcnt vmcnt(0)
	v_cvt_f16_f32_e32 v0, v0
	v_cvt_f16_f32_e32 v1, v1
	v_pack_b32_f16 v0, v0, v1
	v_mad_u32_u24 v1, v214, 60, v232
	s_delay_alu instid0(VALU_DEP_2) | instskip(NEXT) | instid1(VALU_DEP_2)
	v_pk_mul_f16 v0, v216, v0
	v_lshl_add_u32 v1, v1, 2, 0
	ds_store_b32 v1, v0
.LBB19_432:
	s_or_b32 exec_lo, exec_lo, s0
	v_lshrrev_b32_e32 v0, 2, v116
	s_delay_alu instid0(VALU_DEP_1) | instskip(NEXT) | instid1(VALU_DEP_1)
	v_add_nc_u32_e32 v0, s1, v0
	v_cmp_le_i32_e32 vcc_lo, s28, v0
	s_or_b32 s0, vcc_lo, s9
	s_delay_alu instid0(SALU_CYCLE_1) | instskip(NEXT) | instid1(SALU_CYCLE_1)
	s_and_saveexec_b32 s10, s0
	s_xor_b32 s0, exec_lo, s10
	s_cbranch_execz .LBB19_434
; %bb.433:
	v_mad_u32_u24 v0, v116, 60, v232
	v_mov_b32_e32 v1, 0
	s_delay_alu instid0(VALU_DEP_2)
	v_lshl_add_u32 v0, v0, 2, 0
	ds_store_b32 v0, v1
                                        ; implicit-def: $vgpr0
.LBB19_434:
	s_and_not1_saveexec_b32 s0, s0
	s_cbranch_execz .LBB19_436
; %bb.435:
	v_mul_lo_u32 v0, v0, s69
	v_mul_lo_u32 v1, v238, s12
	s_delay_alu instid0(VALU_DEP_1) | instskip(NEXT) | instid1(VALU_DEP_1)
	v_add3_u32 v0, v1, v232, v0
	v_ashrrev_i32_e32 v1, 31, v0
	s_delay_alu instid0(VALU_DEP_1) | instskip(NEXT) | instid1(VALU_DEP_1)
	v_lshlrev_b64 v[0:1], 3, v[0:1]
	v_add_co_u32 v0, vcc_lo, s5, v0
	s_delay_alu instid0(VALU_DEP_2) | instskip(SKIP_4) | instid1(VALU_DEP_1)
	v_add_co_ci_u32_e32 v1, vcc_lo, s6, v1, vcc_lo
	global_load_b64 v[0:1], v[0:1], off
	s_waitcnt vmcnt(0)
	v_cvt_f16_f32_e32 v0, v0
	v_cvt_f16_f32_e32 v1, v1
	v_pack_b32_f16 v0, v0, v1
	v_mad_u32_u24 v1, v116, 60, v232
	s_delay_alu instid0(VALU_DEP_2) | instskip(NEXT) | instid1(VALU_DEP_2)
	v_pk_mul_f16 v0, v216, v0
	v_lshl_add_u32 v1, v1, 2, 0
	ds_store_b32 v1, v0
.LBB19_436:
	s_or_b32 exec_lo, exec_lo, s0
	v_lshrrev_b32_e32 v0, 2, v97
	s_delay_alu instid0(VALU_DEP_1) | instskip(NEXT) | instid1(VALU_DEP_1)
	v_add_nc_u32_e32 v0, s1, v0
	v_cmp_le_i32_e32 vcc_lo, s28, v0
	s_or_b32 s0, vcc_lo, s9
	s_delay_alu instid0(SALU_CYCLE_1) | instskip(NEXT) | instid1(SALU_CYCLE_1)
	s_and_saveexec_b32 s10, s0
	s_xor_b32 s0, exec_lo, s10
	s_cbranch_execz .LBB19_438
; %bb.437:
	v_mad_u32_u24 v0, v97, 60, v232
	v_mov_b32_e32 v1, 0
                                        ; implicit-def: $vgpr97
	s_delay_alu instid0(VALU_DEP_2)
	v_lshl_add_u32 v0, v0, 2, 0
	ds_store_b32 v0, v1
                                        ; implicit-def: $vgpr0
.LBB19_438:
	s_and_not1_saveexec_b32 s0, s0
	s_cbranch_execz .LBB19_440
; %bb.439:
	v_mul_lo_u32 v0, v0, s69
	v_mul_lo_u32 v1, v238, s12
	s_delay_alu instid0(VALU_DEP_1) | instskip(NEXT) | instid1(VALU_DEP_1)
	v_add3_u32 v0, v1, v232, v0
	v_ashrrev_i32_e32 v1, 31, v0
	s_delay_alu instid0(VALU_DEP_1) | instskip(NEXT) | instid1(VALU_DEP_1)
	v_lshlrev_b64 v[0:1], 3, v[0:1]
	v_add_co_u32 v0, vcc_lo, s5, v0
	s_delay_alu instid0(VALU_DEP_2) | instskip(SKIP_4) | instid1(VALU_DEP_1)
	v_add_co_ci_u32_e32 v1, vcc_lo, s6, v1, vcc_lo
	global_load_b64 v[0:1], v[0:1], off
	s_waitcnt vmcnt(0)
	v_cvt_f16_f32_e32 v0, v0
	v_cvt_f16_f32_e32 v1, v1
	v_pack_b32_f16 v0, v0, v1
	v_mad_u32_u24 v1, v97, 60, v232
	s_delay_alu instid0(VALU_DEP_2) | instskip(NEXT) | instid1(VALU_DEP_2)
	v_pk_mul_f16 v0, v216, v0
	v_lshl_add_u32 v1, v1, 2, 0
	ds_store_b32 v1, v0
.LBB19_440:
	s_or_b32 exec_lo, exec_lo, s0
	v_lshrrev_b32_e32 v0, 2, v96
	s_delay_alu instid0(VALU_DEP_1) | instskip(NEXT) | instid1(VALU_DEP_1)
	v_add_nc_u32_e32 v0, s1, v0
	v_cmp_le_i32_e32 vcc_lo, s28, v0
	s_or_b32 s0, vcc_lo, s9
	s_delay_alu instid0(SALU_CYCLE_1) | instskip(NEXT) | instid1(SALU_CYCLE_1)
	s_and_saveexec_b32 s10, s0
	s_xor_b32 s0, exec_lo, s10
	s_cbranch_execz .LBB19_442
; %bb.441:
	v_mad_u32_u24 v0, v96, 60, v232
	v_mov_b32_e32 v1, 0
                                        ; implicit-def: $vgpr96
	s_delay_alu instid0(VALU_DEP_2)
	v_lshl_add_u32 v0, v0, 2, 0
	ds_store_b32 v0, v1
                                        ; implicit-def: $vgpr0
.LBB19_442:
	s_and_not1_saveexec_b32 s0, s0
	s_cbranch_execz .LBB19_444
; %bb.443:
	v_mul_lo_u32 v0, v0, s69
	v_mul_lo_u32 v1, v238, s12
	s_delay_alu instid0(VALU_DEP_1) | instskip(NEXT) | instid1(VALU_DEP_1)
	v_add3_u32 v0, v1, v232, v0
	v_ashrrev_i32_e32 v1, 31, v0
	s_delay_alu instid0(VALU_DEP_1) | instskip(NEXT) | instid1(VALU_DEP_1)
	v_lshlrev_b64 v[0:1], 3, v[0:1]
	v_add_co_u32 v0, vcc_lo, s5, v0
	s_delay_alu instid0(VALU_DEP_2) | instskip(SKIP_4) | instid1(VALU_DEP_1)
	v_add_co_ci_u32_e32 v1, vcc_lo, s6, v1, vcc_lo
	global_load_b64 v[0:1], v[0:1], off
	s_waitcnt vmcnt(0)
	v_cvt_f16_f32_e32 v0, v0
	v_cvt_f16_f32_e32 v1, v1
	v_pack_b32_f16 v0, v0, v1
	v_mad_u32_u24 v1, v96, 60, v232
	s_delay_alu instid0(VALU_DEP_2) | instskip(NEXT) | instid1(VALU_DEP_2)
	v_pk_mul_f16 v0, v216, v0
	v_lshl_add_u32 v1, v1, 2, 0
	ds_store_b32 v1, v0
.LBB19_444:
	s_or_b32 exec_lo, exec_lo, s0
	v_lshrrev_b32_e32 v0, 2, v95
	s_delay_alu instid0(VALU_DEP_1) | instskip(NEXT) | instid1(VALU_DEP_1)
	v_add_nc_u32_e32 v0, s1, v0
	v_cmp_le_i32_e32 vcc_lo, s28, v0
	s_or_b32 s0, vcc_lo, s9
	s_delay_alu instid0(SALU_CYCLE_1) | instskip(NEXT) | instid1(SALU_CYCLE_1)
	s_and_saveexec_b32 s10, s0
	s_xor_b32 s0, exec_lo, s10
	s_cbranch_execz .LBB19_446
; %bb.445:
	v_mad_u32_u24 v0, v95, 60, v232
	v_mov_b32_e32 v1, 0
                                        ; implicit-def: $vgpr95
	s_delay_alu instid0(VALU_DEP_2)
	v_lshl_add_u32 v0, v0, 2, 0
	ds_store_b32 v0, v1
                                        ; implicit-def: $vgpr0
.LBB19_446:
	s_and_not1_saveexec_b32 s0, s0
	s_cbranch_execz .LBB19_448
; %bb.447:
	v_mul_lo_u32 v0, v0, s69
	v_mul_lo_u32 v1, v238, s12
	s_delay_alu instid0(VALU_DEP_1) | instskip(NEXT) | instid1(VALU_DEP_1)
	v_add3_u32 v0, v1, v232, v0
	v_ashrrev_i32_e32 v1, 31, v0
	s_delay_alu instid0(VALU_DEP_1) | instskip(NEXT) | instid1(VALU_DEP_1)
	v_lshlrev_b64 v[0:1], 3, v[0:1]
	v_add_co_u32 v0, vcc_lo, s5, v0
	s_delay_alu instid0(VALU_DEP_2) | instskip(SKIP_4) | instid1(VALU_DEP_1)
	v_add_co_ci_u32_e32 v1, vcc_lo, s6, v1, vcc_lo
	global_load_b64 v[0:1], v[0:1], off
	s_waitcnt vmcnt(0)
	v_cvt_f16_f32_e32 v0, v0
	v_cvt_f16_f32_e32 v1, v1
	v_pack_b32_f16 v0, v0, v1
	v_mad_u32_u24 v1, v95, 60, v232
	s_delay_alu instid0(VALU_DEP_2) | instskip(NEXT) | instid1(VALU_DEP_2)
	v_pk_mul_f16 v0, v216, v0
	v_lshl_add_u32 v1, v1, 2, 0
	ds_store_b32 v1, v0
.LBB19_448:
	s_or_b32 exec_lo, exec_lo, s0
	v_lshrrev_b32_e32 v0, 2, v94
	s_delay_alu instid0(VALU_DEP_1) | instskip(NEXT) | instid1(VALU_DEP_1)
	v_add_nc_u32_e32 v0, s1, v0
	v_cmp_le_i32_e32 vcc_lo, s28, v0
	s_or_b32 s0, vcc_lo, s9
	s_delay_alu instid0(SALU_CYCLE_1) | instskip(NEXT) | instid1(SALU_CYCLE_1)
	s_and_saveexec_b32 s10, s0
	s_xor_b32 s0, exec_lo, s10
	s_cbranch_execz .LBB19_450
; %bb.449:
	v_mad_u32_u24 v0, v94, 60, v232
	v_mov_b32_e32 v1, 0
                                        ; implicit-def: $vgpr94
	s_delay_alu instid0(VALU_DEP_2)
	v_lshl_add_u32 v0, v0, 2, 0
	ds_store_b32 v0, v1
                                        ; implicit-def: $vgpr0
.LBB19_450:
	s_and_not1_saveexec_b32 s0, s0
	s_cbranch_execz .LBB19_452
; %bb.451:
	v_mul_lo_u32 v0, v0, s69
	v_mul_lo_u32 v1, v238, s12
	s_delay_alu instid0(VALU_DEP_1) | instskip(NEXT) | instid1(VALU_DEP_1)
	v_add3_u32 v0, v1, v232, v0
	v_ashrrev_i32_e32 v1, 31, v0
	s_delay_alu instid0(VALU_DEP_1) | instskip(NEXT) | instid1(VALU_DEP_1)
	v_lshlrev_b64 v[0:1], 3, v[0:1]
	v_add_co_u32 v0, vcc_lo, s5, v0
	s_delay_alu instid0(VALU_DEP_2) | instskip(SKIP_4) | instid1(VALU_DEP_1)
	v_add_co_ci_u32_e32 v1, vcc_lo, s6, v1, vcc_lo
	global_load_b64 v[0:1], v[0:1], off
	s_waitcnt vmcnt(0)
	v_cvt_f16_f32_e32 v0, v0
	v_cvt_f16_f32_e32 v1, v1
	v_pack_b32_f16 v0, v0, v1
	v_mad_u32_u24 v1, v94, 60, v232
	s_delay_alu instid0(VALU_DEP_2) | instskip(NEXT) | instid1(VALU_DEP_2)
	v_pk_mul_f16 v0, v216, v0
	v_lshl_add_u32 v1, v1, 2, 0
	ds_store_b32 v1, v0
.LBB19_452:
	s_or_b32 exec_lo, exec_lo, s0
	v_lshrrev_b32_e32 v0, 2, v93
	s_delay_alu instid0(VALU_DEP_1) | instskip(NEXT) | instid1(VALU_DEP_1)
	v_add_nc_u32_e32 v0, s1, v0
	v_cmp_le_i32_e32 vcc_lo, s28, v0
	s_or_b32 s0, vcc_lo, s9
	s_delay_alu instid0(SALU_CYCLE_1) | instskip(NEXT) | instid1(SALU_CYCLE_1)
	s_and_saveexec_b32 s10, s0
	s_xor_b32 s0, exec_lo, s10
	s_cbranch_execz .LBB19_454
; %bb.453:
	v_mad_u32_u24 v0, v93, 60, v232
	v_mov_b32_e32 v1, 0
                                        ; implicit-def: $vgpr93
	s_delay_alu instid0(VALU_DEP_2)
	v_lshl_add_u32 v0, v0, 2, 0
	ds_store_b32 v0, v1
                                        ; implicit-def: $vgpr0
.LBB19_454:
	s_and_not1_saveexec_b32 s0, s0
	s_cbranch_execz .LBB19_456
; %bb.455:
	v_mul_lo_u32 v0, v0, s69
	v_mul_lo_u32 v1, v238, s12
	s_delay_alu instid0(VALU_DEP_1) | instskip(NEXT) | instid1(VALU_DEP_1)
	v_add3_u32 v0, v1, v232, v0
	v_ashrrev_i32_e32 v1, 31, v0
	s_delay_alu instid0(VALU_DEP_1) | instskip(NEXT) | instid1(VALU_DEP_1)
	v_lshlrev_b64 v[0:1], 3, v[0:1]
	v_add_co_u32 v0, vcc_lo, s5, v0
	s_delay_alu instid0(VALU_DEP_2) | instskip(SKIP_4) | instid1(VALU_DEP_1)
	v_add_co_ci_u32_e32 v1, vcc_lo, s6, v1, vcc_lo
	global_load_b64 v[0:1], v[0:1], off
	s_waitcnt vmcnt(0)
	v_cvt_f16_f32_e32 v0, v0
	v_cvt_f16_f32_e32 v1, v1
	v_pack_b32_f16 v0, v0, v1
	v_mad_u32_u24 v1, v93, 60, v232
	s_delay_alu instid0(VALU_DEP_2) | instskip(NEXT) | instid1(VALU_DEP_2)
	v_pk_mul_f16 v0, v216, v0
	v_lshl_add_u32 v1, v1, 2, 0
	ds_store_b32 v1, v0
.LBB19_456:
	s_or_b32 exec_lo, exec_lo, s0
	v_lshrrev_b32_e32 v0, 2, v92
	s_delay_alu instid0(VALU_DEP_1) | instskip(NEXT) | instid1(VALU_DEP_1)
	v_add_nc_u32_e32 v0, s1, v0
	v_cmp_le_i32_e32 vcc_lo, s28, v0
	s_or_b32 s0, vcc_lo, s9
	s_delay_alu instid0(SALU_CYCLE_1) | instskip(NEXT) | instid1(SALU_CYCLE_1)
	s_and_saveexec_b32 s9, s0
	s_xor_b32 s0, exec_lo, s9
	s_cbranch_execz .LBB19_458
; %bb.457:
	v_mad_u32_u24 v0, v92, 60, v232
	v_mov_b32_e32 v1, 0
                                        ; implicit-def: $vgpr238
                                        ; implicit-def: $vgpr92
	s_delay_alu instid0(VALU_DEP_2)
	v_lshl_add_u32 v0, v0, 2, 0
	ds_store_b32 v0, v1
                                        ; implicit-def: $vgpr0
.LBB19_458:
	s_and_not1_saveexec_b32 s0, s0
	s_cbranch_execz .LBB19_460
; %bb.459:
	v_mul_lo_u32 v0, v0, s69
	v_mul_lo_u32 v1, v238, s12
	s_delay_alu instid0(VALU_DEP_1) | instskip(NEXT) | instid1(VALU_DEP_1)
	v_add3_u32 v0, v1, v232, v0
	v_ashrrev_i32_e32 v1, 31, v0
	s_delay_alu instid0(VALU_DEP_1) | instskip(NEXT) | instid1(VALU_DEP_1)
	v_lshlrev_b64 v[0:1], 3, v[0:1]
	v_add_co_u32 v0, vcc_lo, s5, v0
	s_delay_alu instid0(VALU_DEP_2) | instskip(SKIP_4) | instid1(VALU_DEP_1)
	v_add_co_ci_u32_e32 v1, vcc_lo, s6, v1, vcc_lo
	global_load_b64 v[0:1], v[0:1], off
	s_waitcnt vmcnt(0)
	v_cvt_f16_f32_e32 v0, v0
	v_cvt_f16_f32_e32 v1, v1
	v_pack_b32_f16 v0, v0, v1
	v_mad_u32_u24 v1, v92, 60, v232
	s_delay_alu instid0(VALU_DEP_2) | instskip(NEXT) | instid1(VALU_DEP_2)
	v_pk_mul_f16 v0, v216, v0
	v_lshl_add_u32 v1, v1, 2, 0
	ds_store_b32 v1, v0
.LBB19_460:
	s_or_b32 exec_lo, exec_lo, s0
	v_lshrrev_b32_e32 v197, 4, v232
	v_and_b32_e32 v188, 15, v232
	s_delay_alu instid0(VALU_DEP_2) | instskip(NEXT) | instid1(VALU_DEP_1)
	v_add_nc_u32_e32 v2, v197, v192
	v_and_b32_e32 v0, 3, v2
	v_lshrrev_b32_e32 v1, 2, v2
	s_delay_alu instid0(VALU_DEP_2) | instskip(NEXT) | instid1(VALU_DEP_2)
	v_or_b32_e32 v4, s8, v0
	v_add_nc_u32_e32 v3, s1, v1
	s_delay_alu instid0(VALU_DEP_2) | instskip(NEXT) | instid1(VALU_DEP_2)
	v_cmp_gt_i32_e32 vcc_lo, s84, v4
	v_cmp_le_i32_e64 s0, s28, v3
	s_xor_b32 s9, vcc_lo, -1
	s_delay_alu instid0(VALU_DEP_1) | instid1(SALU_CYCLE_1)
	s_or_b32 s0, s0, s9
	s_delay_alu instid0(SALU_CYCLE_1) | instskip(NEXT) | instid1(SALU_CYCLE_1)
	s_and_saveexec_b32 s10, s0
	s_xor_b32 s0, exec_lo, s10
	s_cbranch_execz .LBB19_462
; %bb.461:
	v_mad_u32_u24 v1, v2, 60, v188
	v_mov_b32_e32 v3, 0
	s_delay_alu instid0(VALU_DEP_2)
	v_lshl_add_u32 v1, v1, 2, 0
	ds_store_b32 v1, v3 offset:128
                                        ; implicit-def: $vgpr3
.LBB19_462:
	s_or_saveexec_b32 s0, s0
	v_or_b32_e32 v1, 32, v188
	s_xor_b32 exec_lo, exec_lo, s0
	s_cbranch_execz .LBB19_464
; %bb.463:
	v_mul_lo_u32 v3, v3, s69
	v_mul_lo_u32 v4, v0, s12
	s_delay_alu instid0(VALU_DEP_1) | instskip(NEXT) | instid1(VALU_DEP_1)
	v_add3_u32 v3, v4, v1, v3
	v_ashrrev_i32_e32 v4, 31, v3
	s_delay_alu instid0(VALU_DEP_1) | instskip(NEXT) | instid1(VALU_DEP_1)
	v_lshlrev_b64 v[3:4], 3, v[3:4]
	v_add_co_u32 v3, vcc_lo, s5, v3
	s_delay_alu instid0(VALU_DEP_2) | instskip(SKIP_4) | instid1(VALU_DEP_1)
	v_add_co_ci_u32_e32 v4, vcc_lo, s6, v4, vcc_lo
	global_load_b64 v[3:4], v[3:4], off
	s_waitcnt vmcnt(0)
	v_cvt_f16_f32_e32 v3, v3
	v_cvt_f16_f32_e32 v4, v4
	v_pack_b32_f16 v3, v3, v4
	v_mad_u32_u24 v4, v2, 60, v188
	s_delay_alu instid0(VALU_DEP_2) | instskip(NEXT) | instid1(VALU_DEP_2)
	v_pk_mul_f16 v3, v216, v3
	v_lshl_add_u32 v4, v4, 2, 0
	ds_store_b32 v4, v3 offset:128
.LBB19_464:
	s_or_b32 exec_lo, exec_lo, s0
	v_add_nc_u32_e32 v3, 8, v2
	s_delay_alu instid0(VALU_DEP_1) | instskip(NEXT) | instid1(VALU_DEP_1)
	v_lshrrev_b32_e32 v4, 2, v3
	v_add_nc_u32_e32 v4, s1, v4
	s_delay_alu instid0(VALU_DEP_1) | instskip(SKIP_1) | instid1(SALU_CYCLE_1)
	v_cmp_le_i32_e32 vcc_lo, s28, v4
	s_or_b32 s0, vcc_lo, s9
	s_and_saveexec_b32 s10, s0
	s_delay_alu instid0(SALU_CYCLE_1)
	s_xor_b32 s0, exec_lo, s10
	s_cbranch_execz .LBB19_466
; %bb.465:
	v_mad_u32_u24 v3, v3, 60, v188
	v_mov_b32_e32 v4, 0
	s_delay_alu instid0(VALU_DEP_2)
	v_lshl_add_u32 v3, v3, 2, 0
	ds_store_b32 v3, v4 offset:128
                                        ; implicit-def: $vgpr4
                                        ; implicit-def: $vgpr3
.LBB19_466:
	s_and_not1_saveexec_b32 s0, s0
	s_cbranch_execz .LBB19_468
; %bb.467:
	v_mul_lo_u32 v4, v4, s69
	v_mul_lo_u32 v5, v0, s12
	v_mad_u32_u24 v3, v3, 60, v188
	s_delay_alu instid0(VALU_DEP_1) | instskip(NEXT) | instid1(VALU_DEP_3)
	v_lshl_add_u32 v3, v3, 2, 0
	v_add3_u32 v4, v5, v1, v4
	s_delay_alu instid0(VALU_DEP_1) | instskip(NEXT) | instid1(VALU_DEP_1)
	v_ashrrev_i32_e32 v5, 31, v4
	v_lshlrev_b64 v[4:5], 3, v[4:5]
	s_delay_alu instid0(VALU_DEP_1) | instskip(NEXT) | instid1(VALU_DEP_2)
	v_add_co_u32 v4, vcc_lo, s5, v4
	v_add_co_ci_u32_e32 v5, vcc_lo, s6, v5, vcc_lo
	global_load_b64 v[4:5], v[4:5], off
	s_waitcnt vmcnt(0)
	v_cvt_f16_f32_e32 v4, v4
	v_cvt_f16_f32_e32 v5, v5
	s_delay_alu instid0(VALU_DEP_1) | instskip(NEXT) | instid1(VALU_DEP_1)
	v_pack_b32_f16 v4, v4, v5
	v_pk_mul_f16 v4, v216, v4
	ds_store_b32 v3, v4 offset:128
.LBB19_468:
	s_or_b32 exec_lo, exec_lo, s0
	v_add_nc_u32_e32 v3, 16, v2
	s_delay_alu instid0(VALU_DEP_1) | instskip(NEXT) | instid1(VALU_DEP_1)
	v_lshrrev_b32_e32 v4, 2, v3
	v_add_nc_u32_e32 v4, s1, v4
	s_delay_alu instid0(VALU_DEP_1) | instskip(SKIP_1) | instid1(SALU_CYCLE_1)
	v_cmp_le_i32_e32 vcc_lo, s28, v4
	s_or_b32 s0, vcc_lo, s9
	s_and_saveexec_b32 s10, s0
	s_delay_alu instid0(SALU_CYCLE_1)
	s_xor_b32 s0, exec_lo, s10
	s_cbranch_execz .LBB19_470
; %bb.469:
	v_mad_u32_u24 v3, v3, 60, v188
	v_mov_b32_e32 v4, 0
	s_delay_alu instid0(VALU_DEP_2)
	v_lshl_add_u32 v3, v3, 2, 0
	ds_store_b32 v3, v4 offset:128
                                        ; implicit-def: $vgpr4
                                        ; implicit-def: $vgpr3
.LBB19_470:
	s_and_not1_saveexec_b32 s0, s0
	s_cbranch_execz .LBB19_472
; %bb.471:
	v_mul_lo_u32 v4, v4, s69
	v_mul_lo_u32 v5, v0, s12
	v_mad_u32_u24 v3, v3, 60, v188
	s_delay_alu instid0(VALU_DEP_1) | instskip(NEXT) | instid1(VALU_DEP_3)
	v_lshl_add_u32 v3, v3, 2, 0
	v_add3_u32 v4, v5, v1, v4
	s_delay_alu instid0(VALU_DEP_1) | instskip(NEXT) | instid1(VALU_DEP_1)
	v_ashrrev_i32_e32 v5, 31, v4
	v_lshlrev_b64 v[4:5], 3, v[4:5]
	s_delay_alu instid0(VALU_DEP_1) | instskip(NEXT) | instid1(VALU_DEP_2)
	v_add_co_u32 v4, vcc_lo, s5, v4
	v_add_co_ci_u32_e32 v5, vcc_lo, s6, v5, vcc_lo
	global_load_b64 v[4:5], v[4:5], off
	s_waitcnt vmcnt(0)
	v_cvt_f16_f32_e32 v4, v4
	v_cvt_f16_f32_e32 v5, v5
	s_delay_alu instid0(VALU_DEP_1) | instskip(NEXT) | instid1(VALU_DEP_1)
	v_pack_b32_f16 v4, v4, v5
	v_pk_mul_f16 v4, v216, v4
	ds_store_b32 v3, v4 offset:128
.LBB19_472:
	s_or_b32 exec_lo, exec_lo, s0
	v_add_nc_u32_e32 v2, 24, v2
	s_sub_i32 s10, 0, s4
	s_delay_alu instid0(VALU_DEP_1) | instskip(NEXT) | instid1(VALU_DEP_1)
	v_lshrrev_b32_e32 v3, 2, v2
	v_add_nc_u32_e32 v3, s1, v3
	s_delay_alu instid0(VALU_DEP_1) | instskip(SKIP_1) | instid1(SALU_CYCLE_1)
	v_cmp_le_i32_e32 vcc_lo, s28, v3
	s_or_b32 s0, vcc_lo, s9
	s_and_saveexec_b32 s9, s0
	s_delay_alu instid0(SALU_CYCLE_1)
	s_xor_b32 s0, exec_lo, s9
	s_cbranch_execz .LBB19_474
; %bb.473:
	v_mad_u32_u24 v0, v2, 60, v188
	v_mov_b32_e32 v1, 0
                                        ; implicit-def: $vgpr3
                                        ; implicit-def: $vgpr2
	s_delay_alu instid0(VALU_DEP_2)
	v_lshl_add_u32 v0, v0, 2, 0
	ds_store_b32 v0, v1 offset:128
                                        ; implicit-def: $vgpr0
                                        ; implicit-def: $vgpr1
.LBB19_474:
	s_or_saveexec_b32 s0, s0
	s_mul_i32 s10, s10, s7
	s_xor_b32 exec_lo, exec_lo, s0
	s_cbranch_execz .LBB19_476
; %bb.475:
	v_mul_lo_u32 v3, v3, s69
	v_mul_lo_u32 v0, v0, s12
	s_delay_alu instid0(VALU_DEP_1) | instskip(NEXT) | instid1(VALU_DEP_1)
	v_add3_u32 v0, v0, v1, v3
	v_ashrrev_i32_e32 v1, 31, v0
	s_delay_alu instid0(VALU_DEP_1) | instskip(NEXT) | instid1(VALU_DEP_1)
	v_lshlrev_b64 v[0:1], 3, v[0:1]
	v_add_co_u32 v0, vcc_lo, s5, v0
	s_delay_alu instid0(VALU_DEP_2) | instskip(SKIP_4) | instid1(VALU_DEP_1)
	v_add_co_ci_u32_e32 v1, vcc_lo, s6, v1, vcc_lo
	global_load_b64 v[0:1], v[0:1], off
	s_waitcnt vmcnt(0)
	v_cvt_f16_f32_e32 v0, v0
	v_cvt_f16_f32_e32 v1, v1
	v_pack_b32_f16 v0, v0, v1
	v_mad_u32_u24 v1, v2, 60, v188
	s_delay_alu instid0(VALU_DEP_2) | instskip(NEXT) | instid1(VALU_DEP_2)
	v_pk_mul_f16 v0, v216, v0
	v_lshl_add_u32 v1, v1, 2, 0
	ds_store_b32 v1, v0 offset:128
.LBB19_476:
	s_or_b32 exec_lo, exec_lo, s0
	v_lshrrev_b32_e32 v199, 3, v232
	v_bfe_u32 v0, v232, 3, 2
	v_and_b32_e32 v190, 7, v232
	s_mul_hi_u32 s10, s7, s10
	s_delay_alu instid0(VALU_DEP_3) | instskip(NEXT) | instid1(VALU_DEP_3)
	v_lshl_add_u32 v112, v214, 2, v199
	v_or_b32_e32 v2, s8, v0
	v_mul_lo_u32 v0, s12, v0
	s_delay_alu instid0(VALU_DEP_3) | instskip(NEXT) | instid1(VALU_DEP_3)
	v_lshrrev_b32_e32 v1, 2, v112
	v_cmp_gt_i32_e32 vcc_lo, s84, v2
	s_delay_alu instid0(VALU_DEP_2) | instskip(SKIP_1) | instid1(VALU_DEP_1)
	v_add_nc_u32_e32 v1, s1, v1
	s_xor_b32 s9, vcc_lo, -1
	v_cmp_le_i32_e64 s0, s28, v1
	s_delay_alu instid0(VALU_DEP_1) | instskip(NEXT) | instid1(SALU_CYCLE_1)
	s_or_b32 s0, s0, s9
	s_and_saveexec_b32 s8, s0
	s_delay_alu instid0(SALU_CYCLE_1)
	s_xor_b32 s0, exec_lo, s8
	s_cbranch_execz .LBB19_478
; %bb.477:
	v_mad_u32_u24 v1, v112, 60, v190
	v_mov_b32_e32 v2, 0
	s_delay_alu instid0(VALU_DEP_2)
	v_lshl_add_u32 v1, v1, 2, 0
	ds_store_b32 v1, v2 offset:192
                                        ; implicit-def: $vgpr1
.LBB19_478:
	s_or_saveexec_b32 s0, s0
	v_add3_u32 v0, v0, v190, 48
	s_abs_i32 s8, s2
	s_add_i32 s7, s7, s10
	s_xor_b32 exec_lo, exec_lo, s0
	s_cbranch_execz .LBB19_480
; %bb.479:
	v_mad_u64_u32 v[2:3], null, v1, s69, v[0:1]
	s_delay_alu instid0(VALU_DEP_1) | instskip(NEXT) | instid1(VALU_DEP_1)
	v_ashrrev_i32_e32 v3, 31, v2
	v_lshlrev_b64 v[1:2], 3, v[2:3]
	s_delay_alu instid0(VALU_DEP_1) | instskip(NEXT) | instid1(VALU_DEP_2)
	v_add_co_u32 v1, vcc_lo, s5, v1
	v_add_co_ci_u32_e32 v2, vcc_lo, s6, v2, vcc_lo
	global_load_b64 v[1:2], v[1:2], off
	s_waitcnt vmcnt(0)
	v_cvt_f16_f32_e32 v1, v1
	v_cvt_f16_f32_e32 v2, v2
	s_delay_alu instid0(VALU_DEP_1) | instskip(SKIP_1) | instid1(VALU_DEP_2)
	v_pack_b32_f16 v1, v1, v2
	v_mad_u32_u24 v2, v112, 60, v190
	v_pk_mul_f16 v1, v216, v1
	s_delay_alu instid0(VALU_DEP_2)
	v_lshl_add_u32 v2, v2, 2, 0
	ds_store_b32 v2, v1 offset:192
.LBB19_480:
	s_or_b32 exec_lo, exec_lo, s0
	v_add_nc_u32_e32 v1, 16, v112
	s_mul_hi_u32 s7, s8, s7
	s_delay_alu instid0(VALU_DEP_1) | instskip(NEXT) | instid1(VALU_DEP_1)
	v_lshrrev_b32_e32 v2, 2, v1
	v_add_nc_u32_e32 v2, s1, v2
	s_delay_alu instid0(VALU_DEP_1) | instskip(SKIP_1) | instid1(SALU_CYCLE_1)
	v_cmp_le_i32_e32 vcc_lo, s28, v2
	s_or_b32 s0, vcc_lo, s9
	s_and_saveexec_b32 s9, s0
	s_delay_alu instid0(SALU_CYCLE_1)
	s_xor_b32 s0, exec_lo, s9
	s_cbranch_execz .LBB19_482
; %bb.481:
	v_mad_u32_u24 v0, v1, 60, v190
	v_mov_b32_e32 v1, 0
                                        ; implicit-def: $vgpr2
                                        ; implicit-def: $vgpr216
	s_delay_alu instid0(VALU_DEP_2)
	v_lshl_add_u32 v0, v0, 2, 0
	ds_store_b32 v0, v1 offset:192
                                        ; implicit-def: $vgpr0
                                        ; implicit-def: $vgpr1
.LBB19_482:
	s_or_saveexec_b32 s9, s0
	s_ashr_i32 s0, s2, 31
	s_xor_b32 exec_lo, exec_lo, s9
	s_cbranch_execz .LBB19_484
; %bb.483:
	v_mad_u64_u32 v[3:4], null, v2, s69, v[0:1]
	v_mad_u32_u24 v1, v1, 60, v190
	s_delay_alu instid0(VALU_DEP_1) | instskip(NEXT) | instid1(VALU_DEP_3)
	v_lshl_add_u32 v1, v1, 2, 0
	v_ashrrev_i32_e32 v4, 31, v3
	s_delay_alu instid0(VALU_DEP_1) | instskip(NEXT) | instid1(VALU_DEP_1)
	v_lshlrev_b64 v[2:3], 3, v[3:4]
	v_add_co_u32 v2, vcc_lo, s5, v2
	s_delay_alu instid0(VALU_DEP_2) | instskip(SKIP_4) | instid1(VALU_DEP_1)
	v_add_co_ci_u32_e32 v3, vcc_lo, s6, v3, vcc_lo
	global_load_b64 v[2:3], v[2:3], off
	s_waitcnt vmcnt(0)
	v_cvt_f16_f32_e32 v0, v2
	v_cvt_f16_f32_e32 v2, v3
	v_pack_b32_f16 v0, v0, v2
	s_delay_alu instid0(VALU_DEP_1)
	v_pk_mul_f16 v0, v216, v0
	ds_store_b32 v1, v0 offset:192
.LBB19_484:
	s_or_b32 exec_lo, exec_lo, s9
	v_and_b32_e32 v113, 0x1ff0, v189
	v_readlane_b32 s10, v255, 1
	v_mul_u32_u24_e32 v57, 0xf0, v188
	s_mul_i32 s5, s2, s53
	s_mul_hi_u32 s6, s2, s52
	v_mul_u32_u24_e32 v0, 0xf0, v113
	v_readlane_b32 s11, v255, 2
	s_add_i32 s5, s6, s5
	s_mul_i32 s6, s0, s52
	s_mul_i32 s9, s2, s52
	s_add_i32 s5, s5, s6
	v_add3_u32 v0, 0, v0, v57
	s_add_u32 s6, s38, s9
	s_mul_i32 s9, s3, s11
	s_addc_u32 s5, s39, s5
	s_ashr_i32 s10, s9, 31
	s_mul_i32 s7, s7, s4
	s_add_u32 s12, s6, s9
	s_addc_u32 s13, s5, s10
	s_sub_i32 s5, s8, s7
	s_waitcnt lgkmcnt(0)
	s_waitcnt_vscnt null, 0x0
	s_barrier
	buffer_gl0_inv
	ds_load_b128 v[206:209], v0
	ds_load_b128 v[210:213], v0 offset:16
	ds_load_b128 v[42:45], v0 offset:32
	;; [unrolled: 1-line block ×13, first 2 shown]
	s_sub_i32 s6, s5, s4
	s_cmp_ge_u32 s5, s4
	v_add_nc_u32_e32 v119, -1, v56
	s_cselect_b32 s5, s6, s5
	s_mul_i32 s3, s3, s55
	s_sub_i32 s6, s5, s4
	s_cmp_ge_u32 s5, s4
	v_cmp_lt_i32_e32 vcc_lo, s33, v119
	s_cselect_b32 s4, s6, s5
	v_lshlrev_b32_e32 v56, 1, v232
	s_xor_b32 s4, s4, s0
	s_waitcnt lgkmcnt(0)
	s_sub_i32 s4, s4, s0
	s_mul_i32 s0, s0, s60
	s_mul_i32 s5, s4, s63
	s_mul_hi_u32 s6, s4, s62
	s_ashr_i32 s7, s4, 31
	s_add_i32 s5, s6, s5
	s_mul_i32 s7, s7, s62
	s_mul_i32 s4, s4, s62
	s_add_i32 s5, s5, s7
	s_add_u32 s14, s42, s4
	s_addc_u32 s25, s43, s5
	s_mul_i32 s4, s2, s61
	s_mul_hi_u32 s5, s2, s60
	s_mul_i32 s2, s2, s60
	s_add_i32 s4, s5, s4
	s_barrier
	s_add_i32 s4, s4, s0
	s_add_u32 s0, s40, s2
	s_addc_u32 s2, s41, s4
	s_ashr_i32 s4, s3, 31
	s_add_u32 s10, s0, s3
	s_addc_u32 s11, s2, s4
	s_mov_b32 s0, 0
	s_mov_b32 s2, -1
	buffer_gl0_inv
	s_cbranch_vccnz .LBB19_488
; %bb.485:
	v_dual_mov_b32 v8, 0 :: v_dual_add_nc_u32 v1, s1, v116
	v_add_nc_u32_e32 v0, s1, v214
	v_mul_lo_u32 v248, s34, v112
	s_lshl_b32 s3, s34, 4
	s_delay_alu instid0(VALU_DEP_3)
	v_mul_hi_u32 v3, s56, v1
	v_mov_b32_e32 v13, v8
	v_mul_hi_u32 v2, s56, v0
	v_lshrrev_b32_e32 v6, 2, v232
	v_mul_lo_u32 v203, s30, v112
	v_dual_mov_b32 v23, v8 :: v_dual_lshlrev_b32 v200, 4, v214
	v_add_nc_u32_e32 v253, s3, v248
	v_add_nc_u32_e32 v3, v1, v3
	v_lshrrev_b32_e32 v4, 1, v232
	v_add_nc_u32_e32 v2, v0, v2
	v_add_nc_u32_e32 v6, v6, v189
	;; [unrolled: 1-line block ×3, first 2 shown]
	v_lshrrev_b32_e32 v3, s57, v3
	v_add_nc_u32_e32 v4, v200, v4
	v_lshrrev_b32_e32 v2, s57, v2
	v_mul_lo_u32 v16, s34, v6
	v_add_nc_u32_e32 v121, s3, v183
	s_lshl_b32 s3, s30, 4
	v_mul_lo_u32 v3, v3, s28
	v_mul_lo_u32 v2, v2, s28
	v_add_nc_u32_e32 v185, s3, v203
	v_mul_lo_u32 v156, s30, v6
	v_mul_lo_u32 v14, s34, v4
	;; [unrolled: 1-line block ×3, first 2 shown]
	v_and_b32_e32 v53, 16, v200
	v_add_nc_u32_e32 v201, s3, v185
	v_sub_nc_u32_e32 v1, v1, v3
	v_sub_nc_u32_e32 v0, v0, v2
	s_movk_i32 s2, 0x240
	v_dual_mov_b32 v50, 32 :: v_dual_lshlrev_b32 v5, 2, v232
	v_lshl_add_u32 v194, s34, 5, v16
	s_delay_alu instid0(VALU_DEP_3)
	v_mad_i64_i32 v[117:118], null, v0, s58, 0
	v_and_or_b32 v0, v232, 12, v113
	v_mbcnt_lo_u32_b32 v51, -1, 0
	v_lshl_add_u32 v179, s30, 5, v156
	v_add_nc_u32_e32 v177, s3, v201
	v_mad_u32_u24 v11, 0x90, v214, s2
	v_lshrrev_b32_e32 v0, 2, v0
	s_movk_i32 s2, 0x1e00
	s_movk_i32 s4, 0xf00
	v_mad_i64_i32 v[114:115], null, v1, s58, 0
	s_delay_alu instid0(VALU_DEP_2)
	v_mul_u32_u24_e32 v55, 0x90, v0
	v_and_b32_e32 v0, 8, v189
	v_mad_u32_u24 v26, 0xf0, v6, s2
	v_mad_u32_u24 v27, 0xf0, v112, s4
	;; [unrolled: 1-line block ×3, first 2 shown]
	s_movk_i32 s4, 0x2d00
	v_mad_u32_u24 v126, 0xf0, v53, s2
	s_movk_i32 s2, 0x1e0
	v_mul_u32_u24_e32 v9, 0x90, v214
	v_and_or_b32 v7, v5, 4, 48
	v_and_or_b32 v12, v5, 12, 32
	v_mul_u32_u24_e32 v24, 0xf0, v4
	v_mul_u32_u24_e32 v10, 0xf0, v6
	v_ashrrev_i32_e32 v15, 31, v14
	v_ashrrev_i32_e32 v17, 31, v16
	;; [unrolled: 1-line block ×3, first 2 shown]
	v_mul_u32_u24_e32 v25, 0xf0, v112
	v_and_b32_e32 v22, 28, v5
	v_ashrrev_i32_e32 v249, 31, v248
	v_ashrrev_i32_e32 v254, 31, v253
	;; [unrolled: 1-line block ×3, first 2 shown]
	v_mad_u32_u24 v33, 0xf0, v112, s4
	v_ashrrev_i32_e32 v122, 31, v121
	v_mul_u32_u24_e32 v123, 0xf0, v53
	v_or_b32_e32 v54, 32, v53
	v_xor_b32_e32 v52, 16, v51
	v_xor_b32_e32 v172, 1, v197
	v_ashrrev_i32_e32 v218, 31, v217
	v_ashrrev_i32_e32 v157, 31, v156
	;; [unrolled: 1-line block ×7, first 2 shown]
	v_or_b32_e32 v143, 0xf0, v188
	v_or_b32_e32 v144, 0x1e0, v188
	v_or_b32_e32 v145, 0x2d0, v188
	v_or_b32_e32 v146, 0x3c0, v188
	v_or_b32_e32 v147, 0x4b0, v188
	v_or_b32_e32 v148, 0x5a0, v188
	v_or_b32_e32 v149, 0x690, v188
	v_mul_u32_u24_e32 v150, 0x1e0, v0
	v_mad_u32_u24 v151, v0, s2, 0x1e00
	s_ashr_i32 s7, s34, 31
	s_ashr_i32 s5, s30, 31
	s_mov_b32 s3, 0xfeffffff
	s_mov_b32 s2, 0
	s_branch .LBB19_489
.LBB19_486:
                                        ; implicit-def: $sgpr68_sgpr69
	s_load_b64 s[66:67], s[0:1], 0x74
	v_cvt_f32_u32_e32 v2, s24
	s_branch .LBB19_2
.LBB19_487:
                                        ; implicit-def: $sgpr72_sgpr73
	s_load_b64 s[56:57], s[0:1], 0x5c
	s_branch .LBB19_5
.LBB19_488:
                                        ; implicit-def: $sgpr0
                                        ; implicit-def: $sgpr3
                                        ; implicit-def: $vgpr9
                                        ; implicit-def: $vgpr117_vgpr118
                                        ; implicit-def: $vgpr11
                                        ; implicit-def: $vgpr114_vgpr115
                                        ; implicit-def: $vgpr200
                                        ; implicit-def: $vgpr24
                                        ; implicit-def: $vgpr14_vgpr15
                                        ; implicit-def: $vgpr7
                                        ; implicit-def: $vgpr10
                                        ; implicit-def: $vgpr16_vgpr17
                                        ; implicit-def: $vgpr12
                                        ; implicit-def: $vgpr26
                                        ; implicit-def: $vgpr194_vgpr195
                                        ; implicit-def: $vgpr25
                                        ; implicit-def: $vgpr22
                                        ; implicit-def: $vgpr248_vgpr249
                                        ; implicit-def: $vgpr27
                                        ; implicit-def: $vgpr253_vgpr254
                                        ; implicit-def: $vgpr30
                                        ; implicit-def: $vgpr183_vgpr184
                                        ; implicit-def: $vgpr33
                                        ; implicit-def: $vgpr121_vgpr122
                                        ; implicit-def: $vgpr53
                                        ; implicit-def: $vgpr123
                                        ; implicit-def: $vgpr54
                                        ; implicit-def: $vgpr126
                                        ; implicit-def: $vgpr55
                                        ; implicit-def: $vgpr51
                                        ; implicit-def: $vgpr52
                                        ; implicit-def: $vgpr50
                                        ; implicit-def: $vgpr172_vgpr173
                                        ; implicit-def: $vgpr217_vgpr218
                                        ; implicit-def: $vgpr156_vgpr157
                                        ; implicit-def: $vgpr179_vgpr180
                                        ; implicit-def: $vgpr203_vgpr204
                                        ; implicit-def: $vgpr185_vgpr186
                                        ; implicit-def: $vgpr201_vgpr202
                                        ; implicit-def: $vgpr177_vgpr178
                                        ; implicit-def: $vgpr143
                                        ; implicit-def: $vgpr144
                                        ; implicit-def: $vgpr145
                                        ; implicit-def: $vgpr146
                                        ; implicit-def: $vgpr147
                                        ; implicit-def: $vgpr148
                                        ; implicit-def: $vgpr149
                                        ; implicit-def: $vgpr150
                                        ; implicit-def: $vgpr151
                                        ; implicit-def: $sgpr6_sgpr7
                                        ; implicit-def: $sgpr4_sgpr5
.LBB19_489:
	v_dual_mov_b32 v63, s0 :: v_dual_mov_b32 v250, s3
	v_dual_mov_b32 v61, s0 :: v_dual_lshlrev_b32 v6, 1, v56
	v_dual_mov_b32 v59, s0 :: v_dual_add_nc_u32 v136, 0, v57
	v_dual_mov_b32 v62, s0 :: v_dual_lshlrev_b32 v205, 1, v197
	v_dual_mov_b32 v57, s0 :: v_dual_lshlrev_b32 v142, 1, v188
	v_dual_mov_b32 v60, s0 :: v_dual_mov_b32 v111, s0
	v_dual_mov_b32 v58, s0 :: v_dual_mov_b32 v109, s0
	;; [unrolled: 1-line block ×25, first 2 shown]
	v_mov_b32_e32 v66, s0
	v_mov_b32_e32 v64, s0
	s_and_not1_b32 vcc_lo, exec_lo, s2
	s_cbranch_vccnz .LBB19_493
; %bb.490:
	v_dual_mov_b32 v12, 0 :: v_dual_add_nc_u32 v1, s1, v116
	v_add_nc_u32_e32 v0, s1, v214
	v_add_co_u32 v5, s0, s14, v6
	s_delay_alu instid0(VALU_DEP_3) | instskip(NEXT) | instid1(VALU_DEP_4)
	v_mul_hi_u32 v4, s56, v1
	v_mov_b32_e32 v23, v12
	s_delay_alu instid0(VALU_DEP_4)
	v_mul_hi_u32 v2, s56, v0
	s_clause 0x5
	scratch_store_b32 off, v199, off offset:300
	scratch_store_b32 off, v190, off offset:296
	;; [unrolled: 1-line block ×6, first 2 shown]
	v_add_co_ci_u32_e64 v5, null, s25, 0, s0
	v_dual_mov_b32 v231, v12 :: v_dual_add_nc_u32 v4, v1, v4
	v_add_nc_u32_e32 v2, v0, v2
	s_movk_i32 s0, 0x240
	v_dual_mov_b32 v65, v12 :: v_dual_lshlrev_b32 v10, 4, v214
	v_mad_u32_u24 v8, 0x90, v214, s0
	s_delay_alu instid0(VALU_DEP_3)
	v_lshrrev_b32_e32 v2, s57, v2
	scratch_store_b32 off, v5, off offset:196 ; 4-byte Folded Spill
	v_lshrrev_b32_e32 v5, 1, v232
	v_lshrrev_b32_e32 v4, s57, v4
	v_add_nc_u32_e32 v3, 0, v6
	v_mul_lo_u32 v2, v2, s28
	v_dual_mov_b32 v67, v12 :: v_dual_lshlrev_b32 v6, 2, v232
	v_add_nc_u32_e32 v5, v10, v5
	v_mul_lo_u32 v4, v4, s28
	v_lshrrev_b32_e32 v7, 2, v232
	s_delay_alu instid0(VALU_DEP_4)
	v_dual_mov_b32 v64, v12 :: v_dual_and_b32 v9, 12, v6
	v_sub_nc_u32_e32 v0, v0, v2
	v_mul_u32_u24_e32 v11, 0xf0, v5
	scratch_store_b32 off, v8, off offset:396 ; 4-byte Folded Spill
	v_dual_mov_b32 v69, v12 :: v_dual_and_b32 v8, 4, v6
	v_dual_mov_b32 v250, 0xfeffffff :: v_dual_add_nc_u32 v7, v7, v189
	v_mad_u32_u24 v2, 0xf0, v5, 0
	v_sub_nc_u32_e32 v1, v1, v4
	v_mad_i64_i32 v[117:118], null, v0, s58, 0
	v_dual_mov_b32 v71, v12 :: v_dual_lshlrev_b32 v0, 2, v8
	s_delay_alu instid0(VALU_DEP_3) | instskip(SKIP_2) | instid1(VALU_DEP_4)
	v_mad_i64_i32 v[114:115], null, v1, s58, 0
	v_mul_u32_u24_e32 v4, 0xf0, v7
	v_dual_mov_b32 v66, v12 :: v_dual_lshlrev_b32 v1, 2, v9
	v_add3_u32 v0, v2, v0, 0xc0
	s_clause 0x2
	scratch_store_b32 off, v11, off offset:416
	scratch_store_b32 off, v0, off offset:204
	;; [unrolled: 1-line block ×3, first 2 shown]
	v_add3_u32 v0, 0, v4, v1
	v_or_b32_e32 v1, 32, v9
	v_mov_b32_e32 v2, v12
	s_movk_i32 s0, 0x1e00
	v_dual_mov_b32 v73, v12 :: v_dual_and_b32 v22, 28, v6
	v_mov_b32_e32 v68, v12
	scratch_store_b64 off, v[1:2], off offset:400 ; 8-byte Folded Spill
	v_add_nc_u32_e32 v1, 0x80, v0
	v_dual_mov_b32 v75, v12 :: v_dual_add_nc_u32 v0, 0x1e80, v0
	s_movk_i32 s2, 0xf00
	v_mul_u32_u24_e32 v2, 0xf0, v112
	s_clause 0x2
	scratch_store_b32 off, v1, off offset:208
	scratch_store_b32 off, v0, off offset:212
	;; [unrolled: 1-line block ×3, first 2 shown]
	v_mad_u32_u24 v1, 0xf0, v7, s0
	v_mad_u32_u24 v0, 0xf0, v112, s2
	scratch_store_b32 off, v2, off offset:420 ; 4-byte Folded Spill
	v_mov_b32_e32 v70, v12
	v_mov_b32_e32 v77, v12
	s_clause 0x1
	scratch_store_b32 off, v1, off offset:424
	scratch_store_b32 off, v0, off offset:428
	v_lshlrev_b32_e32 v1, 2, v22
	s_movk_i32 s2, 0x2d00
	v_dual_mov_b32 v81, v12 :: v_dual_and_b32 v6, 16, v10
	v_mov_b32_e32 v79, v12
	s_delay_alu instid0(VALU_DEP_3)
	v_add3_u32 v2, 0, v2, v1
	v_mad_u32_u24 v1, 0xf0, v112, s2
	v_mov_b32_e32 v78, v12
	v_mul_u32_u24_e32 v10, 0xf0, v6
	v_mbcnt_lo_u32_b32 v4, -1, 0
	v_dual_mov_b32 v83, v12 :: v_dual_add_nc_u32 v0, 0xf00, v2
	v_mul_lo_u32 v203, s30, v112
	v_mul_lo_u32 v248, s34, v112
	s_lshl_b32 s1, s34, 4
	scratch_store_b32 off, v0, off offset:224 ; 4-byte Folded Spill
	v_mad_u32_u24 v0, 0xf0, v112, s0
	v_mul_lo_u32 v16, s34, v7
	v_mov_b32_e32 v80, v12
	v_mul_lo_u32 v156, s30, v7
	v_mul_u32_u24_e32 v13, 0x90, v214
	scratch_store_b32 off, v0, off offset:436 ; 4-byte Folded Spill
	v_add_nc_u32_e32 v0, 0x1e00, v2
	v_dual_mov_b32 v84, v12 :: v_dual_add_nc_u32 v253, s1, v248
	v_mov_b32_e32 v72, v12
	v_lshl_add_u32 v194, s34, 5, v16
	scratch_store_b32 off, v0, off offset:232 ; 4-byte Folded Spill
	v_and_or_b32 v0, v232, 12, v113
	s_clause 0x1
	scratch_store_b32 off, v1, off offset:448
	scratch_store_b32 off, v2, off offset:216
	v_add_nc_u32_e32 v1, 0x2d00, v2
	v_lshlrev_b32_e32 v2, 1, v6
	scratch_store_b32 off, v6, off offset:380 ; 4-byte Folded Spill
	v_lshrrev_b32_e32 v0, 2, v0
	v_dual_mov_b32 v74, v12 :: v_dual_add_nc_u32 v183, s1, v253
	scratch_store_b32 off, v1, off offset:236 ; 4-byte Folded Spill
	v_or_b32_e32 v1, 32, v6
	v_mad_u32_u24 v6, 0xf0, v6, s0
	s_lshl_b32 s0, s30, 4
	v_mov_b32_e32 v87, v12
	v_add_nc_u32_e32 v185, s0, v203
	scratch_store_b32 off, v1, off offset:392 ; 4-byte Folded Spill
	v_mad_u32_u24 v1, 0x90, v0, 0
	scratch_store_b32 off, v6, off offset:460 ; 4-byte Folded Spill
	v_xor_b32_e32 v6, 16, v4
	v_mul_u32_u24_e32 v0, 0x90, v0
	v_add_nc_u32_e32 v201, s0, v185
	v_add3_u32 v219, v1, v205, v2
	v_or_b32_e32 v1, 0xf0, v188
	scratch_store_b32 off, v6, off offset:376 ; 4-byte Folded Spill
	v_cmp_gt_i32_e32 vcc_lo, 32, v6
	v_dual_mov_b32 v86, v12 :: v_dual_add_nc_u32 v177, s0, v201
	scratch_store_b32 off, v1, off offset:316 ; 4-byte Folded Spill
	v_or_b32_e32 v1, 0x1e0, v188
	scratch_store_b32 off, v0, off offset:440 ; 4-byte Folded Spill
	v_cndmask_b32_e32 v0, v4, v6, vcc_lo
	s_movk_i32 s0, 0x1e0
	v_mul_lo_u32 v14, s34, v5
	scratch_store_b32 off, v1, off offset:320 ; 4-byte Folded Spill
	v_or_b32_e32 v1, 0x2d0, v188
	scratch_store_b32 off, v189, off offset:836 ; 4-byte Folded Spill
	v_dual_mov_b32 v82, v12 :: v_dual_lshlrev_b32 v193, 2, v0
	v_and_b32_e32 v0, 8, v189
	scratch_store_b32 off, v1, off offset:324 ; 4-byte Folded Spill
	v_or_b32_e32 v1, 0x3c0, v188
	v_mul_lo_u32 v217, s30, v5
	v_dual_mov_b32 v76, v12 :: v_dual_add_nc_u32 v121, s1, v183
	v_mul_u32_u24_e32 v2, 0x1e0, v0
	scratch_store_b32 off, v1, off offset:328 ; 4-byte Folded Spill
	v_or_b32_e32 v1, 0x4b0, v188
	v_mad_u32_u24 v0, v0, s0, 0x1e00
	v_lshl_add_u32 v179, s30, 5, v156
	v_add3_u32 v230, 0, v2, v142
	v_mov_b32_e32 v92, v12
	scratch_store_b32 off, v1, off offset:332 ; 4-byte Folded Spill
	v_or_b32_e32 v1, 0x5a0, v188
	s_clause 0x1
	scratch_store_b32 off, v1, off offset:336
	scratch_store_b32 off, v188, off offset:288
	v_or_b32_e32 v1, 0x690, v188
	scratch_store_b32 off, v0, off offset:352 ; 4-byte Folded Spill
	v_add3_u32 v0, 0, 64, v2
	v_ashrrev_i32_e32 v15, 31, v14
	v_or_b32_e32 v11, 48, v8
	scratch_store_b32 off, v1, off offset:340 ; 4-byte Folded Spill
	v_add3_u32 v1, 0, 32, v2
	v_add3_u32 v199, v0, v142, 0x1e00
	;; [unrolled: 1-line block ×3, first 2 shown]
	v_ashrrev_i32_e32 v17, 31, v16
	v_ashrrev_i32_e32 v195, 31, v194
	v_add3_u32 v181, v1, v142, 0x1e00
	v_add3_u32 v1, 0, 0x60, v2
	;; [unrolled: 1-line block ×3, first 2 shown]
	v_dual_mov_b32 v99, v12 :: v_dual_add_nc_u32 v0, v3, v13
	v_ashrrev_i32_e32 v249, 31, v248
	s_delay_alu instid0(VALU_DEP_4)
	v_add3_u32 v215, v1, v142, 0x1e00
	v_add3_u32 v1, 0, 0xa0, v2
	v_ashrrev_i32_e32 v254, 31, v253
	v_ashrrev_i32_e32 v184, 31, v183
	;; [unrolled: 1-line block ×3, first 2 shown]
	v_dual_mov_b32 v85, v12 :: v_dual_add_nc_u32 v176, 0x3c00, v219
	v_add3_u32 v205, v1, v142, 0x1e00
	v_lshlrev_b32_e32 v1, 2, v8
	s_clause 0x1
	scratch_store_b32 off, v2, off offset:348
	scratch_store_b32 off, v13, off offset:372
	v_add3_u32 v2, 0, 0xc0, v2
	v_xor_b32_e32 v172, 1, v197
	v_ashrrev_i32_e32 v218, 31, v217
	v_ashrrev_i32_e32 v157, 31, v156
	v_ashrrev_i32_e32 v180, 31, v179
	v_ashrrev_i32_e32 v204, 31, v203
	v_ashrrev_i32_e32 v186, 31, v185
	v_ashrrev_i32_e32 v202, 31, v201
	v_ashrrev_i32_e32 v178, 31, v177
	v_dual_mov_b32 v88, v12 :: v_dual_add_nc_u32 v229, 0x1e00, v230
	v_dual_mov_b32 v89, v12 :: v_dual_add_nc_u32 v232, 32, v230
	;; [unrolled: 1-line block ×7, first 2 shown]
	s_clause 0x1
	scratch_store_b32 off, v142, off offset:308
	scratch_store_b32 off, v1, off offset:268
	v_add3_u32 v233, v2, v142, 0x1e00
	v_dual_mov_b32 v94, v12 :: v_dual_lshlrev_b32 v1, 2, v9
	v_dual_mov_b32 v101, v12 :: v_dual_lshlrev_b32 v200, 2, v22
	v_add_nc_u32_e32 v247, v136, v10
	v_dual_mov_b32 v103, v12 :: v_dual_add_nc_u32 v0, 0x3c00, v0
	v_mov_b32_e32 v96, v12
	v_mov_b32_e32 v98, v12
	;; [unrolled: 1-line block ×20, first 2 shown]
	s_mov_b32 s16, 0
	s_ashr_i32 s7, s34, 31
	s_ashr_i32 s5, s30, 31
	s_lshl_b32 s8, s33, 6
	s_mov_b32 s17, s16
	s_mov_b32 s18, s16
	;; [unrolled: 1-line block ×7, first 2 shown]
	s_clause 0x12
	scratch_store_b32 off, v1, off offset:272
	scratch_store_b64 off, v[22:23], off offset:408
	scratch_store_b32 off, v10, off offset:456
	scratch_store_b32 off, v136, off offset:476
	scratch_store_b32 off, v0, off offset:280
	scratch_store_b64 off, v[11:12], off offset:364
	scratch_store_b128 off, v[128:131], off offset:20
	scratch_store_b128 off, v[132:135], off offset:36
	;; [unrolled: 1-line block ×8, first 2 shown]
	scratch_store_b64 off, v[16:17], off offset:148
	scratch_store_b64 off, v[121:122], off offset:156
	;; [unrolled: 1-line block ×4, first 2 shown]
	scratch_store_b32 off, v119, off offset:180
.LBB19_491:                             ; =>This Inner Loop Header: Depth=1
	scratch_load_b32 v0, off, off offset:188 ; 4-byte Folded Reload
	s_ashr_i32 s9, s8, 31
	v_lshlrev_b64 v[2:3], 1, v[114:115]
	s_lshl_b64 s[0:1], s[8:9], 1
	v_dual_mov_b32 v135, s23 :: v_dual_mov_b32 v134, s22
	v_dual_mov_b32 v133, s21 :: v_dual_mov_b32 v132, s20
	;; [unrolled: 1-line block ×4, first 2 shown]
	v_cmp_eq_u32_e64 s2, 0, v197
	s_waitcnt vmcnt(0)
	v_add_co_u32 v4, vcc_lo, v0, s0
	scratch_load_b32 v0, off, off offset:196 ; 4-byte Folded Reload
	s_mul_i32 s0, s8, s34
	s_waitcnt vmcnt(0)
	v_add_co_ci_u32_e32 v5, vcc_lo, s1, v0, vcc_lo
	v_lshlrev_b64 v[0:1], 1, v[117:118]
	s_mul_hi_i32 s1, s8, s34
	s_delay_alu instid0(SALU_CYCLE_1) | instskip(NEXT) | instid1(SALU_CYCLE_1)
	s_lshl_b64 s[0:1], s[0:1], 2
	s_add_u32 s0, s12, s0
	s_delay_alu instid0(VALU_DEP_1) | instskip(NEXT) | instid1(VALU_DEP_2)
	v_add_co_u32 v0, vcc_lo, v4, v0
	v_add_co_ci_u32_e32 v1, vcc_lo, v5, v1, vcc_lo
	v_add_co_u32 v2, vcc_lo, v4, v2
	v_add_co_ci_u32_e32 v3, vcc_lo, v5, v3, vcc_lo
	s_clause 0x1
	global_load_b32 v0, v[0:1], off
	global_load_b32 v1, v[2:3], off
	s_clause 0x2
	scratch_load_b32 v2, off, off offset:280
	scratch_load_b32 v50, off, off offset:268
	;; [unrolled: 1-line block ×3, first 2 shown]
	s_addc_u32 s1, s13, s1
	s_waitcnt vmcnt(2)
	ds_store_2addr_b32 v2, v0, v1 offset1:144
	v_lshlrev_b64 v[0:1], 2, v[14:15]
	s_delay_alu instid0(VALU_DEP_1) | instskip(NEXT) | instid1(VALU_DEP_2)
	v_add_co_u32 v2, vcc_lo, s0, v0
	v_add_co_ci_u32_e32 v3, vcc_lo, s1, v1, vcc_lo
	v_lshlrev_b64 v[0:1], 2, v[16:17]
	s_delay_alu instid0(VALU_DEP_1) | instskip(NEXT) | instid1(VALU_DEP_2)
	v_add_co_u32 v4, vcc_lo, s0, v0
	v_add_co_ci_u32_e32 v5, vcc_lo, s1, v1, vcc_lo
	s_waitcnt vmcnt(1)
	v_add_co_u32 v0, vcc_lo, v2, v50
	v_add_co_ci_u32_e32 v1, vcc_lo, 0, v3, vcc_lo
	s_waitcnt vmcnt(0)
	v_add_co_u32 v4, vcc_lo, v4, v51
	v_add_co_ci_u32_e32 v5, vcc_lo, 0, v5, vcc_lo
	s_clause 0x1
	global_load_b128 v[0:3], v[0:1], off offset:192
	global_load_b128 v[4:7], v[4:5], off offset:128
	scratch_load_b32 v22, off, off offset:204 ; 4-byte Folded Reload
	s_waitcnt vmcnt(0)
	ds_store_b128 v22, v[0:3]
	v_lshlrev_b64 v[0:1], 2, v[194:195]
	s_delay_alu instid0(VALU_DEP_1) | instskip(NEXT) | instid1(VALU_DEP_2)
	v_add_co_u32 v2, vcc_lo, s0, v0
	v_add_co_ci_u32_e32 v3, vcc_lo, s1, v1, vcc_lo
	v_lshlrev_b64 v[0:1], 2, v[248:249]
	s_delay_alu instid0(VALU_DEP_1) | instskip(NEXT) | instid1(VALU_DEP_2)
	v_add_co_u32 v8, vcc_lo, s0, v0
	v_add_co_ci_u32_e32 v9, vcc_lo, s1, v1, vcc_lo
	v_add_co_u32 v0, vcc_lo, v2, v51
	v_add_co_ci_u32_e32 v1, vcc_lo, 0, v3, vcc_lo
	s_delay_alu instid0(VALU_DEP_4) | instskip(NEXT) | instid1(VALU_DEP_4)
	v_add_co_u32 v8, vcc_lo, v8, v200
	v_add_co_ci_u32_e32 v9, vcc_lo, 0, v9, vcc_lo
	s_clause 0x1
	global_load_b128 v[0:3], v[0:1], off offset:128
	global_load_b128 v[8:11], v[8:9], off
	s_clause 0x1
	scratch_load_b32 v23, off, off offset:208
	scratch_load_b32 v25, off, off offset:212
	s_waitcnt vmcnt(1)
	ds_store_b128 v23, v[4:7]
	s_waitcnt vmcnt(0)
	ds_store_b128 v25, v[0:3]
	v_lshlrev_b64 v[0:1], 2, v[253:254]
	s_delay_alu instid0(VALU_DEP_1) | instskip(NEXT) | instid1(VALU_DEP_2)
	v_add_co_u32 v2, vcc_lo, s0, v0
	v_add_co_ci_u32_e32 v3, vcc_lo, s1, v1, vcc_lo
	v_lshlrev_b64 v[0:1], 2, v[183:184]
	s_delay_alu instid0(VALU_DEP_1) | instskip(NEXT) | instid1(VALU_DEP_2)
	v_add_co_u32 v4, vcc_lo, s0, v0
	v_add_co_ci_u32_e32 v5, vcc_lo, s1, v1, vcc_lo
	v_add_co_u32 v0, vcc_lo, v2, v200
	v_add_co_ci_u32_e32 v1, vcc_lo, 0, v3, vcc_lo
	s_delay_alu instid0(VALU_DEP_4) | instskip(NEXT) | instid1(VALU_DEP_4)
	v_add_co_u32 v4, vcc_lo, v4, v200
	v_add_co_ci_u32_e32 v5, vcc_lo, 0, v5, vcc_lo
	s_clause 0x1
	global_load_b128 v[0:3], v[0:1], off
	global_load_b128 v[4:7], v[4:5], off
	s_clause 0x1
	scratch_load_b32 v26, off, off offset:216
	scratch_load_b32 v27, off, off offset:224
	s_waitcnt vmcnt(1)
	ds_store_b128 v26, v[8:11]
	s_waitcnt vmcnt(0)
	ds_store_b128 v27, v[0:3]
	v_lshlrev_b64 v[0:1], 2, v[121:122]
	s_delay_alu instid0(VALU_DEP_1) | instskip(NEXT) | instid1(VALU_DEP_2)
	v_add_co_u32 v0, vcc_lo, s0, v0
	v_add_co_ci_u32_e32 v1, vcc_lo, s1, v1, vcc_lo
	s_mul_hi_i32 s1, s8, s30
	s_delay_alu instid0(VALU_DEP_2) | instskip(NEXT) | instid1(VALU_DEP_2)
	v_add_co_u32 v0, vcc_lo, v0, v200
	v_add_co_ci_u32_e32 v1, vcc_lo, 0, v1, vcc_lo
	global_load_b128 v[0:3], v[0:1], off
	s_clause 0x1
	scratch_load_b32 v30, off, off offset:232
	scratch_load_b32 v33, off, off offset:236
	s_mul_i32 s0, s8, s30
	s_delay_alu instid0(SALU_CYCLE_1) | instskip(NEXT) | instid1(SALU_CYCLE_1)
	s_lshl_b64 s[0:1], s[0:1], 2
	s_add_u32 s0, s10, s0
	s_addc_u32 s1, s11, s1
	s_add_i32 s33, s33, 1
	s_add_i32 s8, s8, 64
	s_waitcnt vmcnt(1)
	ds_store_b128 v30, v[4:7]
	s_waitcnt vmcnt(0)
	ds_store_b128 v33, v[0:3]
	s_waitcnt lgkmcnt(0)
	s_waitcnt_vscnt null, 0x0
	s_barrier
	buffer_gl0_inv
	ds_load_b128 v[112:115], v247
	ds_load_b128 v[116:119], v247 offset:16
	ds_load_b128 v[120:123], v247 offset:7680
	;; [unrolled: 1-line block ×3, first 2 shown]
	s_waitcnt lgkmcnt(2)
	v_wmma_f32_16x16x16_f16 v[136:143], v[112:119], v[206:213], v[128:135]
	ds_load_b128 v[112:115], v247 offset:32
	ds_load_b128 v[116:119], v247 offset:48
	s_waitcnt lgkmcnt(2)
	v_wmma_f32_16x16x16_f16 v[144:151], v[120:127], v[206:213], v[128:135]
	s_waitcnt lgkmcnt(0)
	v_wmma_f32_16x16x16_f16 v[136:143], v[112:119], v[42:49], v[136:143]
	ds_load_b128 v[112:115], v247 offset:7712
	ds_load_b128 v[116:119], v247 offset:7728
	s_waitcnt lgkmcnt(0)
	v_wmma_f32_16x16x16_f16 v[144:151], v[112:119], v[42:49], v[144:151]
	ds_load_b128 v[112:115], v247 offset:64
	ds_load_b128 v[116:119], v247 offset:80
	;; [unrolled: 4-line block ×8, first 2 shown]
	v_dual_mov_b32 v228, v171 :: v_dual_mov_b32 v227, v170
	v_mov_b32_e32 v225, v168
	v_mov_b32_e32 v223, v166
	;; [unrolled: 1-line block ×3, first 2 shown]
	s_waitcnt lgkmcnt(0)
	v_wmma_f32_16x16x16_f16 v[136:143], v[112:119], v[234:241], v[136:143]
	ds_load_b128 v[112:115], v247 offset:7840
	ds_load_b128 v[116:119], v247 offset:7856
	s_waitcnt lgkmcnt(0)
	v_wmma_f32_16x16x16_f16 v[144:151], v[112:119], v[234:241], v[144:151]
	ds_load_b128 v[112:115], v247 offset:192
	ds_load_b128 v[116:119], v247 offset:208
	s_clause 0x1
	scratch_load_b128 v[0:3], off, off offset:20
	scratch_load_b128 v[4:7], off, off offset:36
	v_dual_mov_b32 v236, v15 :: v_dual_mov_b32 v235, v14
	v_dual_mov_b32 v244, v49 :: v_dual_mov_b32 v241, v46
	v_mov_b32_e32 v242, v47
	v_dual_mov_b32 v240, v45 :: v_dual_mov_b32 v239, v44
	v_dual_mov_b32 v238, v43 :: v_dual_mov_b32 v243, v48
	v_mov_b32_e32 v237, v42
	s_waitcnt vmcnt(0) lgkmcnt(0)
	v_wmma_f32_16x16x16_f16 v[136:143], v[112:119], v[0:7], v[136:143]
	ds_load_b128 v[112:115], v247 offset:7872
	ds_load_b128 v[116:119], v247 offset:7888
	s_waitcnt lgkmcnt(0)
	s_barrier
	buffer_gl0_inv
	v_wmma_f32_16x16x16_f16 v[144:151], v[112:119], v[0:7], v[144:151]
	ds_load_u16 v0, v219 offset:15360
	ds_load_u16 v1, v219 offset:15364
	;; [unrolled: 1-line block ×8, first 2 shown]
	s_waitcnt lgkmcnt(7)
	v_cvt_f32_f16_e32 v0, v0
	s_waitcnt lgkmcnt(6)
	v_cvt_f32_f16_e32 v1, v1
	;; [unrolled: 2-line block ×8, first 2 shown]
	v_dual_add_f32 v12, v136, v0 :: v_dual_add_f32 v13, v137, v1
	v_dual_add_f32 v14, v138, v2 :: v_dual_add_f32 v15, v139, v3
	;; [unrolled: 1-line block ×3, first 2 shown]
	s_delay_alu instid0(VALU_DEP_4)
	v_dual_add_f32 v118, v142, v6 :: v_dual_add_f32 v119, v143, v7
	ds_load_u16 v0, v176 offset:64
	ds_load_u16 v1, v176 offset:68
	ds_load_u16 v2, v176 offset:72
	ds_load_u16 v3, v176 offset:76
	ds_load_u16 v4, v176 offset:80
	ds_load_u16 v5, v176 offset:84
	ds_load_u16 v6, v176 offset:88
	ds_load_u16 v7, v176 offset:92
	s_waitcnt lgkmcnt(7)
	v_cvt_f32_f16_e32 v0, v0
	s_waitcnt lgkmcnt(6)
	v_cvt_f32_f16_e32 v1, v1
	;; [unrolled: 2-line block ×5, first 2 shown]
	v_add_f32_e32 v32, v144, v0
	s_waitcnt lgkmcnt(2)
	v_cvt_f32_f16_e32 v5, v5
	s_waitcnt lgkmcnt(0)
	v_cvt_f32_f16_e32 v7, v7
	v_dual_add_f32 v55, v147, v3 :: v_dual_add_f32 v24, v145, v1
	v_lshlrev_b64 v[0:1], 2, v[217:218]
	v_dual_add_f32 v220, v146, v2 :: v_dual_add_f32 v53, v149, v5
	v_add_f32_e32 v54, v148, v4
	v_cvt_f32_f16_e32 v6, v6
	v_add_f32_e32 v31, v151, v7
	v_add_co_u32 v2, vcc_lo, s0, v0
	v_add_co_ci_u32_e32 v3, vcc_lo, s1, v1, vcc_lo
	v_lshlrev_b64 v[0:1], 2, v[156:157]
	v_add_f32_e32 v52, v150, v6
	s_clause 0x4
	scratch_store_b32 off, v55, off offset:16
	scratch_store_b32 off, v54, off offset:12
	;; [unrolled: 1-line block ×3, first 2 shown]
	scratch_store_b32 off, v31, off
	scratch_store_b32 off, v52, off offset:4
	v_add_co_u32 v4, vcc_lo, s0, v0
	v_add_co_ci_u32_e32 v5, vcc_lo, s1, v1, vcc_lo
	v_add_co_u32 v0, vcc_lo, v2, v50
	v_add_co_ci_u32_e32 v1, vcc_lo, 0, v3, vcc_lo
	s_delay_alu instid0(VALU_DEP_4) | instskip(NEXT) | instid1(VALU_DEP_4)
	v_add_co_u32 v4, vcc_lo, v4, v51
	v_add_co_ci_u32_e32 v5, vcc_lo, 0, v5, vcc_lo
	s_clause 0x1
	global_load_b128 v[0:3], v[0:1], off offset:192
	global_load_b128 v[4:7], v[4:5], off offset:128
	s_waitcnt vmcnt(1)
	ds_store_b128 v22, v[0:3]
	v_lshlrev_b64 v[0:1], 2, v[179:180]
	s_delay_alu instid0(VALU_DEP_1) | instskip(NEXT) | instid1(VALU_DEP_2)
	v_add_co_u32 v2, vcc_lo, s0, v0
	v_add_co_ci_u32_e32 v3, vcc_lo, s1, v1, vcc_lo
	v_lshlrev_b64 v[0:1], 2, v[203:204]
	s_delay_alu instid0(VALU_DEP_1) | instskip(NEXT) | instid1(VALU_DEP_2)
	v_add_co_u32 v8, vcc_lo, s0, v0
	v_add_co_ci_u32_e32 v9, vcc_lo, s1, v1, vcc_lo
	v_add_co_u32 v0, vcc_lo, v2, v51
	v_add_co_ci_u32_e32 v1, vcc_lo, 0, v3, vcc_lo
	s_delay_alu instid0(VALU_DEP_4) | instskip(NEXT) | instid1(VALU_DEP_4)
	v_add_co_u32 v8, vcc_lo, v8, v200
	v_add_co_ci_u32_e32 v9, vcc_lo, 0, v9, vcc_lo
	s_clause 0x1
	global_load_b128 v[0:3], v[0:1], off offset:128
	global_load_b128 v[8:11], v[8:9], off
	s_waitcnt vmcnt(2)
	ds_store_b128 v23, v[4:7]
	s_waitcnt vmcnt(1)
	ds_store_b128 v25, v[0:3]
	v_lshlrev_b64 v[0:1], 2, v[185:186]
	s_delay_alu instid0(VALU_DEP_1) | instskip(NEXT) | instid1(VALU_DEP_2)
	v_add_co_u32 v2, vcc_lo, s0, v0
	v_add_co_ci_u32_e32 v3, vcc_lo, s1, v1, vcc_lo
	v_lshlrev_b64 v[0:1], 2, v[201:202]
	s_delay_alu instid0(VALU_DEP_1) | instskip(NEXT) | instid1(VALU_DEP_2)
	v_add_co_u32 v4, vcc_lo, s0, v0
	v_add_co_ci_u32_e32 v5, vcc_lo, s1, v1, vcc_lo
	v_add_co_u32 v0, vcc_lo, v2, v200
	v_add_co_ci_u32_e32 v1, vcc_lo, 0, v3, vcc_lo
	s_delay_alu instid0(VALU_DEP_4) | instskip(NEXT) | instid1(VALU_DEP_4)
	v_add_co_u32 v4, vcc_lo, v4, v200
	v_add_co_ci_u32_e32 v5, vcc_lo, 0, v5, vcc_lo
	s_clause 0x1
	global_load_b128 v[0:3], v[0:1], off
	global_load_b128 v[4:7], v[4:5], off
	s_waitcnt vmcnt(2)
	ds_store_b128 v26, v[8:11]
	s_waitcnt vmcnt(1)
	ds_store_b128 v27, v[0:3]
	v_lshlrev_b64 v[0:1], 2, v[177:178]
	s_delay_alu instid0(VALU_DEP_1) | instskip(NEXT) | instid1(VALU_DEP_2)
	v_add_co_u32 v0, vcc_lo, s0, v0
	v_add_co_ci_u32_e32 v1, vcc_lo, s1, v1, vcc_lo
	v_cmp_eq_u32_e64 s1, 1, v197
	s_delay_alu instid0(VALU_DEP_3) | instskip(NEXT) | instid1(VALU_DEP_3)
	v_add_co_u32 v0, vcc_lo, v0, v200
	v_add_co_ci_u32_e32 v1, vcc_lo, 0, v1, vcc_lo
	global_load_b128 v[0:3], v[0:1], off
	s_waitcnt vmcnt(1)
	ds_store_b128 v30, v[4:7]
	s_waitcnt vmcnt(0)
	ds_store_b128 v33, v[0:3]
	v_dual_mov_b32 v0, v250 :: v_dual_add_f32 v1, 0x40051340, v12
	v_dual_add_f32 v2, 0x40051340, v13 :: v_dual_add_f32 v3, 0x40051340, v15
	s_waitcnt lgkmcnt(0)
	s_waitcnt_vscnt null, 0x0
	s_barrier
	buffer_gl0_inv
	v_max3_f32 v1, v0, v1, v2
	v_add_f32_e32 v2, 0x40051340, v14
	ds_load_u16 v126, v230 offset:2880
	ds_load_u16 v127, v230 offset:3360
	;; [unrolled: 1-line block ×25, first 2 shown]
	v_max3_f32 v1, v1, v2, v3
	v_dual_add_f32 v2, 0x40051340, v16 :: v_dual_add_f32 v3, 0x40051340, v17
	s_delay_alu instid0(VALU_DEP_1) | instskip(SKIP_1) | instid1(VALU_DEP_1)
	v_max3_f32 v1, v1, v2, v3
	v_dual_add_f32 v2, 0x40051340, v118 :: v_dual_add_f32 v3, 0x40051340, v119
	v_max3_f32 v1, v1, v2, v3
	v_add_f32_e32 v2, 0x40051340, v32
	v_add_f32_e32 v3, 0x40051340, v24
	s_delay_alu instid0(VALU_DEP_1) | instskip(SKIP_1) | instid1(VALU_DEP_1)
	v_max3_f32 v1, v1, v2, v3
	v_dual_add_f32 v2, 0x40051340, v220 :: v_dual_add_f32 v3, 0x40051340, v55
	v_max3_f32 v1, v1, v2, v3
	v_dual_add_f32 v2, 0x40051340, v54 :: v_dual_add_f32 v3, 0x40051340, v53
	s_delay_alu instid0(VALU_DEP_1)
	v_max3_f32 v1, v1, v2, v3
	v_dual_add_f32 v2, 0x40051340, v52 :: v_dual_add_f32 v3, 0x40051340, v31
	v_mov_b32_e32 v55, v41
	v_mov_b32_e32 v51, v37
	;; [unrolled: 1-line block ×4, first 2 shown]
	v_max3_f32 v1, v1, v2, v3
	ds_bpermute_b32 v2, v193, v1
	s_waitcnt lgkmcnt(0)
	v_max_f32_e32 v2, v2, v2
	s_delay_alu instid0(VALU_DEP_1) | instskip(NEXT) | instid1(VALU_DEP_1)
	v_max_f32_e32 v250, v1, v2
	v_sub_f32_e32 v1, v13, v250
	s_delay_alu instid0(VALU_DEP_1) | instskip(SKIP_1) | instid1(VALU_DEP_2)
	v_mul_f32_e32 v2, 0x3fb8aa3b, v1
	v_cmp_ngt_f32_e32 vcc_lo, 0xc2ce8ed0, v1
	v_fma_f32 v3, 0x3fb8aa3b, v1, -v2
	v_rndne_f32_e32 v4, v2
	s_delay_alu instid0(VALU_DEP_1) | instskip(SKIP_1) | instid1(VALU_DEP_2)
	v_dual_fmac_f32 v3, 0x32a5705f, v1 :: v_dual_sub_f32 v2, v2, v4
	v_cvt_i32_f32_e32 v4, v4
	v_dual_add_f32 v2, v2, v3 :: v_dual_sub_f32 v3, v12, v250
	s_delay_alu instid0(VALU_DEP_1) | instskip(NEXT) | instid1(VALU_DEP_1)
	v_exp_f32_e32 v2, v2
	v_mul_f32_e32 v5, 0x3fb8aa3b, v3
	v_cmp_ngt_f32_e64 s0, 0xc2ce8ed0, v3
	v_sub_f32_e32 v0, v0, v250
	s_delay_alu instid0(VALU_DEP_3)
	v_fma_f32 v6, 0x3fb8aa3b, v3, -v5
	v_rndne_f32_e32 v7, v5
	s_waitcnt_depctr 0xfff
	v_ldexp_f32 v2, v2, v4
	v_fmac_f32_e32 v6, 0x32a5705f, v3
	v_sub_f32_e32 v5, v5, v7
	v_cvt_i32_f32_e32 v4, v7
	s_delay_alu instid0(VALU_DEP_4) | instskip(SKIP_1) | instid1(VALU_DEP_4)
	v_cndmask_b32_e32 v2, 0, v2, vcc_lo
	v_cmp_nlt_f32_e32 vcc_lo, 0x42b17218, v1
	v_add_f32_e32 v5, v5, v6
	s_delay_alu instid0(VALU_DEP_3) | instskip(NEXT) | instid1(VALU_DEP_2)
	v_cndmask_b32_e32 v252, 0x7f800000, v2, vcc_lo
	v_exp_f32_e32 v5, v5
	v_cmp_eq_u32_e32 vcc_lo, 1, v172
	s_waitcnt_depctr 0xfff
	v_ldexp_f32 v4, v5, v4
	s_delay_alu instid0(VALU_DEP_1)
	v_cndmask_b32_e64 v1, 0, v4, s0
	v_cmp_nlt_f32_e64 s0, 0x42b17218, v3
	ds_bpermute_b32 v3, v193, v252
	v_cndmask_b32_e64 v206, 0x7f800000, v1, s0
	v_cmp_eq_u32_e64 s0, 0, v172
	ds_bpermute_b32 v1, v193, v206
	s_waitcnt lgkmcnt(0)
	v_cndmask_b32_e32 v2, v206, v1, vcc_lo
	v_cndmask_b32_e64 v1, v206, v1, s0
	s_delay_alu instid0(VALU_DEP_2) | instskip(NEXT) | instid1(VALU_DEP_2)
	v_cndmask_b32_e64 v5, v2, v252, s1
	v_cndmask_b32_e64 v4, v1, v252, s2
	v_cvt_f16_f32_e32 v1, v1
	v_cvt_f16_f32_e32 v2, v2
	s_delay_alu instid0(VALU_DEP_3) | instskip(SKIP_1) | instid1(VALU_DEP_3)
	v_cndmask_b32_e64 v4, v4, v3, s0
	v_cndmask_b32_e32 v3, v5, v3, vcc_lo
	v_pack_b32_f16 v112, v1, v2
	v_sub_f32_e32 v1, v14, v250
	s_delay_alu instid0(VALU_DEP_4) | instskip(NEXT) | instid1(VALU_DEP_4)
	v_cvt_f16_f32_e32 v5, v4
	v_cvt_f16_f32_e32 v6, v3
	s_delay_alu instid0(VALU_DEP_3) | instskip(SKIP_1) | instid1(VALU_DEP_3)
	v_mul_f32_e32 v2, 0x3fb8aa3b, v1
	v_cmp_ngt_f32_e64 s3, 0xc2ce8ed0, v1
	v_pack_b32_f16 v113, v5, v6
	s_delay_alu instid0(VALU_DEP_3) | instskip(SKIP_1) | instid1(VALU_DEP_1)
	v_fma_f32 v5, 0x3fb8aa3b, v1, -v2
	v_rndne_f32_e32 v6, v2
	v_dual_fmac_f32 v5, 0x32a5705f, v1 :: v_dual_sub_f32 v2, v2, v6
	s_delay_alu instid0(VALU_DEP_1) | instskip(SKIP_1) | instid1(VALU_DEP_2)
	v_add_f32_e32 v2, v2, v5
	v_cvt_i32_f32_e32 v5, v6
	v_exp_f32_e32 v2, v2
	s_waitcnt_depctr 0xfff
	v_ldexp_f32 v2, v2, v5
	s_delay_alu instid0(VALU_DEP_1) | instskip(SKIP_1) | instid1(VALU_DEP_1)
	v_cndmask_b32_e64 v2, 0, v2, s3
	v_cmp_nlt_f32_e64 s3, 0x42b17218, v1
	v_cndmask_b32_e64 v234, 0x7f800000, v2, s3
	s_delay_alu instid0(VALU_DEP_1) | instskip(SKIP_3) | instid1(VALU_DEP_1)
	v_cndmask_b32_e64 v2, v3, v234, s1
	ds_bpermute_b32 v3, v193, v234
	v_cndmask_b32_e64 v1, v4, v234, s2
	s_waitcnt lgkmcnt(0)
	v_cndmask_b32_e64 v1, v1, v3, s0
	v_cndmask_b32_e32 v2, v2, v3, vcc_lo
	s_delay_alu instid0(VALU_DEP_2) | instskip(NEXT) | instid1(VALU_DEP_2)
	v_cvt_f16_f32_e32 v3, v1
	v_cvt_f16_f32_e32 v4, v2
	s_delay_alu instid0(VALU_DEP_1) | instskip(SKIP_1) | instid1(VALU_DEP_1)
	v_pack_b32_f16 v114, v3, v4
	v_sub_f32_e32 v3, v15, v250
	v_mul_f32_e32 v4, 0x3fb8aa3b, v3
	v_cmp_ngt_f32_e64 s3, 0xc2ce8ed0, v3
	s_delay_alu instid0(VALU_DEP_2) | instskip(SKIP_1) | instid1(VALU_DEP_1)
	v_fma_f32 v5, 0x3fb8aa3b, v3, -v4
	v_rndne_f32_e32 v6, v4
	v_dual_fmac_f32 v5, 0x32a5705f, v3 :: v_dual_sub_f32 v4, v4, v6
	s_delay_alu instid0(VALU_DEP_1) | instskip(SKIP_1) | instid1(VALU_DEP_2)
	v_add_f32_e32 v4, v4, v5
	v_cvt_i32_f32_e32 v5, v6
	v_exp_f32_e32 v4, v4
	s_waitcnt_depctr 0xfff
	v_ldexp_f32 v4, v4, v5
	s_delay_alu instid0(VALU_DEP_1) | instskip(SKIP_1) | instid1(VALU_DEP_1)
	v_cndmask_b32_e64 v4, 0, v4, s3
	v_cmp_nlt_f32_e64 s3, 0x42b17218, v3
	v_cndmask_b32_e64 v187, 0x7f800000, v4, s3
	ds_bpermute_b32 v3, v193, v187
	v_cndmask_b32_e64 v1, v1, v187, s2
	v_cndmask_b32_e64 v2, v2, v187, s1
	s_waitcnt lgkmcnt(0)
	s_delay_alu instid0(VALU_DEP_2) | instskip(NEXT) | instid1(VALU_DEP_2)
	v_cndmask_b32_e64 v1, v1, v3, s0
	v_cndmask_b32_e32 v2, v2, v3, vcc_lo
	s_delay_alu instid0(VALU_DEP_2) | instskip(NEXT) | instid1(VALU_DEP_2)
	v_cvt_f16_f32_e32 v3, v1
	v_cvt_f16_f32_e32 v4, v2
	s_delay_alu instid0(VALU_DEP_1) | instskip(SKIP_1) | instid1(VALU_DEP_1)
	v_pack_b32_f16 v115, v3, v4
	v_sub_f32_e32 v3, v16, v250
	v_mul_f32_e32 v4, 0x3fb8aa3b, v3
	v_cmp_ngt_f32_e64 s3, 0xc2ce8ed0, v3
	s_delay_alu instid0(VALU_DEP_2) | instskip(SKIP_1) | instid1(VALU_DEP_1)
	v_fma_f32 v5, 0x3fb8aa3b, v3, -v4
	v_rndne_f32_e32 v6, v4
	v_dual_fmac_f32 v5, 0x32a5705f, v3 :: v_dual_sub_f32 v4, v4, v6
	s_delay_alu instid0(VALU_DEP_1) | instskip(SKIP_1) | instid1(VALU_DEP_2)
	v_add_f32_e32 v4, v4, v5
	v_cvt_i32_f32_e32 v5, v6
	v_exp_f32_e32 v4, v4
	s_waitcnt_depctr 0xfff
	v_ldexp_f32 v4, v4, v5
	s_delay_alu instid0(VALU_DEP_1) | instskip(SKIP_1) | instid1(VALU_DEP_1)
	v_cndmask_b32_e64 v4, 0, v4, s3
	v_cmp_nlt_f32_e64 s3, 0x42b17218, v3
	v_cndmask_b32_e64 v188, 0x7f800000, v4, s3
	ds_bpermute_b32 v3, v193, v188
	v_cndmask_b32_e64 v1, v1, v188, s2
	v_cndmask_b32_e64 v2, v2, v188, s1
	s_waitcnt lgkmcnt(0)
	s_delay_alu instid0(VALU_DEP_2) | instskip(NEXT) | instid1(VALU_DEP_2)
	;; [unrolled: 29-line block ×4, first 2 shown]
	v_cndmask_b32_e64 v1, v1, v3, s0
	v_cndmask_b32_e32 v2, v2, v3, vcc_lo
	s_delay_alu instid0(VALU_DEP_2) | instskip(NEXT) | instid1(VALU_DEP_2)
	v_cvt_f16_f32_e32 v3, v1
	v_cvt_f16_f32_e32 v4, v2
	s_delay_alu instid0(VALU_DEP_1) | instskip(SKIP_1) | instid1(VALU_DEP_1)
	v_pack_b32_f16 v118, v3, v4
	v_sub_f32_e32 v3, v119, v250
	v_mul_f32_e32 v4, 0x3fb8aa3b, v3
	v_cmp_ngt_f32_e64 s3, 0xc2ce8ed0, v3
	s_delay_alu instid0(VALU_DEP_2) | instskip(SKIP_1) | instid1(VALU_DEP_1)
	v_fma_f32 v5, 0x3fb8aa3b, v3, -v4
	v_rndne_f32_e32 v6, v4
	v_dual_fmac_f32 v5, 0x32a5705f, v3 :: v_dual_sub_f32 v4, v4, v6
	s_delay_alu instid0(VALU_DEP_1) | instskip(SKIP_1) | instid1(VALU_DEP_2)
	v_add_f32_e32 v4, v4, v5
	v_cvt_i32_f32_e32 v5, v6
	v_exp_f32_e32 v4, v4
	s_waitcnt_depctr 0xfff
	v_ldexp_f32 v4, v4, v5
	s_delay_alu instid0(VALU_DEP_1) | instskip(SKIP_1) | instid1(VALU_DEP_1)
	v_cndmask_b32_e64 v4, 0, v4, s3
	v_cmp_nlt_f32_e64 s3, 0x42b17218, v3
	v_cndmask_b32_e64 v191, 0x7f800000, v4, s3
	v_cmp_ngt_f32_e64 s3, 0xc2ce8ed0, v0
	ds_bpermute_b32 v3, v193, v191
	v_cndmask_b32_e64 v1, v1, v191, s2
	v_cndmask_b32_e64 v2, v2, v191, s1
	s_waitcnt lgkmcnt(0)
	s_delay_alu instid0(VALU_DEP_2) | instskip(NEXT) | instid1(VALU_DEP_2)
	v_cndmask_b32_e64 v1, v1, v3, s0
	v_cndmask_b32_e32 v2, v2, v3, vcc_lo
	s_delay_alu instid0(VALU_DEP_2) | instskip(NEXT) | instid1(VALU_DEP_2)
	v_cvt_f16_f32_e32 v1, v1
	v_cvt_f16_f32_e32 v2, v2
	s_delay_alu instid0(VALU_DEP_1) | instskip(SKIP_1) | instid1(VALU_DEP_1)
	v_pack_b32_f16 v119, v1, v2
	v_mul_f32_e32 v1, 0x3fb8aa3b, v0
	v_fma_f32 v2, 0x3fb8aa3b, v0, -v1
	v_rndne_f32_e32 v3, v1
	s_delay_alu instid0(VALU_DEP_1) | instskip(NEXT) | instid1(VALU_DEP_1)
	v_dual_fmac_f32 v2, 0x32a5705f, v0 :: v_dual_sub_f32 v1, v1, v3
	v_add_f32_e32 v1, v1, v2
	v_cvt_i32_f32_e32 v2, v3
	s_delay_alu instid0(VALU_DEP_2) | instskip(SKIP_2) | instid1(VALU_DEP_1)
	v_exp_f32_e32 v1, v1
	s_waitcnt_depctr 0xfff
	v_ldexp_f32 v1, v1, v2
	v_cndmask_b32_e64 v1, 0, v1, s3
	v_cmp_nlt_f32_e64 s3, 0x42b17218, v0
	s_delay_alu instid0(VALU_DEP_1) | instskip(SKIP_1) | instid1(VALU_DEP_1)
	v_cndmask_b32_e64 v1, 0x7f800000, v1, s3
	v_cmp_le_f32_e64 s3, 0xc1a00000, v0
	v_cndmask_b32_e64 v192, 0, v1, s3
	v_mov_b32_e32 v0, v197
	v_dual_mov_b32 v198, v157 :: v_dual_mov_b32 v197, v156
	ds_load_u16 v156, v216 offset:1920
	ds_load_u16 v157, v216 offset:2400
	;; [unrolled: 1-line block ×4, first 2 shown]
	ds_load_u16 v120, v230
	ds_load_u16 v128, v230 offset:32
	ds_load_u16 v136, v230 offset:64
	;; [unrolled: 1-line block ×7, first 2 shown]
	v_dual_mul_f32 v103, v103, v192 :: v_dual_mov_b32 v226, v169
	v_mul_f32_e32 v91, v91, v192
	v_dual_mov_b32 v224, v167 :: v_dual_mul_f32 v97, v97, v192
	v_dual_mov_b32 v222, v165 :: v_dual_mul_f32 v95, v95, v192
	ds_load_u16 v164, v246 offset:1920
	ds_load_u16 v165, v246 offset:2400
	ds_load_u16 v166, v246 offset:2880
	ds_load_u16 v167, v246 offset:3360
	ds_load_u16 v169, v251 offset:480
	ds_load_u16 v170, v251 offset:960
	ds_load_u16 v171, v251 offset:1440
	ds_load_u16 v121, v230 offset:480
	ds_load_u16 v168, v230 offset:192
	ds_load_u16 v173, v251 offset:2400
	ds_load_u16 v174, v251 offset:2880
	ds_load_u16 v175, v251 offset:3360
	ds_load_u16 v208, v229 offset:480
	ds_load_u16 v209, v229 offset:960
	ds_load_u16 v210, v229 offset:1440
	ds_load_u16 v211, v229 offset:1920
	ds_load_u16 v212, v229 offset:2400
	ds_load_u16 v213, v229 offset:2880
	ds_load_u16 v214, v229 offset:3360
	ds_load_u16 v1, v181 offset:480
	ds_load_u16 v4, v181 offset:1920
	ds_load_u16 v5, v181 offset:2400
	ds_load_u16 v6, v181 offset:2880
	ds_load_u16 v7, v181 offset:3360
	ds_load_u16 v3, v181 offset:1440
	ds_load_u16 v2, v181 offset:960
	ds_load_u16 v9, v199 offset:480
	ds_load_u16 v10, v199 offset:960
	ds_load_u16 v13, v199 offset:2400
	ds_load_u16 v14, v199 offset:2880
	ds_load_u16 v15, v199 offset:3360
	ds_load_u16 v12, v199 offset:1920
	ds_load_u16 v11, v199 offset:1440
	ds_load_u16 v17, v215 offset:480
	ds_load_u16 v18, v215 offset:960
	ds_load_u16 v21, v215 offset:2400
	ds_load_u16 v22, v215 offset:2880
	ds_load_u16 v23, v215 offset:3360
	ds_load_u16 v20, v215 offset:1920
	ds_load_u16 v19, v215 offset:1440
	ds_load_u16 v25, v245 offset:480
	ds_load_u16 v26, v245 offset:960
	ds_load_u16 v29, v245 offset:2400
	ds_load_u16 v30, v245 offset:2880
	ds_load_u16 v28, v245 offset:1920
	ds_load_u16 v27, v245 offset:1440
	ds_load_u16 v33, v205 offset:480
	v_dual_mov_b32 v54, v40 :: v_dual_mul_f32 v81, v81, v192
	v_dual_mov_b32 v52, v38 :: v_dual_mul_f32 v85, v85, v192
	;; [unrolled: 1-line block ×4, first 2 shown]
	ds_load_u16 v37, v205 offset:2400
	ds_load_u16 v39, v205 offset:3360
	;; [unrolled: 1-line block ×10, first 2 shown]
	s_waitcnt lgkmcnt(37)
	ds_load_u16_d16_hi v1, v232 offset:8400
	s_waitcnt lgkmcnt(33)
	ds_load_u16_d16_hi v3, v232 offset:9360
	ds_load_u16 v133, v232 offset:2400
	ds_load_u16_d16_hi v134, v230 offset:3152
	ds_load_u16_d16_hi v135, v230 offset:3632
	;; [unrolled: 1-line block ×6, first 2 shown]
	s_waitcnt lgkmcnt(39)
	ds_load_u16_d16_hi v9, v182 offset:8400
	s_waitcnt lgkmcnt(35)
	ds_load_u16_d16_hi v12, v182 offset:9840
	;; [unrolled: 2-line block ×7, first 2 shown]
	v_dual_mov_b32 v8, v172 :: v_dual_mul_f32 v101, v101, v192
	s_waitcnt lgkmcnt(22)
	ds_load_u16_d16_hi v36, v246 offset:9840
	ds_load_u16_d16_hi v122, v230 offset:1200
	;; [unrolled: 1-line block ×12, first 2 shown]
	s_waitcnt lgkmcnt(32)
	ds_load_u16_d16_hi v41, v251 offset:8400
	s_waitcnt lgkmcnt(30)
	ds_load_u16_d16_hi v44, v251 offset:9840
	ds_load_u16_d16_hi v47, v251 offset:11280
	ds_load_u16 v172, v251 offset:1920
	ds_load_u16_d16_hi v171, v230 offset:1872
	ds_load_u16_d16_hi v124, v230 offset:2160
	;; [unrolled: 1-line block ×18, first 2 shown]
	s_waitcnt lgkmcnt(47)
	ds_load_u16_d16_hi v133, v230 offset:2672
	s_waitcnt lgkmcnt(19)
	ds_load_u16_d16_hi v172, v230 offset:2352
	ds_load_u16_d16_hi v125, v230 offset:2640
	;; [unrolled: 1-line block ×15, first 2 shown]
	ds_load_u16 v207, v230 offset:7680
	ds_load_u16_d16_hi v208, v230 offset:8400
	ds_load_u16 v129, v232 offset:480
	ds_load_u16 v137, v182 offset:480
	;; [unrolled: 1-line block ×6, first 2 shown]
	s_waitcnt lgkmcnt(5)
	ds_load_u16_d16_hi v129, v230 offset:752
	s_waitcnt lgkmcnt(5)
	ds_load_u16_d16_hi v137, v230 offset:784
	;; [unrolled: 2-line block ×5, first 2 shown]
	v_mul_f32_e32 v72, v72, v192
	v_mul_f32_e32 v74, v74, v192
	;; [unrolled: 1-line block ×18, first 2 shown]
	v_wmma_f32_16x16x16_f16 v[56:63], v[168:175], v[112:119], v[56:63]
	v_mov_b32_e32 v172, v8
	s_waitcnt lgkmcnt(1)
	v_wmma_f32_16x16x16_f16 v[72:79], v[152:159], v[112:119], v[72:79]
	v_dual_mov_b32 v156, v197 :: v_dual_mov_b32 v157, v198
	v_mov_b32_e32 v197, v0
	v_dual_sub_f32 v0, v24, v250 :: v_dual_mul_f32 v65, v65, v192
	v_mul_f32_e32 v66, v66, v192
	v_mul_f32_e32 v67, v67, v192
	;; [unrolled: 1-line block ×3, first 2 shown]
	s_delay_alu instid0(VALU_DEP_4)
	v_mul_f32_e32 v8, 0x3fb8aa3b, v0
	v_cmp_ngt_f32_e64 s3, 0xc2ce8ed0, v0
	v_mul_f32_e32 v69, v69, v192
	v_mul_f32_e32 v70, v70, v192
	;; [unrolled: 1-line block ×3, first 2 shown]
	v_fma_f32 v16, 0x3fb8aa3b, v0, -v8
	v_rndne_f32_e32 v24, v8
	v_mul_f32_e32 v105, v105, v192
	v_mul_f32_e32 v107, v107, v192
	;; [unrolled: 1-line block ×3, first 2 shown]
	v_fmac_f32_e32 v16, 0x32a5705f, v0
	v_sub_f32_e32 v8, v8, v24
	v_cvt_i32_f32_e32 v24, v24
	v_mul_f32_e32 v109, v109, v192
	v_mul_f32_e32 v110, v110, v192
	;; [unrolled: 1-line block ×3, first 2 shown]
	v_add_f32_e32 v8, v8, v16
	v_sub_f32_e32 v16, v32, v250
	s_waitcnt lgkmcnt(0)
	v_wmma_f32_16x16x16_f16 v[64:71], v[160:167], v[112:119], v[64:71]
	v_dual_mov_b32 v164, v221 :: v_dual_mov_b32 v167, v224
	v_exp_f32_e32 v8, v8
	v_mul_f32_e32 v32, 0x3fb8aa3b, v16
	v_cmp_ngt_f32_e64 s4, 0xc2ce8ed0, v16
	v_mov_b32_e32 v165, v222
	v_wmma_f32_16x16x16_f16 v[104:111], v[120:127], v[112:119], v[104:111]
	v_dual_mul_f32 v96, v96, v192 :: v_dual_mov_b32 v169, v226
	v_fma_f32 v35, 0x3fb8aa3b, v16, -v32
	v_rndne_f32_e32 v40, v32
	v_dual_mul_f32 v98, v98, v192 :: v_dual_mov_b32 v171, v228
	s_delay_alu instid0(TRANS32_DEP_1) | instskip(NEXT) | instid1(VALU_DEP_4)
	v_ldexp_f32 v8, v8, v24
	v_fmac_f32_e32 v35, 0x32a5705f, v16
	s_delay_alu instid0(VALU_DEP_4)
	v_sub_f32_e32 v32, v32, v40
	v_cvt_i32_f32_e32 v24, v40
	v_mul_f32_e32 v100, v100, v192
	v_cndmask_b32_e64 v8, 0, v8, s3
	v_cmp_nlt_f32_e64 s3, 0x42b17218, v0
	v_add_f32_e32 v32, v32, v35
	v_mul_f32_e32 v102, v102, v192
	v_mul_f32_e32 v88, v88, v192
	;; [unrolled: 1-line block ×3, first 2 shown]
	v_cndmask_b32_e64 v121, 0x7f800000, v8, s3
	v_exp_f32_e32 v32, v32
	v_mul_f32_e32 v90, v90, v192
	v_mul_f32_e32 v92, v92, v192
	v_mul_f32_e32 v93, v93, v192
	v_mul_f32_e32 v83, v83, v192
	v_mul_f32_e32 v86, v86, v192
	v_mul_f32_e32 v87, v87, v192
	v_mul_f32_e32 v94, v94, v192
	v_mul_f32_e32 v80, v80, v192
	v_mul_f32_e32 v82, v82, v192
	v_ldexp_f32 v24, v32, v24
	v_mul_f32_e32 v84, v84, v192
	v_wmma_f32_16x16x16_f16 v[96:103], v[128:135], v[112:119], v[96:103]
	v_wmma_f32_16x16x16_f16 v[88:95], v[136:143], v[112:119], v[88:95]
	v_mov_b32_e32 v166, v223
	v_cndmask_b32_e64 v0, 0, v24, s4
	v_cmp_nlt_f32_e64 s4, 0x42b17218, v16
	ds_bpermute_b32 v16, v193, v121
	v_wmma_f32_16x16x16_f16 v[80:87], v[144:151], v[112:119], v[80:87]
	v_mov_b32_e32 v168, v225
	v_mov_b32_e32 v170, v227
	v_cndmask_b32_e64 v120, 0x7f800000, v0, s4
	ds_bpermute_b32 v0, v193, v120
	s_waitcnt lgkmcnt(0)
	v_cndmask_b32_e32 v8, v120, v0, vcc_lo
	v_cndmask_b32_e64 v0, v120, v0, s0
	s_delay_alu instid0(VALU_DEP_2) | instskip(NEXT) | instid1(VALU_DEP_2)
	v_cndmask_b32_e64 v32, v8, v121, s1
	v_cndmask_b32_e64 v24, v0, v121, s2
	v_cvt_f16_f32_e32 v0, v0
	v_cvt_f16_f32_e32 v8, v8
	s_delay_alu instid0(VALU_DEP_3) | instskip(SKIP_1) | instid1(VALU_DEP_3)
	v_cndmask_b32_e64 v24, v24, v16, s0
	v_cndmask_b32_e32 v16, v32, v16, vcc_lo
	v_pack_b32_f16 v112, v0, v8
	v_sub_f32_e32 v0, v220, v250
	s_delay_alu instid0(VALU_DEP_4) | instskip(NEXT) | instid1(VALU_DEP_4)
	v_cvt_f16_f32_e32 v32, v24
	v_cvt_f16_f32_e32 v35, v16
	s_delay_alu instid0(VALU_DEP_3) | instskip(SKIP_1) | instid1(VALU_DEP_3)
	v_mul_f32_e32 v8, 0x3fb8aa3b, v0
	v_cmp_ngt_f32_e64 s3, 0xc2ce8ed0, v0
	v_pack_b32_f16 v113, v32, v35
	s_delay_alu instid0(VALU_DEP_3) | instskip(SKIP_1) | instid1(VALU_DEP_2)
	v_fma_f32 v32, 0x3fb8aa3b, v0, -v8
	v_rndne_f32_e32 v35, v8
	v_fmac_f32_e32 v32, 0x32a5705f, v0
	s_delay_alu instid0(VALU_DEP_2) | instskip(NEXT) | instid1(VALU_DEP_1)
	v_sub_f32_e32 v8, v8, v35
	v_add_f32_e32 v8, v8, v32
	v_cvt_i32_f32_e32 v32, v35
	s_delay_alu instid0(VALU_DEP_2) | instskip(SKIP_2) | instid1(VALU_DEP_1)
	v_exp_f32_e32 v8, v8
	s_waitcnt_depctr 0xfff
	v_ldexp_f32 v8, v8, v32
	v_cndmask_b32_e64 v8, 0, v8, s3
	v_cmp_nlt_f32_e64 s3, 0x42b17218, v0
	s_delay_alu instid0(VALU_DEP_1) | instskip(NEXT) | instid1(VALU_DEP_1)
	v_cndmask_b32_e64 v122, 0x7f800000, v8, s3
	v_cndmask_b32_e64 v8, v16, v122, s1
	ds_bpermute_b32 v16, v193, v122
	v_cndmask_b32_e64 v0, v24, v122, s2
	s_waitcnt lgkmcnt(0)
	s_delay_alu instid0(VALU_DEP_1) | instskip(SKIP_1) | instid1(VALU_DEP_2)
	v_cndmask_b32_e64 v0, v0, v16, s0
	v_cndmask_b32_e32 v8, v8, v16, vcc_lo
	v_cvt_f16_f32_e32 v16, v0
	s_delay_alu instid0(VALU_DEP_2) | instskip(NEXT) | instid1(VALU_DEP_1)
	v_cvt_f16_f32_e32 v24, v8
	v_pack_b32_f16 v114, v16, v24
	scratch_load_b32 v16, off, off offset:16 ; 4-byte Folded Reload
	s_waitcnt vmcnt(0)
	v_sub_f32_e32 v16, v16, v250
	s_delay_alu instid0(VALU_DEP_1) | instskip(SKIP_1) | instid1(VALU_DEP_2)
	v_mul_f32_e32 v24, 0x3fb8aa3b, v16
	v_cmp_ngt_f32_e64 s3, 0xc2ce8ed0, v16
	v_fma_f32 v32, 0x3fb8aa3b, v16, -v24
	v_rndne_f32_e32 v35, v24
	s_delay_alu instid0(VALU_DEP_2) | instskip(NEXT) | instid1(VALU_DEP_2)
	v_fmac_f32_e32 v32, 0x32a5705f, v16
	v_sub_f32_e32 v24, v24, v35
	s_delay_alu instid0(VALU_DEP_1) | instskip(SKIP_1) | instid1(VALU_DEP_2)
	v_add_f32_e32 v24, v24, v32
	v_cvt_i32_f32_e32 v32, v35
	v_exp_f32_e32 v24, v24
	s_waitcnt_depctr 0xfff
	v_ldexp_f32 v24, v24, v32
	s_delay_alu instid0(VALU_DEP_1) | instskip(SKIP_1) | instid1(VALU_DEP_1)
	v_cndmask_b32_e64 v24, 0, v24, s3
	v_cmp_nlt_f32_e64 s3, 0x42b17218, v16
	v_cndmask_b32_e64 v123, 0x7f800000, v24, s3
	ds_bpermute_b32 v16, v193, v123
	v_cndmask_b32_e64 v0, v0, v123, s2
	v_cndmask_b32_e64 v8, v8, v123, s1
	s_waitcnt lgkmcnt(0)
	s_delay_alu instid0(VALU_DEP_2) | instskip(NEXT) | instid1(VALU_DEP_2)
	v_cndmask_b32_e64 v0, v0, v16, s0
	v_cndmask_b32_e32 v8, v8, v16, vcc_lo
	s_delay_alu instid0(VALU_DEP_2) | instskip(NEXT) | instid1(VALU_DEP_2)
	v_cvt_f16_f32_e32 v16, v0
	v_cvt_f16_f32_e32 v24, v8
	s_delay_alu instid0(VALU_DEP_1) | instskip(SKIP_3) | instid1(VALU_DEP_1)
	v_pack_b32_f16 v115, v16, v24
	scratch_load_b32 v16, off, off offset:12 ; 4-byte Folded Reload
	s_waitcnt vmcnt(0)
	v_sub_f32_e32 v16, v16, v250
	v_mul_f32_e32 v24, 0x3fb8aa3b, v16
	v_cmp_ngt_f32_e64 s3, 0xc2ce8ed0, v16
	s_delay_alu instid0(VALU_DEP_2) | instskip(SKIP_1) | instid1(VALU_DEP_2)
	v_fma_f32 v32, 0x3fb8aa3b, v16, -v24
	v_rndne_f32_e32 v35, v24
	v_fmac_f32_e32 v32, 0x32a5705f, v16
	s_delay_alu instid0(VALU_DEP_2) | instskip(NEXT) | instid1(VALU_DEP_1)
	v_sub_f32_e32 v24, v24, v35
	v_add_f32_e32 v24, v24, v32
	v_cvt_i32_f32_e32 v32, v35
	s_delay_alu instid0(VALU_DEP_2) | instskip(SKIP_2) | instid1(VALU_DEP_1)
	v_exp_f32_e32 v24, v24
	s_waitcnt_depctr 0xfff
	v_ldexp_f32 v24, v24, v32
	v_cndmask_b32_e64 v24, 0, v24, s3
	v_cmp_nlt_f32_e64 s3, 0x42b17218, v16
	s_delay_alu instid0(VALU_DEP_1) | instskip(SKIP_4) | instid1(VALU_DEP_2)
	v_cndmask_b32_e64 v124, 0x7f800000, v24, s3
	ds_bpermute_b32 v16, v193, v124
	v_cndmask_b32_e64 v0, v0, v124, s2
	v_cndmask_b32_e64 v8, v8, v124, s1
	s_waitcnt lgkmcnt(0)
	v_cndmask_b32_e64 v0, v0, v16, s0
	s_delay_alu instid0(VALU_DEP_2) | instskip(NEXT) | instid1(VALU_DEP_2)
	v_cndmask_b32_e32 v8, v8, v16, vcc_lo
	v_cvt_f16_f32_e32 v16, v0
	s_delay_alu instid0(VALU_DEP_2) | instskip(NEXT) | instid1(VALU_DEP_1)
	v_cvt_f16_f32_e32 v24, v8
	v_pack_b32_f16 v116, v16, v24
	scratch_load_b32 v16, off, off offset:8 ; 4-byte Folded Reload
	s_waitcnt vmcnt(0)
	v_sub_f32_e32 v16, v16, v250
	s_delay_alu instid0(VALU_DEP_1) | instskip(SKIP_1) | instid1(VALU_DEP_2)
	v_mul_f32_e32 v24, 0x3fb8aa3b, v16
	v_cmp_ngt_f32_e64 s3, 0xc2ce8ed0, v16
	v_fma_f32 v32, 0x3fb8aa3b, v16, -v24
	v_rndne_f32_e32 v35, v24
	s_delay_alu instid0(VALU_DEP_2) | instskip(NEXT) | instid1(VALU_DEP_2)
	v_fmac_f32_e32 v32, 0x32a5705f, v16
	v_sub_f32_e32 v24, v24, v35
	s_delay_alu instid0(VALU_DEP_1) | instskip(SKIP_1) | instid1(VALU_DEP_2)
	v_add_f32_e32 v24, v24, v32
	v_cvt_i32_f32_e32 v32, v35
	v_exp_f32_e32 v24, v24
	s_waitcnt_depctr 0xfff
	v_ldexp_f32 v24, v24, v32
	s_delay_alu instid0(VALU_DEP_1) | instskip(SKIP_1) | instid1(VALU_DEP_1)
	v_cndmask_b32_e64 v24, 0, v24, s3
	v_cmp_nlt_f32_e64 s3, 0x42b17218, v16
	v_cndmask_b32_e64 v125, 0x7f800000, v24, s3
	ds_bpermute_b32 v16, v193, v125
	v_cndmask_b32_e64 v0, v0, v125, s2
	v_cndmask_b32_e64 v8, v8, v125, s1
	s_waitcnt lgkmcnt(0)
	s_delay_alu instid0(VALU_DEP_2) | instskip(NEXT) | instid1(VALU_DEP_2)
	v_cndmask_b32_e64 v0, v0, v16, s0
	v_cndmask_b32_e32 v8, v8, v16, vcc_lo
	s_delay_alu instid0(VALU_DEP_2) | instskip(NEXT) | instid1(VALU_DEP_2)
	v_cvt_f16_f32_e32 v16, v0
	v_cvt_f16_f32_e32 v24, v8
	s_delay_alu instid0(VALU_DEP_1) | instskip(SKIP_3) | instid1(VALU_DEP_1)
	v_pack_b32_f16 v117, v16, v24
	scratch_load_b32 v16, off, off offset:4 ; 4-byte Folded Reload
	s_waitcnt vmcnt(0)
	v_sub_f32_e32 v16, v16, v250
	v_mul_f32_e32 v24, 0x3fb8aa3b, v16
	v_cmp_ngt_f32_e64 s3, 0xc2ce8ed0, v16
	s_delay_alu instid0(VALU_DEP_2) | instskip(SKIP_1) | instid1(VALU_DEP_2)
	v_fma_f32 v32, 0x3fb8aa3b, v16, -v24
	v_rndne_f32_e32 v35, v24
	v_fmac_f32_e32 v32, 0x32a5705f, v16
	s_delay_alu instid0(VALU_DEP_2) | instskip(NEXT) | instid1(VALU_DEP_1)
	v_sub_f32_e32 v24, v24, v35
	v_add_f32_e32 v24, v24, v32
	v_cvt_i32_f32_e32 v32, v35
	s_delay_alu instid0(VALU_DEP_2) | instskip(SKIP_2) | instid1(VALU_DEP_1)
	v_exp_f32_e32 v24, v24
	s_waitcnt_depctr 0xfff
	v_ldexp_f32 v24, v24, v32
	v_cndmask_b32_e64 v24, 0, v24, s3
	v_cmp_nlt_f32_e64 s3, 0x42b17218, v16
	s_delay_alu instid0(VALU_DEP_1) | instskip(SKIP_4) | instid1(VALU_DEP_2)
	v_cndmask_b32_e64 v126, 0x7f800000, v24, s3
	ds_bpermute_b32 v16, v193, v126
	v_cndmask_b32_e64 v0, v0, v126, s2
	v_cndmask_b32_e64 v8, v8, v126, s1
	s_waitcnt lgkmcnt(0)
	v_cndmask_b32_e64 v0, v0, v16, s0
	s_delay_alu instid0(VALU_DEP_2) | instskip(NEXT) | instid1(VALU_DEP_2)
	v_cndmask_b32_e32 v8, v8, v16, vcc_lo
	v_cvt_f16_f32_e32 v16, v0
	s_delay_alu instid0(VALU_DEP_2) | instskip(NEXT) | instid1(VALU_DEP_1)
	v_cvt_f16_f32_e32 v24, v8
	v_pack_b32_f16 v118, v16, v24
	s_clause 0x2
	scratch_load_b32 v16, off, off
	scratch_load_b128 v[220:223], off, off offset:84
	scratch_load_b128 v[224:227], off, off offset:100
	s_waitcnt vmcnt(2)
	v_sub_f32_e32 v16, v16, v250
	s_delay_alu instid0(VALU_DEP_1) | instskip(SKIP_1) | instid1(VALU_DEP_2)
	v_mul_f32_e32 v24, 0x3fb8aa3b, v16
	v_cmp_ngt_f32_e64 s3, 0xc2ce8ed0, v16
	v_fma_f32 v32, 0x3fb8aa3b, v16, -v24
	v_rndne_f32_e32 v35, v24
	s_delay_alu instid0(VALU_DEP_2) | instskip(NEXT) | instid1(VALU_DEP_2)
	v_fmac_f32_e32 v32, 0x32a5705f, v16
	v_sub_f32_e32 v24, v24, v35
	s_delay_alu instid0(VALU_DEP_1) | instskip(SKIP_1) | instid1(VALU_DEP_2)
	v_add_f32_e32 v24, v24, v32
	v_cvt_i32_f32_e32 v32, v35
	v_exp_f32_e32 v24, v24
	s_waitcnt_depctr 0xfff
	v_ldexp_f32 v24, v24, v32
	s_delay_alu instid0(VALU_DEP_1) | instskip(SKIP_1) | instid1(VALU_DEP_1)
	v_cndmask_b32_e64 v24, 0, v24, s3
	v_cmp_nlt_f32_e64 s3, 0x42b17218, v16
	v_cndmask_b32_e64 v127, 0x7f800000, v24, s3
	ds_bpermute_b32 v16, v193, v127
	v_cndmask_b32_e64 v0, v0, v127, s2
	v_cndmask_b32_e64 v8, v8, v127, s1
	s_waitcnt lgkmcnt(0)
	s_delay_alu instid0(VALU_DEP_2) | instskip(NEXT) | instid1(VALU_DEP_2)
	v_cndmask_b32_e64 v0, v0, v16, s0
	v_cndmask_b32_e32 v8, v8, v16, vcc_lo
	s_delay_alu instid0(VALU_DEP_2) | instskip(NEXT) | instid1(VALU_DEP_2)
	v_cvt_f16_f32_e32 v0, v0
	v_cvt_f16_f32_e32 v8, v8
	s_delay_alu instid0(VALU_DEP_1)
	v_pack_b32_f16 v119, v0, v8
	ds_load_u16_d16_hi v207, v230 offset:7920
	ds_load_u16_d16_hi v209, v230 offset:8880
	;; [unrolled: 1-line block ×7, first 2 shown]
	ds_load_u16 v0, v232 offset:7680
	s_waitcnt lgkmcnt(0)
	ds_load_u16_d16_hi v0, v232 offset:7920
	ds_load_u16_d16_hi v2, v232 offset:8880
	;; [unrolled: 1-line block ×6, first 2 shown]
	ds_load_u16 v8, v182 offset:7680
	ds_load_u16_d16_hi v10, v182 offset:8880
	s_waitcnt lgkmcnt(1)
	ds_load_u16_d16_hi v8, v182 offset:7920
	ds_load_u16_d16_hi v11, v182 offset:9360
	;; [unrolled: 1-line block ×5, first 2 shown]
	ds_load_u16 v16, v196 offset:7680
	ds_load_u16_d16_hi v18, v196 offset:8880
	ds_load_u16_d16_hi v21, v196 offset:10320
	s_waitcnt lgkmcnt(2)
	ds_load_u16_d16_hi v16, v196 offset:7920
	ds_load_u16_d16_hi v19, v196 offset:9360
	;; [unrolled: 1-line block ×4, first 2 shown]
	ds_load_u16 v24, v216 offset:7680
	ds_load_u16_d16_hi v26, v216 offset:8880
	ds_load_u16_d16_hi v29, v216 offset:10320
	ds_load_u16_d16_hi v31, v216 offset:11280
	v_wmma_f32_16x16x16_f16 v[96:103], v[0:7], v[112:119], v[96:103]
	v_add_f32_e32 v0, v206, v252
	v_wmma_f32_16x16x16_f16 v[104:111], v[207:214], v[112:119], v[104:111]
	v_wmma_f32_16x16x16_f16 v[88:95], v[8:15], v[112:119], v[88:95]
	v_dual_mov_b32 v14, v235 :: v_dual_mov_b32 v15, v236
	s_delay_alu instid0(VALU_DEP_4) | instskip(NEXT) | instid1(VALU_DEP_1)
	v_dual_add_f32 v0, v234, v0 :: v_dual_mov_b32 v1, v231
	v_add_f32_e32 v0, v187, v0
	s_waitcnt lgkmcnt(4)
	v_wmma_f32_16x16x16_f16 v[80:87], v[16:23], v[112:119], v[80:87]
	scratch_load_b64 v[16:17], off, off offset:148 ; 8-byte Folded Reload
	s_waitcnt lgkmcnt(3)
	ds_load_u16_d16_hi v24, v216 offset:7920
	ds_load_u16_d16_hi v27, v216 offset:9360
	;; [unrolled: 1-line block ×3, first 2 shown]
	ds_load_u16 v32, v246 offset:7680
	ds_load_u16_d16_hi v34, v246 offset:8880
	ds_load_u16_d16_hi v37, v246 offset:10320
	;; [unrolled: 1-line block ×3, first 2 shown]
	ds_load_u16 v35, v205 offset:1440
	ds_load_u16 v45, v233 offset:2400
	s_waitcnt lgkmcnt(5)
	ds_load_u16_d16_hi v32, v246 offset:7920
	s_waitcnt lgkmcnt(2)
	ds_load_u16_d16_hi v35, v246 offset:9360
	ds_load_u16_d16_hi v38, v246 offset:10800
	ds_load_u16 v40, v251 offset:7680
	ds_load_u16_d16_hi v42, v251 offset:8880
	s_waitcnt lgkmcnt(5)
	ds_load_u16_d16_hi v45, v251 offset:10320
	ds_load_u16 v43, v233 offset:1440
	s_waitcnt lgkmcnt(3)
	ds_load_u16_d16_hi v40, v251 offset:7920
	v_add_f32_e32 v0, v188, v0
	s_waitcnt lgkmcnt(1)
	ds_load_u16_d16_hi v43, v251 offset:9360
	ds_load_u16_d16_hi v46, v251 offset:10800
	v_add_f32_e32 v0, v189, v0
	v_wmma_f32_16x16x16_f16 v[72:79], v[24:31], v[112:119], v[72:79]
	v_wmma_f32_16x16x16_f16 v[64:71], v[32:39], v[112:119], v[64:71]
	s_delay_alu instid0(VALU_DEP_3) | instskip(NEXT) | instid1(VALU_DEP_1)
	v_add_f32_e32 v0, v190, v0
	v_add_f32_e32 v0, v191, v0
	s_delay_alu instid0(VALU_DEP_1)
	v_add_f32_e32 v0, v120, v0
	s_waitcnt lgkmcnt(0)
	v_wmma_f32_16x16x16_f16 v[56:63], v[40:47], v[112:119], v[56:63]
	s_clause 0x2
	scratch_load_b32 v119, off, off offset:180
	scratch_load_b64 v[117:118], off, off offset:172
	scratch_load_b64 v[114:115], off, off offset:164
	v_add_f32_e32 v0, v121, v0
	v_dual_mov_b32 v34, v48 :: v_dual_mov_b32 v35, v49
	v_dual_mov_b32 v36, v50 :: v_dual_mov_b32 v37, v51
	;; [unrolled: 1-line block ×8, first 2 shown]
	s_clause 0x3
	scratch_load_b128 v[206:209], off, off offset:52
	scratch_load_b128 v[210:213], off, off offset:68
	;; [unrolled: 1-line block ×4, first 2 shown]
	v_add_f32_e32 v0, v122, v0
	scratch_load_b64 v[121:122], off, off offset:156 ; 8-byte Folded Reload
	s_waitcnt vmcnt(0)
	s_barrier
	buffer_gl0_inv
	v_add_f32_e32 v0, v123, v0
	s_delay_alu instid0(VALU_DEP_1) | instskip(NEXT) | instid1(VALU_DEP_1)
	v_add_f32_e32 v0, v124, v0
	v_add_f32_e32 v0, v125, v0
	s_delay_alu instid0(VALU_DEP_1) | instskip(NEXT) | instid1(VALU_DEP_1)
	v_add_f32_e32 v0, v126, v0
	v_add_f32_e32 v231, v127, v0
	s_delay_alu instid0(VALU_DEP_1)
	v_fmac_f32_e32 v231, v1, v192
	v_cmp_lt_i32_e32 vcc_lo, s33, v119
	s_cbranch_vccnz .LBB19_491
; %bb.492:
	s_clause 0x1f
	scratch_load_b32 v192, off, off offset:360
	scratch_load_b32 v214, off, off offset:568
	scratch_load_b64 v[232:233], off, off offset:468
	scratch_load_b32 v189, off, off offset:836
	scratch_load_b32 v191, off, off offset:840
	;; [unrolled: 1-line block ×16, first 2 shown]
	scratch_load_b128 v[128:131], off, off offset:20
	scratch_load_b128 v[132:135], off, off offset:36
	scratch_load_b64 v[7:8], off, off offset:364
	scratch_load_b32 v9, off, off offset:372
	scratch_load_b32 v52, off, off offset:376
	;; [unrolled: 1-line block ×6, first 2 shown]
	scratch_load_b64 v[12:13], off, off offset:400
	scratch_load_b64 v[22:23], off, off offset:408
	scratch_load_b32 v24, off, off offset:416
	scratch_load_b32 v25, off, off offset:420
	s_clause 0x8
	scratch_load_b32 v26, off, off offset:424
	scratch_load_b32 v27, off, off offset:428
	;; [unrolled: 1-line block ×9, first 2 shown]
	v_dual_mov_b32 v50, 32 :: v_dual_lshlrev_b32 v205, 1, v197
	v_mbcnt_lo_u32_b32 v51, -1, 0
.LBB19_493:
	s_lshl_b32 s0, s33, 6
	v_lshlrev_b64 v[0:1], 1, v[117:118]
	s_ashr_i32 s1, s0, 31
	v_lshlrev_b64 v[2:3], 1, v[114:115]
	s_lshl_b64 s[2:3], s[0:1], 1
	s_mov_b32 s16, 0
	s_add_u32 s2, s14, s2
	s_addc_u32 s3, s25, s3
	s_waitcnt vmcnt(0)
	v_add_co_u32 v4, s2, s2, v6
	s_delay_alu instid0(VALU_DEP_1) | instskip(SKIP_1) | instid1(VALU_DEP_2)
	v_add_co_ci_u32_e64 v5, null, s3, 0, s2
	s_mov_b32 s17, s16
	v_add_co_u32 v0, vcc_lo, v4, v0
	s_delay_alu instid0(VALU_DEP_2)
	v_add_co_ci_u32_e32 v1, vcc_lo, v5, v1, vcc_lo
	v_add_co_u32 v112, vcc_lo, v4, v2
	v_add_co_ci_u32_e32 v113, vcc_lo, v5, v3, vcc_lo
	s_mov_b32 s18, s16
	s_clause 0x1
	global_load_b32 v114, v[0:1], off
	global_load_b32 v0, v[112:113], off
	s_mov_b32 s19, s16
	s_mov_b32 s20, s16
	;; [unrolled: 1-line block ×5, first 2 shown]
	v_add_nc_u32_e32 v1, 0, v6
	s_mul_hi_u32 s2, s34, s0
	s_mul_i32 s3, s34, s1
	s_mul_i32 s4, s7, s0
	s_add_i32 s3, s2, s3
	v_add_nc_u32_e32 v2, v1, v9
	v_add_nc_u32_e32 v1, v1, v11
	s_mul_i32 s2, s34, s0
	s_add_i32 s3, s3, s4
	v_lshlrev_b64 v[116:117], 2, v[7:8]
	s_lshl_b64 s[2:3], s[2:3], 2
	v_lshlrev_b64 v[112:113], 2, v[22:23]
	s_add_u32 s2, s12, s2
	s_addc_u32 s3, s13, s3
	v_lshlrev_b32_e32 v8, 2, v22
	v_add_nc_u32_e32 v32, v136, v123
	s_mul_i32 s1, s30, s1
	s_waitcnt vmcnt(1)
	ds_store_b32 v2, v114 offset:15360
	s_waitcnt vmcnt(0)
	ds_store_b32 v1, v0 offset:15360
	v_lshlrev_b32_e32 v0, 2, v7
	v_lshlrev_b64 v[114:115], 2, v[12:13]
	s_delay_alu instid0(VALU_DEP_2) | instskip(SKIP_1) | instid1(VALU_DEP_1)
	v_add3_u32 v118, 0, v24, v0
	v_lshlrev_b64 v[0:1], 2, v[14:15]
	v_add_co_u32 v2, vcc_lo, s2, v0
	s_delay_alu instid0(VALU_DEP_2)
	v_add_co_ci_u32_e32 v3, vcc_lo, s3, v1, vcc_lo
	v_lshlrev_b64 v[0:1], 2, v[16:17]
	v_dual_mov_b32 v16, s16 :: v_dual_mov_b32 v19, s19
	v_mov_b32_e32 v23, s23
	v_add3_u32 v124, 0, v25, v8
	v_add3_u32 v125, 0, v27, v8
	v_add_co_u32 v4, vcc_lo, s2, v0
	v_add_co_ci_u32_e32 v5, vcc_lo, s3, v1, vcc_lo
	v_add_co_u32 v0, vcc_lo, v2, v116
	v_add_co_ci_u32_e32 v1, vcc_lo, v3, v117, vcc_lo
	s_delay_alu instid0(VALU_DEP_4) | instskip(NEXT) | instid1(VALU_DEP_4)
	v_add_co_u32 v4, vcc_lo, v4, v114
	v_add_co_ci_u32_e32 v5, vcc_lo, v5, v115, vcc_lo
	s_clause 0x1
	global_load_b128 v[0:3], v[0:1], off
	global_load_b128 v[4:7], v[4:5], off
	v_add3_u32 v127, 0, v30, v8
	v_dual_mov_b32 v17, s17 :: v_dual_mov_b32 v18, s18
	v_dual_mov_b32 v22, s22 :: v_dual_mov_b32 v21, s21
	v_mov_b32_e32 v20, s20
	s_waitcnt vmcnt(1)
	ds_store_b128 v118, v[0:3]
	v_lshlrev_b32_e32 v0, 2, v12
	s_delay_alu instid0(VALU_DEP_1)
	v_add3_u32 v120, 0, v10, v0
	v_add3_u32 v119, 0, v26, v0
	v_lshlrev_b64 v[0:1], 2, v[194:195]
	s_waitcnt vmcnt(0)
	ds_store_b128 v120, v[4:7]
	v_add_co_u32 v2, vcc_lo, s2, v0
	v_add_co_ci_u32_e32 v3, vcc_lo, s3, v1, vcc_lo
	v_lshlrev_b64 v[0:1], 2, v[248:249]
	s_delay_alu instid0(VALU_DEP_1) | instskip(NEXT) | instid1(VALU_DEP_2)
	v_add_co_u32 v4, vcc_lo, s2, v0
	v_add_co_ci_u32_e32 v5, vcc_lo, s3, v1, vcc_lo
	v_add_co_u32 v0, vcc_lo, v2, v114
	v_add_co_ci_u32_e32 v1, vcc_lo, v3, v115, vcc_lo
	s_delay_alu instid0(VALU_DEP_4) | instskip(NEXT) | instid1(VALU_DEP_4)
	v_add_co_u32 v4, vcc_lo, v4, v112
	v_add_co_ci_u32_e32 v5, vcc_lo, v5, v113, vcc_lo
	s_clause 0x1
	global_load_b128 v[0:3], v[0:1], off
	global_load_b128 v[4:7], v[4:5], off
	s_waitcnt vmcnt(1)
	ds_store_b128 v119, v[0:3]
	v_lshlrev_b64 v[0:1], 2, v[253:254]
	s_waitcnt vmcnt(0)
	ds_store_b128 v124, v[4:7]
	v_add_co_u32 v2, vcc_lo, s2, v0
	v_add_co_ci_u32_e32 v3, vcc_lo, s3, v1, vcc_lo
	v_lshlrev_b64 v[0:1], 2, v[183:184]
	s_delay_alu instid0(VALU_DEP_1) | instskip(NEXT) | instid1(VALU_DEP_2)
	v_add_co_u32 v4, vcc_lo, s2, v0
	v_add_co_ci_u32_e32 v5, vcc_lo, s3, v1, vcc_lo
	v_add_co_u32 v0, vcc_lo, v2, v112
	v_add_co_ci_u32_e32 v1, vcc_lo, v3, v113, vcc_lo
	s_delay_alu instid0(VALU_DEP_4) | instskip(NEXT) | instid1(VALU_DEP_4)
	v_add_co_u32 v4, vcc_lo, v4, v112
	v_add_co_ci_u32_e32 v5, vcc_lo, v5, v113, vcc_lo
	s_clause 0x1
	global_load_b128 v[0:3], v[0:1], off
	global_load_b128 v[4:7], v[4:5], off
	s_waitcnt vmcnt(1)
	ds_store_b128 v125, v[0:3]
	v_lshlrev_b64 v[0:1], 2, v[121:122]
	v_add3_u32 v122, 0, v33, v8
	v_add_nc_u32_e32 v33, v136, v126
	s_waitcnt vmcnt(0)
	ds_store_b128 v127, v[4:7]
	v_add_co_u32 v0, vcc_lo, s2, v0
	v_add_co_ci_u32_e32 v1, vcc_lo, s3, v1, vcc_lo
	s_mul_hi_u32 s2, s30, s0
	s_delay_alu instid0(VALU_DEP_2) | instskip(NEXT) | instid1(VALU_DEP_2)
	v_add_co_u32 v0, vcc_lo, v0, v112
	v_add_co_ci_u32_e32 v1, vcc_lo, v1, v113, vcc_lo
	v_cmp_lt_i32_e32 vcc_lo, v52, v50
	s_mul_i32 s3, s5, s0
	s_add_i32 s1, s2, s1
	global_load_b128 v[0:3], v[0:1], off
	s_mul_i32 s0, s30, s0
	s_add_i32 s1, s1, s3
	s_delay_alu instid0(SALU_CYCLE_1) | instskip(NEXT) | instid1(SALU_CYCLE_1)
	s_lshl_b64 s[0:1], s[0:1], 2
	s_add_u32 s0, s10, s0
	s_addc_u32 s1, s11, s1
	s_waitcnt vmcnt(0)
	ds_store_b128 v122, v[0:3]
	s_waitcnt lgkmcnt(0)
	s_barrier
	buffer_gl0_inv
	ds_load_b128 v[0:3], v32
	ds_load_b128 v[4:7], v32 offset:16
	ds_load_b128 v[8:11], v33
	ds_load_b128 v[12:15], v33 offset:16
	s_waitcnt lgkmcnt(2)
	v_wmma_f32_16x16x16_f16 v[24:31], v[0:7], v[206:213], v[16:23]
	ds_load_b128 v[0:3], v32 offset:32
	ds_load_b128 v[4:7], v32 offset:48
	s_waitcnt lgkmcnt(2)
	v_wmma_f32_16x16x16_f16 v[16:23], v[8:15], v[206:213], v[16:23]
	s_waitcnt lgkmcnt(0)
	v_wmma_f32_16x16x16_f16 v[24:31], v[0:7], v[42:49], v[24:31]
	ds_load_b128 v[0:3], v33 offset:32
	ds_load_b128 v[4:7], v33 offset:48
	s_waitcnt lgkmcnt(0)
	v_wmma_f32_16x16x16_f16 v[16:23], v[0:7], v[42:49], v[16:23]
	ds_load_b128 v[0:3], v32 offset:64
	ds_load_b128 v[4:7], v32 offset:80
	;; [unrolled: 4-line block ×11, first 2 shown]
	s_waitcnt lgkmcnt(0)
	s_barrier
	buffer_gl0_inv
	v_wmma_f32_16x16x16_f16 v[16:23], v[0:7], v[128:135], v[16:23]
	v_add3_u32 v0, 0, v55, v205
	s_delay_alu instid0(VALU_DEP_1)
	v_lshl_add_u32 v1, v53, 1, v0
	ds_load_u16 v2, v1 offset:15360
	ds_load_u16 v3, v1 offset:15364
	;; [unrolled: 1-line block ×8, first 2 shown]
	v_lshl_add_u32 v0, v54, 1, v0
	s_waitcnt lgkmcnt(7)
	v_cvt_f32_f16_e32 v2, v2
	s_waitcnt lgkmcnt(6)
	v_cvt_f32_f16_e32 v3, v3
	;; [unrolled: 2-line block ×6, first 2 shown]
	v_add_f32_e32 v140, v24, v2
	s_waitcnt lgkmcnt(0)
	v_cvt_f32_f16_e32 v1, v1
	v_dual_add_f32 v139, v25, v3 :: v_dual_add_f32 v138, v26, v4
	v_dual_add_f32 v137, v27, v5 :: v_dual_add_f32 v136, v28, v6
	v_add_f32_e32 v134, v29, v7
	s_delay_alu instid0(VALU_DEP_4)
	v_add_f32_e32 v130, v31, v1
	ds_load_u16 v1, v0 offset:15360
	ds_load_u16 v2, v0 offset:15364
	;; [unrolled: 1-line block ×8, first 2 shown]
	v_cvt_f32_f16_e32 v8, v8
	s_waitcnt lgkmcnt(7)
	v_cvt_f32_f16_e32 v1, v1
	s_waitcnt lgkmcnt(6)
	;; [unrolled: 2-line block ×3, first 2 shown]
	v_cvt_f32_f16_e32 v3, v3
	v_add_f32_e32 v132, v30, v8
	s_waitcnt lgkmcnt(3)
	v_cvt_f32_f16_e32 v5, v5
	v_add_f32_e32 v135, v16, v1
	v_add_f32_e32 v133, v17, v2
	s_waitcnt lgkmcnt(0)
	v_cvt_f32_f16_e32 v0, v0
	v_dual_add_f32 v131, v18, v3 :: v_dual_add_f32 v128, v20, v5
	v_add_f32_e32 v1, 0x40051340, v139
	v_cvt_f32_f16_e32 v4, v4
	s_delay_alu instid0(VALU_DEP_4)
	v_add_f32_e32 v121, v23, v0
	v_add_f32_e32 v0, 0x40051340, v140
	v_cvt_f32_f16_e32 v6, v6
	v_add_f32_e32 v2, 0x40051340, v137
	v_cvt_f32_f16_e32 v7, v7
	v_add_f32_e32 v129, v19, v4
	v_max3_f32 v0, v250, v0, v1
	v_add_f32_e32 v1, 0x40051340, v138
	s_delay_alu instid0(VALU_DEP_4) | instskip(NEXT) | instid1(VALU_DEP_2)
	v_dual_add_f32 v126, v21, v6 :: v_dual_add_f32 v123, v22, v7
	v_max3_f32 v0, v0, v1, v2
	v_dual_add_f32 v1, 0x40051340, v136 :: v_dual_add_f32 v2, 0x40051340, v134
	s_delay_alu instid0(VALU_DEP_1) | instskip(SKIP_1) | instid1(VALU_DEP_1)
	v_max3_f32 v0, v0, v1, v2
	v_dual_add_f32 v1, 0x40051340, v132 :: v_dual_add_f32 v2, 0x40051340, v130
	v_max3_f32 v0, v0, v1, v2
	v_dual_add_f32 v1, 0x40051340, v135 :: v_dual_add_f32 v2, 0x40051340, v133
	s_delay_alu instid0(VALU_DEP_1) | instskip(SKIP_1) | instid1(VALU_DEP_1)
	v_max3_f32 v0, v0, v1, v2
	;; [unrolled: 5-line block ×3, first 2 shown]
	v_dual_add_f32 v1, 0x40051340, v123 :: v_dual_add_f32 v2, 0x40051340, v121
	v_max3_f32 v0, v0, v1, v2
	v_cndmask_b32_e32 v1, v51, v52, vcc_lo
	s_delay_alu instid0(VALU_DEP_1) | instskip(SKIP_3) | instid1(VALU_DEP_1)
	v_lshlrev_b32_e32 v193, 2, v1
	ds_bpermute_b32 v1, v193, v0
	s_waitcnt lgkmcnt(0)
	v_max_f32_e32 v1, v1, v1
	v_max_f32_e32 v184, v0, v1
	s_delay_alu instid0(VALU_DEP_1) | instskip(NEXT) | instid1(VALU_DEP_1)
	v_sub_f32_e32 v0, v250, v184
	v_mul_f32_e32 v1, 0x3fb8aa3b, v0
	v_cmp_ngt_f32_e32 vcc_lo, 0xc2ce8ed0, v0
	s_delay_alu instid0(VALU_DEP_2) | instskip(SKIP_1) | instid1(VALU_DEP_1)
	v_fma_f32 v2, 0x3fb8aa3b, v0, -v1
	v_rndne_f32_e32 v3, v1
	v_dual_fmac_f32 v2, 0x32a5705f, v0 :: v_dual_sub_f32 v1, v1, v3
	s_delay_alu instid0(VALU_DEP_1) | instskip(SKIP_1) | instid1(VALU_DEP_2)
	v_add_f32_e32 v1, v1, v2
	v_cvt_i32_f32_e32 v2, v3
	v_exp_f32_e32 v1, v1
	s_waitcnt_depctr 0xfff
	v_ldexp_f32 v1, v1, v2
	s_delay_alu instid0(VALU_DEP_1) | instskip(SKIP_1) | instid1(VALU_DEP_2)
	v_cndmask_b32_e32 v1, 0, v1, vcc_lo
	v_cmp_nlt_f32_e32 vcc_lo, 0x42b17218, v0
	v_cndmask_b32_e32 v1, 0x7f800000, v1, vcc_lo
	v_cmp_le_f32_e32 vcc_lo, 0xc1a00000, v0
	s_delay_alu instid0(VALU_DEP_2) | instskip(NEXT) | instid1(VALU_DEP_1)
	v_cndmask_b32_e32 v141, 0, v1, vcc_lo
	v_mul_f32_e32 v0, v56, v141
	v_mul_f32_e32 v1, v57, v141
	v_lshlrev_b64 v[56:57], 2, v[217:218]
	v_mul_f32_e32 v2, v58, v141
	v_mul_f32_e32 v3, v59, v141
	v_lshlrev_b64 v[58:59], 2, v[156:157]
	v_mul_f32_e32 v4, v60, v141
	v_mul_f32_e32 v5, v61, v141
	v_add_co_u32 v56, vcc_lo, s0, v56
	v_add_co_ci_u32_e32 v57, vcc_lo, s1, v57, vcc_lo
	v_mul_f32_e32 v6, v62, v141
	s_delay_alu instid0(VALU_DEP_3) | instskip(NEXT) | instid1(VALU_DEP_3)
	v_add_co_u32 v56, vcc_lo, v56, v116
	v_add_co_ci_u32_e32 v57, vcc_lo, v57, v117, vcc_lo
	v_add_co_u32 v58, vcc_lo, s0, v58
	v_add_co_ci_u32_e32 v59, vcc_lo, s1, v59, vcc_lo
	v_mul_f32_e32 v7, v63, v141
	s_delay_alu instid0(VALU_DEP_3) | instskip(NEXT) | instid1(VALU_DEP_3)
	v_add_co_u32 v60, vcc_lo, v58, v114
	v_add_co_ci_u32_e32 v61, vcc_lo, v59, v115, vcc_lo
	s_clause 0x1
	global_load_b128 v[56:59], v[56:57], off
	global_load_b128 v[60:63], v[60:61], off
	s_waitcnt vmcnt(1)
	ds_store_b128 v118, v[56:59]
	s_waitcnt vmcnt(0)
	ds_store_b128 v120, v[60:63]
	v_lshlrev_b64 v[56:57], 2, v[179:180]
	v_lshlrev_b64 v[58:59], 2, v[203:204]
	s_delay_alu instid0(VALU_DEP_2) | instskip(NEXT) | instid1(VALU_DEP_3)
	v_add_co_u32 v56, vcc_lo, s0, v56
	v_add_co_ci_u32_e32 v57, vcc_lo, s1, v57, vcc_lo
	s_delay_alu instid0(VALU_DEP_2) | instskip(NEXT) | instid1(VALU_DEP_2)
	v_add_co_u32 v56, vcc_lo, v56, v114
	v_add_co_ci_u32_e32 v57, vcc_lo, v57, v115, vcc_lo
	v_add_co_u32 v58, vcc_lo, s0, v58
	v_add_co_ci_u32_e32 v59, vcc_lo, s1, v59, vcc_lo
	s_delay_alu instid0(VALU_DEP_2) | instskip(NEXT) | instid1(VALU_DEP_2)
	v_add_co_u32 v60, vcc_lo, v58, v112
	v_add_co_ci_u32_e32 v61, vcc_lo, v59, v113, vcc_lo
	s_clause 0x1
	global_load_b128 v[56:59], v[56:57], off
	global_load_b128 v[60:63], v[60:61], off
	s_waitcnt vmcnt(1)
	ds_store_b128 v119, v[56:59]
	s_waitcnt vmcnt(0)
	ds_store_b128 v124, v[60:63]
	v_lshlrev_b64 v[56:57], 2, v[185:186]
	s_delay_alu instid0(VALU_DEP_1) | instskip(NEXT) | instid1(VALU_DEP_2)
	v_add_co_u32 v58, vcc_lo, s0, v56
	v_add_co_ci_u32_e32 v59, vcc_lo, s1, v57, vcc_lo
	v_lshlrev_b64 v[56:57], 2, v[201:202]
	s_delay_alu instid0(VALU_DEP_1) | instskip(NEXT) | instid1(VALU_DEP_2)
	v_add_co_u32 v60, vcc_lo, s0, v56
	v_add_co_ci_u32_e32 v61, vcc_lo, s1, v57, vcc_lo
	v_add_co_u32 v56, vcc_lo, v58, v112
	v_add_co_ci_u32_e32 v57, vcc_lo, v59, v113, vcc_lo
	s_delay_alu instid0(VALU_DEP_4) | instskip(NEXT) | instid1(VALU_DEP_4)
	v_add_co_u32 v60, vcc_lo, v60, v112
	v_add_co_ci_u32_e32 v61, vcc_lo, v61, v113, vcc_lo
	s_clause 0x1
	global_load_b128 v[56:59], v[56:57], off
	global_load_b128 v[60:63], v[60:61], off
	s_waitcnt vmcnt(1)
	ds_store_b128 v125, v[56:59]
	s_waitcnt vmcnt(0)
	ds_store_b128 v127, v[60:63]
	v_lshlrev_b64 v[56:57], 2, v[177:178]
	s_delay_alu instid0(VALU_DEP_1) | instskip(NEXT) | instid1(VALU_DEP_2)
	v_add_co_u32 v56, vcc_lo, s0, v56
	v_add_co_ci_u32_e32 v57, vcc_lo, s1, v57, vcc_lo
	s_delay_alu instid0(VALU_DEP_2) | instskip(NEXT) | instid1(VALU_DEP_2)
	v_add_co_u32 v56, vcc_lo, v56, v112
	v_add_co_ci_u32_e32 v57, vcc_lo, v57, v113, vcc_lo
	global_load_b128 v[56:59], v[56:57], off
	s_waitcnt vmcnt(0)
	ds_store_b128 v122, v[56:59]
	v_sub_f32_e32 v56, v140, v184
	s_waitcnt lgkmcnt(0)
	s_barrier
	buffer_gl0_inv
	v_mul_f32_e32 v57, 0x3fb8aa3b, v56
	v_cmp_ngt_f32_e64 s14, 0xc2ce8ed0, v56
	s_delay_alu instid0(VALU_DEP_2) | instskip(SKIP_1) | instid1(VALU_DEP_2)
	v_fma_f32 v58, 0x3fb8aa3b, v56, -v57
	v_rndne_f32_e32 v59, v57
	v_fmac_f32_e32 v58, 0x32a5705f, v56
	s_delay_alu instid0(VALU_DEP_2)
	v_dual_mul_f32 v50, v106, v141 :: v_dual_sub_f32 v57, v57, v59
	v_mul_f32_e32 v52, v108, v141
	v_mul_f32_e32 v40, v96, v141
	;; [unrolled: 1-line block ×4, first 2 shown]
	v_dual_add_f32 v57, v57, v58 :: v_dual_sub_f32 v58, v139, v184
	v_mul_f32_e32 v49, v105, v141
	v_mul_f32_e32 v55, v111, v141
	;; [unrolled: 1-line block ×3, first 2 shown]
	s_delay_alu instid0(VALU_DEP_4)
	v_dual_mul_f32 v11, v67, v141 :: v_dual_mul_f32 v60, 0x3fb8aa3b, v58
	v_mul_f32_e32 v12, v68, v141
	v_mul_f32_e32 v46, v102, v141
	;; [unrolled: 1-line block ×4, first 2 shown]
	v_fma_f32 v61, 0x3fb8aa3b, v58, -v60
	v_rndne_f32_e32 v62, v60
	v_mul_f32_e32 v51, v107, v141
	v_mul_f32_e32 v54, v110, v141
	;; [unrolled: 1-line block ×3, first 2 shown]
	v_fmac_f32_e32 v61, 0x32a5705f, v58
	v_dual_sub_f32 v60, v60, v62 :: v_dual_mul_f32 v47, v103, v141
	v_mul_f32_e32 v16, v72, v141
	v_mul_f32_e32 v17, v73, v141
	v_mul_f32_e32 v18, v74, v141
	s_delay_alu instid0(VALU_DEP_4)
	v_dual_add_f32 v60, v60, v61 :: v_dual_sub_f32 v61, v138, v184
	v_mul_f32_e32 v26, v82, v141
	v_mul_f32_e32 v19, v75, v141
	;; [unrolled: 1-line block ×9, first 2 shown]
	v_fma_f32 v64, 0x3fb8aa3b, v61, -v63
	v_rndne_f32_e32 v65, v63
	v_mul_f32_e32 v31, v87, v141
	v_cmp_ngt_f32_e32 vcc_lo, 0xc2ce8ed0, v58
	v_exp_f32_e32 v57, v57
	v_fmac_f32_e32 v64, 0x32a5705f, v61
	v_sub_f32_e32 v63, v63, v65
	v_mul_f32_e32 v42, v98, v141
	v_cvt_i32_f32_e32 v59, v59
	v_cmp_ngt_f32_e64 s0, 0xc2ce8ed0, v61
	s_delay_alu instid0(VALU_DEP_4) | instskip(SKIP_2) | instid1(TRANS32_DEP_1)
	v_dual_mul_f32 v48, v104, v141 :: v_dual_add_f32 v63, v63, v64
	v_sub_f32_e32 v64, v137, v184
	v_mul_f32_e32 v53, v109, v141
	v_ldexp_f32 v57, v57, v59
	s_delay_alu instid0(VALU_DEP_3) | instskip(SKIP_1) | instid1(VALU_DEP_3)
	v_mul_f32_e32 v66, 0x3fb8aa3b, v64
	v_cmp_ngt_f32_e64 s1, 0xc2ce8ed0, v64
	v_cndmask_b32_e64 v57, 0, v57, s14
	v_cmp_nlt_f32_e64 s14, 0x42b17218, v56
	s_delay_alu instid0(VALU_DEP_4)
	v_fma_f32 v67, 0x3fb8aa3b, v64, -v66
	v_rndne_f32_e32 v68, v66
	v_mul_f32_e32 v41, v97, v141
	v_mul_f32_e32 v44, v100, v141
	v_cndmask_b32_e64 v56, 0x7f800000, v57, s14
	v_fmac_f32_e32 v67, 0x32a5705f, v64
	v_dual_sub_f32 v66, v66, v68 :: v_dual_mul_f32 v43, v99, v141
	s_delay_alu instid0(VALU_DEP_1) | instskip(NEXT) | instid1(VALU_DEP_1)
	v_dual_add_f32 v66, v66, v67 :: v_dual_sub_f32 v67, v136, v184
	v_dual_mul_f32 v32, v88, v141 :: v_dual_mul_f32 v69, 0x3fb8aa3b, v67
	v_cmp_ngt_f32_e64 s2, 0xc2ce8ed0, v67
	s_delay_alu instid0(VALU_DEP_2) | instskip(SKIP_3) | instid1(VALU_DEP_4)
	v_fma_f32 v70, 0x3fb8aa3b, v67, -v69
	v_rndne_f32_e32 v71, v69
	v_mul_f32_e32 v45, v101, v141
	v_mul_f32_e32 v34, v90, v141
	v_fmac_f32_e32 v70, 0x32a5705f, v67
	s_delay_alu instid0(VALU_DEP_4) | instskip(NEXT) | instid1(VALU_DEP_1)
	v_dual_sub_f32 v69, v69, v71 :: v_dual_mul_f32 v36, v92, v141
	v_dual_add_f32 v69, v69, v70 :: v_dual_sub_f32 v70, v134, v184
	s_delay_alu instid0(VALU_DEP_1) | instskip(SKIP_1) | instid1(VALU_DEP_2)
	v_dual_mul_f32 v33, v89, v141 :: v_dual_mul_f32 v72, 0x3fb8aa3b, v70
	v_cmp_ngt_f32_e64 s3, 0xc2ce8ed0, v70
	v_fma_f32 v73, 0x3fb8aa3b, v70, -v72
	v_rndne_f32_e32 v74, v72
	v_mul_f32_e32 v35, v91, v141
	s_delay_alu instid0(VALU_DEP_3) | instskip(NEXT) | instid1(VALU_DEP_3)
	v_dual_mul_f32 v38, v94, v141 :: v_dual_fmac_f32 v73, 0x32a5705f, v70
	v_sub_f32_e32 v72, v72, v74
	s_delay_alu instid0(VALU_DEP_1) | instskip(SKIP_1) | instid1(VALU_DEP_1)
	v_add_f32_e32 v72, v72, v73
	v_sub_f32_e32 v73, v132, v184
	v_mul_f32_e32 v75, 0x3fb8aa3b, v73
	v_cmp_ngt_f32_e64 s4, 0xc2ce8ed0, v73
	s_delay_alu instid0(VALU_DEP_2) | instskip(SKIP_1) | instid1(VALU_DEP_2)
	v_fma_f32 v76, 0x3fb8aa3b, v73, -v75
	v_rndne_f32_e32 v77, v75
	v_fmac_f32_e32 v76, 0x32a5705f, v73
	s_delay_alu instid0(VALU_DEP_2) | instskip(NEXT) | instid1(VALU_DEP_1)
	v_sub_f32_e32 v75, v75, v77
	v_dual_mul_f32 v24, v80, v141 :: v_dual_add_f32 v75, v75, v76
	v_dual_sub_f32 v76, v130, v184 :: v_dual_mul_f32 v39, v95, v141
	s_delay_alu instid0(VALU_DEP_1) | instskip(SKIP_1) | instid1(VALU_DEP_2)
	v_mul_f32_e32 v78, 0x3fb8aa3b, v76
	v_cmp_ngt_f32_e64 s5, 0xc2ce8ed0, v76
	v_fma_f32 v79, 0x3fb8aa3b, v76, -v78
	v_rndne_f32_e32 v80, v78
	v_mul_f32_e32 v25, v81, v141
	s_delay_alu instid0(VALU_DEP_3) | instskip(NEXT) | instid1(VALU_DEP_3)
	v_dual_mul_f32 v28, v84, v141 :: v_dual_fmac_f32 v79, 0x32a5705f, v76
	v_dual_sub_f32 v78, v78, v80 :: v_dual_mul_f32 v27, v83, v141
	s_delay_alu instid0(VALU_DEP_1) | instskip(NEXT) | instid1(VALU_DEP_1)
	v_dual_add_f32 v78, v78, v79 :: v_dual_sub_f32 v79, v135, v184
	v_mul_f32_e32 v81, 0x3fb8aa3b, v79
	v_cmp_ngt_f32_e64 s6, 0xc2ce8ed0, v79
	s_delay_alu instid0(VALU_DEP_2) | instskip(SKIP_1) | instid1(VALU_DEP_2)
	v_fma_f32 v82, 0x3fb8aa3b, v79, -v81
	v_rndne_f32_e32 v83, v81
	v_dual_mul_f32 v29, v85, v141 :: v_dual_fmac_f32 v82, 0x32a5705f, v79
	s_delay_alu instid0(VALU_DEP_2) | instskip(NEXT) | instid1(VALU_DEP_1)
	v_sub_f32_e32 v81, v81, v83
	v_add_f32_e32 v81, v81, v82
	v_sub_f32_e32 v82, v133, v184
	s_delay_alu instid0(VALU_DEP_1) | instskip(SKIP_1) | instid1(VALU_DEP_2)
	v_mul_f32_e32 v84, 0x3fb8aa3b, v82
	v_cmp_ngt_f32_e64 s7, 0xc2ce8ed0, v82
	v_fma_f32 v85, 0x3fb8aa3b, v82, -v84
	v_rndne_f32_e32 v86, v84
	s_delay_alu instid0(VALU_DEP_2) | instskip(NEXT) | instid1(VALU_DEP_2)
	v_fmac_f32_e32 v85, 0x32a5705f, v82
	v_sub_f32_e32 v84, v84, v86
	s_delay_alu instid0(VALU_DEP_1) | instskip(NEXT) | instid1(VALU_DEP_1)
	v_dual_add_f32 v84, v84, v85 :: v_dual_sub_f32 v85, v131, v184
	v_mul_f32_e32 v87, 0x3fb8aa3b, v85
	v_cmp_ngt_f32_e64 s8, 0xc2ce8ed0, v85
	s_delay_alu instid0(VALU_DEP_2) | instskip(SKIP_1) | instid1(VALU_DEP_2)
	v_fma_f32 v88, 0x3fb8aa3b, v85, -v87
	v_rndne_f32_e32 v89, v87
	v_fmac_f32_e32 v88, 0x32a5705f, v85
	s_delay_alu instid0(VALU_DEP_2) | instskip(NEXT) | instid1(VALU_DEP_1)
	v_sub_f32_e32 v87, v87, v89
	v_add_f32_e32 v87, v87, v88
	v_sub_f32_e32 v88, v129, v184
	s_delay_alu instid0(VALU_DEP_1) | instskip(SKIP_1) | instid1(VALU_DEP_2)
	v_mul_f32_e32 v90, 0x3fb8aa3b, v88
	v_cmp_ngt_f32_e64 s9, 0xc2ce8ed0, v88
	v_fma_f32 v91, 0x3fb8aa3b, v88, -v90
	v_rndne_f32_e32 v92, v90
	s_delay_alu instid0(VALU_DEP_2) | instskip(NEXT) | instid1(VALU_DEP_2)
	v_fmac_f32_e32 v91, 0x32a5705f, v88
	v_sub_f32_e32 v90, v90, v92
	s_delay_alu instid0(VALU_DEP_1) | instskip(NEXT) | instid1(VALU_DEP_1)
	v_dual_add_f32 v90, v90, v91 :: v_dual_sub_f32 v91, v128, v184
	v_mul_f32_e32 v93, 0x3fb8aa3b, v91
	v_cmp_ngt_f32_e64 s10, 0xc2ce8ed0, v91
	s_delay_alu instid0(VALU_DEP_2) | instskip(SKIP_1) | instid1(VALU_DEP_2)
	v_fma_f32 v94, 0x3fb8aa3b, v91, -v93
	v_rndne_f32_e32 v95, v93
	v_fmac_f32_e32 v94, 0x32a5705f, v91
	s_delay_alu instid0(VALU_DEP_2) | instskip(NEXT) | instid1(VALU_DEP_1)
	v_sub_f32_e32 v93, v93, v95
	v_dual_add_f32 v93, v93, v94 :: v_dual_sub_f32 v94, v126, v184
	s_delay_alu instid0(VALU_DEP_1) | instskip(SKIP_1) | instid1(VALU_DEP_2)
	v_mul_f32_e32 v96, 0x3fb8aa3b, v94
	v_cmp_ngt_f32_e64 s11, 0xc2ce8ed0, v94
	v_fma_f32 v97, 0x3fb8aa3b, v94, -v96
	v_rndne_f32_e32 v98, v96
	s_delay_alu instid0(VALU_DEP_2) | instskip(SKIP_2) | instid1(VALU_DEP_3)
	v_fmac_f32_e32 v97, 0x32a5705f, v94
	v_exp_f32_e32 v59, v60
	v_cvt_i32_f32_e32 v60, v62
	v_sub_f32_e32 v96, v96, v98
	v_cvt_i32_f32_e32 v62, v65
	v_cvt_i32_f32_e32 v65, v71
	;; [unrolled: 1-line block ×3, first 2 shown]
	s_waitcnt_depctr 0xfff
	v_ldexp_f32 v59, v59, v60
	v_exp_f32_e32 v60, v63
	v_cvt_i32_f32_e32 v63, v68
	v_cvt_i32_f32_e32 v68, v77
	;; [unrolled: 1-line block ×3, first 2 shown]
	v_cndmask_b32_e32 v59, 0, v59, vcc_lo
	v_cmp_nlt_f32_e32 vcc_lo, 0x42b17218, v58
	v_dual_add_f32 v96, v96, v97 :: v_dual_sub_f32 v97, v123, v184
	s_delay_alu instid0(VALU_DEP_3) | instskip(NEXT) | instid1(TRANS32_DEP_1)
	v_cndmask_b32_e32 v57, 0x7f800000, v59, vcc_lo
	v_ldexp_f32 v60, v60, v62
	v_exp_f32_e32 v62, v66
	s_delay_alu instid0(VALU_DEP_3)
	v_mul_f32_e32 v99, 0x3fb8aa3b, v97
	v_cmp_eq_u32_e32 vcc_lo, 1, v172
	v_cvt_i32_f32_e32 v66, v74
	v_cndmask_b32_e64 v58, 0, v60, s0
	v_cmp_nlt_f32_e64 s0, 0x42b17218, v61
	v_fma_f32 v100, 0x3fb8aa3b, v97, -v99
	v_rndne_f32_e32 v101, v99
	v_cvt_i32_f32_e32 v74, v89
	v_cmp_ngt_f32_e64 s12, 0xc2ce8ed0, v97
	v_ldexp_f32 v62, v62, v63
	v_exp_f32_e32 v63, v69
	v_fmac_f32_e32 v100, 0x32a5705f, v97
	v_sub_f32_e32 v99, v99, v101
	v_cvt_i32_f32_e32 v69, v80
	v_cndmask_b32_e64 v60, 0, v62, s1
	v_cmp_nlt_f32_e64 s1, 0x42b17218, v64
	v_cndmask_b32_e64 v58, 0x7f800000, v58, s0
	v_add_f32_e32 v99, v99, v100
	v_sub_f32_e32 v100, v121, v184
	v_cvt_i32_f32_e32 v80, v101
	v_ldexp_f32 v63, v63, v65
	v_exp_f32_e32 v65, v72
	v_cvt_i32_f32_e32 v72, v86
	v_cndmask_b32_e64 v59, 0x7f800000, v60, s1
	v_add_f32_e32 v60, v56, v57
	v_cndmask_b32_e64 v61, 0, v63, s2
	v_cmp_nlt_f32_e64 s2, 0x42b17218, v67
	v_mul_f32_e32 v102, 0x3fb8aa3b, v100
	v_cmp_ngt_f32_e64 s13, 0xc2ce8ed0, v100
	v_add_f32_e32 v60, v58, v60
	v_cmp_eq_u32_e64 s0, 0, v172
	v_ldexp_f32 v65, v65, v66
	v_exp_f32_e32 v66, v75
	v_cvt_i32_f32_e32 v75, v92
	v_cndmask_b32_e64 v61, 0x7f800000, v61, s2
	v_add_f32_e32 v60, v59, v60
	v_cndmask_b32_e64 v62, 0, v65, s3
	v_cmp_nlt_f32_e64 s3, 0x42b17218, v70
	v_fma_f32 v103, 0x3fb8aa3b, v100, -v102
	v_rndne_f32_e32 v104, v102
	v_add_f32_e32 v60, v61, v60
	v_cmp_eq_u32_e64 s1, 1, v197
	v_ldexp_f32 v66, v66, v68
	v_exp_f32_e32 v68, v78
	v_cndmask_b32_e64 v62, 0x7f800000, v62, s3
	v_cvt_i32_f32_e32 v78, v98
	v_fmac_f32_e32 v103, 0x32a5705f, v100
	v_cndmask_b32_e64 v63, 0, v66, s4
	v_cmp_nlt_f32_e64 s4, 0x42b17218, v73
	v_add_f32_e32 v60, v62, v60
	v_sub_f32_e32 v102, v102, v104
	v_cmp_eq_u32_e64 s2, 0, v197
	s_delay_alu instid0(TRANS32_DEP_1)
	v_ldexp_f32 v68, v68, v69
	v_exp_f32_e32 v69, v81
	v_cndmask_b32_e64 v63, 0x7f800000, v63, s4
	v_add_f32_e32 v102, v102, v103
	v_cvt_i32_f32_e32 v81, v104
	v_cndmask_b32_e64 v64, 0, v68, s5
	v_cmp_nlt_f32_e64 s5, 0x42b17218, v76
	v_add_f32_e32 v60, v63, v60
	v_lshlrev_b32_e32 v76, 1, v146
	s_delay_alu instid0(TRANS32_DEP_1) | instskip(SKIP_2) | instid1(VALU_DEP_2)
	v_ldexp_f32 v69, v69, v71
	v_exp_f32_e32 v71, v84
	v_cndmask_b32_e64 v64, 0x7f800000, v64, s5
	v_cndmask_b32_e64 v65, 0, v69, s6
	v_cmp_nlt_f32_e64 s6, 0x42b17218, v79
	s_delay_alu instid0(VALU_DEP_3)
	v_add_f32_e32 v60, v64, v60
	v_lshlrev_b32_e32 v79, 1, v148
	s_waitcnt_depctr 0xfff
	v_ldexp_f32 v71, v71, v72
	v_exp_f32_e32 v72, v87
	v_cndmask_b32_e64 v65, 0x7f800000, v65, s6
	s_delay_alu instid0(VALU_DEP_2) | instskip(SKIP_1) | instid1(VALU_DEP_3)
	v_cndmask_b32_e64 v66, 0, v71, s7
	v_cmp_nlt_f32_e64 s7, 0x42b17218, v82
	v_add_f32_e32 v60, v65, v60
	s_waitcnt_depctr 0xfff
	v_ldexp_f32 v72, v72, v74
	v_exp_f32_e32 v74, v90
	v_cndmask_b32_e64 v66, 0x7f800000, v66, s7
	s_delay_alu instid0(VALU_DEP_2) | instskip(SKIP_1) | instid1(VALU_DEP_3)
	v_cndmask_b32_e64 v67, 0, v72, s8
	v_cmp_nlt_f32_e64 s8, 0x42b17218, v85
	v_add_f32_e32 v60, v66, v60
	;; [unrolled: 8-line block ×4, first 2 shown]
	s_waitcnt_depctr 0xfff
	v_ldexp_f32 v77, v77, v78
	v_exp_f32_e32 v78, v99
	v_cndmask_b32_e64 v68, 0x7f800000, v69, s10
	s_delay_alu instid0(VALU_DEP_2) | instskip(SKIP_1) | instid1(VALU_DEP_3)
	v_cndmask_b32_e64 v70, 0, v77, s11
	v_cmp_nlt_f32_e64 s11, 0x42b17218, v94
	v_dual_add_f32 v60, v68, v60 :: v_dual_add_nc_u32 v77, 0, v151
	s_waitcnt_depctr 0xfff
	v_ldexp_f32 v78, v78, v80
	v_exp_f32_e32 v80, v102
	v_cndmask_b32_e64 v69, 0x7f800000, v70, s11
	v_add_nc_u32_e32 v186, v77, v142
	v_add_nc_u32_e32 v93, v77, v76
	v_cndmask_b32_e64 v71, 0, v78, s12
	v_cmp_nlt_f32_e64 s12, 0x42b17218, v97
	v_add_f32_e32 v60, v69, v60
	v_lshlrev_b32_e32 v78, 1, v147
	v_add_nc_u32_e32 v101, v77, v79
	s_delay_alu instid0(TRANS32_DEP_1) | instskip(SKIP_1) | instid1(VALU_DEP_4)
	v_ldexp_f32 v80, v80, v81
	v_cndmask_b32_e64 v70, 0x7f800000, v71, s12
	v_add_nc_u32_e32 v96, v77, v78
	s_delay_alu instid0(VALU_DEP_3) | instskip(SKIP_1) | instid1(VALU_DEP_4)
	v_cndmask_b32_e64 v72, 0, v80, s13
	v_cmp_nlt_f32_e64 s13, 0x42b17218, v100
	v_add_f32_e32 v60, v70, v60
	v_lshlrev_b32_e32 v80, 1, v149
	s_delay_alu instid0(VALU_DEP_3) | instskip(NEXT) | instid1(VALU_DEP_1)
	v_cndmask_b32_e64 v71, 0x7f800000, v72, s13
	v_add_f32_e32 v185, v71, v60
	ds_bpermute_b32 v60, v193, v56
	v_fmac_f32_e32 v185, v231, v141
	s_waitcnt lgkmcnt(0)
	v_cndmask_b32_e64 v72, v56, v60, s0
	v_cndmask_b32_e32 v56, v56, v60, vcc_lo
	ds_bpermute_b32 v60, v193, v57
	v_cndmask_b32_e64 v74, v72, v57, s2
	v_cndmask_b32_e64 v57, v56, v57, s1
	v_cvt_f16_f32_e32 v56, v56
	s_waitcnt lgkmcnt(0)
	s_delay_alu instid0(VALU_DEP_3) | instskip(NEXT) | instid1(VALU_DEP_3)
	v_cndmask_b32_e64 v74, v74, v60, s0
	v_cndmask_b32_e32 v60, v57, v60, vcc_lo
	v_cvt_f16_f32_e32 v57, v72
	s_delay_alu instid0(VALU_DEP_3) | instskip(NEXT) | instid1(VALU_DEP_3)
	v_cvt_f16_f32_e32 v72, v74
	v_cvt_f16_f32_e32 v75, v60
	s_delay_alu instid0(VALU_DEP_3) | instskip(SKIP_1) | instid1(VALU_DEP_3)
	v_pack_b32_f16 v56, v57, v56
	v_cndmask_b32_e64 v60, v60, v58, s1
	v_pack_b32_f16 v57, v72, v75
	v_cndmask_b32_e64 v72, v74, v58, s2
	ds_bpermute_b32 v58, v193, v58
	s_waitcnt lgkmcnt(0)
	v_cndmask_b32_e64 v72, v72, v58, s0
	v_cndmask_b32_e32 v60, v60, v58, vcc_lo
	s_delay_alu instid0(VALU_DEP_2) | instskip(NEXT) | instid1(VALU_DEP_2)
	v_cvt_f16_f32_e32 v58, v72
	v_cvt_f16_f32_e32 v74, v60
	v_cndmask_b32_e64 v72, v72, v59, s2
	v_cndmask_b32_e64 v60, v60, v59, s1
	ds_bpermute_b32 v59, v193, v59
	v_pack_b32_f16 v58, v58, v74
	s_waitcnt lgkmcnt(0)
	v_cndmask_b32_e64 v72, v72, v59, s0
	v_cndmask_b32_e32 v60, v60, v59, vcc_lo
	s_delay_alu instid0(VALU_DEP_2) | instskip(NEXT) | instid1(VALU_DEP_2)
	v_cvt_f16_f32_e32 v59, v72
	v_cvt_f16_f32_e32 v74, v60
	v_cndmask_b32_e64 v72, v72, v61, s2
	v_cndmask_b32_e64 v60, v60, v61, s1
	ds_bpermute_b32 v61, v193, v61
	v_pack_b32_f16 v59, v59, v74
	;; [unrolled: 10-line block ×5, first 2 shown]
	s_waitcnt lgkmcnt(0)
	v_cndmask_b32_e64 v72, v72, v64, s0
	v_cndmask_b32_e32 v63, v63, v64, vcc_lo
	s_delay_alu instid0(VALU_DEP_2) | instskip(NEXT) | instid1(VALU_DEP_2)
	v_cvt_f16_f32_e32 v64, v72
	v_cvt_f16_f32_e32 v63, v63
	s_delay_alu instid0(VALU_DEP_1)
	v_pack_b32_f16 v63, v64, v63
	ds_bpermute_b32 v64, v193, v65
	s_waitcnt lgkmcnt(0)
	v_cndmask_b32_e64 v72, v65, v64, s0
	v_cndmask_b32_e32 v64, v65, v64, vcc_lo
	ds_bpermute_b32 v65, v193, v66
	v_cndmask_b32_e64 v74, v72, v66, s2
	v_cndmask_b32_e64 v66, v64, v66, s1
	v_cvt_f16_f32_e32 v64, v64
	s_waitcnt lgkmcnt(0)
	s_delay_alu instid0(VALU_DEP_3) | instskip(NEXT) | instid1(VALU_DEP_3)
	v_cndmask_b32_e64 v74, v74, v65, s0
	v_cndmask_b32_e32 v66, v66, v65, vcc_lo
	v_cvt_f16_f32_e32 v65, v72
	s_delay_alu instid0(VALU_DEP_3) | instskip(NEXT) | instid1(VALU_DEP_3)
	v_cvt_f16_f32_e32 v72, v74
	v_cvt_f16_f32_e32 v75, v66
	s_delay_alu instid0(VALU_DEP_3) | instskip(SKIP_1) | instid1(VALU_DEP_3)
	v_pack_b32_f16 v64, v65, v64
	v_cndmask_b32_e64 v66, v66, v67, s1
	v_pack_b32_f16 v65, v72, v75
	v_cndmask_b32_e64 v72, v74, v67, s2
	ds_bpermute_b32 v67, v193, v67
	v_lshlrev_b32_e32 v75, 1, v145
	s_delay_alu instid0(VALU_DEP_1) | instskip(SKIP_3) | instid1(VALU_DEP_2)
	v_add_nc_u32_e32 v90, v77, v75
	s_waitcnt lgkmcnt(0)
	v_cndmask_b32_e64 v72, v72, v67, s0
	v_cndmask_b32_e32 v67, v66, v67, vcc_lo
	v_cvt_f16_f32_e32 v66, v72
	s_delay_alu instid0(VALU_DEP_2) | instskip(SKIP_2) | instid1(VALU_DEP_3)
	v_cvt_f16_f32_e32 v74, v67
	v_cndmask_b32_e64 v72, v72, v73, s2
	v_cndmask_b32_e64 v67, v67, v73, s1
	v_pack_b32_f16 v66, v66, v74
	ds_bpermute_b32 v74, v193, v73
	s_waitcnt lgkmcnt(0)
	v_cndmask_b32_e64 v73, v72, v74, s0
	v_cndmask_b32_e32 v72, v67, v74, vcc_lo
	s_delay_alu instid0(VALU_DEP_2) | instskip(NEXT) | instid1(VALU_DEP_2)
	v_cvt_f16_f32_e32 v67, v73
	v_cvt_f16_f32_e32 v74, v72
	v_cndmask_b32_e64 v73, v73, v68, s2
	v_cndmask_b32_e64 v72, v72, v68, s1
	ds_bpermute_b32 v68, v193, v68
	v_pack_b32_f16 v67, v67, v74
	s_waitcnt lgkmcnt(0)
	v_cndmask_b32_e64 v73, v73, v68, s0
	v_cndmask_b32_e32 v72, v72, v68, vcc_lo
	s_delay_alu instid0(VALU_DEP_2) | instskip(NEXT) | instid1(VALU_DEP_2)
	v_cvt_f16_f32_e32 v68, v73
	v_cvt_f16_f32_e32 v74, v72
	v_cndmask_b32_e64 v73, v73, v69, s2
	v_cndmask_b32_e64 v72, v72, v69, s1
	ds_bpermute_b32 v69, v193, v69
	v_pack_b32_f16 v68, v68, v74
	;; [unrolled: 10-line block ×4, first 2 shown]
	v_lshlrev_b32_e32 v74, 1, v144
	s_delay_alu instid0(VALU_DEP_1) | instskip(SKIP_4) | instid1(VALU_DEP_3)
	v_add_nc_u32_e32 v86, v77, v74
	s_waitcnt lgkmcnt(0)
	v_cndmask_b32_e64 v73, v73, v71, s0
	v_cndmask_b32_e32 v71, v72, v71, vcc_lo
	v_cmp_gt_u32_e64 s0, 16, v232
	v_cvt_f16_f32_e32 v72, v73
	s_delay_alu instid0(VALU_DEP_3) | instskip(SKIP_1) | instid1(VALU_DEP_2)
	v_cvt_f16_f32_e32 v71, v71
	v_lshlrev_b32_e32 v73, 1, v143
	v_pack_b32_f16 v71, v72, v71
	v_add_nc_u32_e32 v72, 0, v150
	s_delay_alu instid0(VALU_DEP_3) | instskip(SKIP_1) | instid1(VALU_DEP_3)
	v_add_nc_u32_e32 v85, v77, v73
	v_add_nc_u32_e32 v77, v77, v80
	;; [unrolled: 1-line block ×10, first 2 shown]
	ds_load_u16 v163, v74 offset:64
	ds_load_u16 v164, v82 offset:64
	;; [unrolled: 1-line block ×10, first 2 shown]
	ds_load_u16 v179, v74
	ds_load_u16 v180, v82
	ds_load_u16 v131, v74 offset:192
	ds_load_u16 v132, v82 offset:192
	ds_load_u16 v75, v90 offset:64
	ds_load_u16 v76, v93 offset:64
	ds_load_u16 v84, v93 offset:96
	ds_load_u16 v83, v90 offset:96
	ds_load_u16 v100, v93 offset:128
	ds_load_u16 v99, v90 offset:128
	ds_load_u16 v91, v90 offset:160
	ds_load_u16 v92, v93 offset:160
	ds_load_u16 v116, v93 offset:32
	ds_load_u16 v115, v90 offset:32
	ds_load_u16 v123, v90
	ds_load_u16 v124, v93
	ds_load_u16 v107, v90 offset:192
	ds_load_u16 v108, v93 offset:192
	;; [unrolled: 1-line block ×8, first 2 shown]
	ds_load_u16 v178, v73
	ds_load_u16 v177, v81
	ds_load_u16 v169, v81 offset:32
	ds_load_u16 v161, v81 offset:64
	;; [unrolled: 1-line block ×12, first 2 shown]
	ds_load_u16 v183, v72
	ds_load_u16 v134, v89 offset:192
	ds_load_u16 v166, v89 offset:64
	ds_load_u16 v158, v89 offset:96
	ds_load_u16 v150, v89 offset:128
	ds_load_u16 v142, v89 offset:160
	ds_load_u16 v174, v89 offset:32
	ds_load_u16 v182, v89
	ds_load_u16 v165, v87 offset:64
	ds_load_u16 v157, v87 offset:96
	;; [unrolled: 1-line block ×4, first 2 shown]
	ds_load_u16 v181, v87
	ds_load_u16 v141, v87 offset:160
	ds_load_u16 v133, v87 offset:192
	;; [unrolled: 1-line block ×8, first 2 shown]
	ds_load_u16 v122, v86
	ds_load_u16 v121, v85
	ds_load_u16 v113, v85 offset:32
	ds_load_u16 v73, v85 offset:64
	;; [unrolled: 1-line block ×12, first 2 shown]
	ds_load_u16 v127, v77
	ds_load_u16 v110, v101 offset:192
	ds_load_u16 v78, v101 offset:64
	;; [unrolled: 1-line block ×6, first 2 shown]
	ds_load_u16 v126, v101
	ds_load_u16 v77, v96 offset:64
	ds_load_u16 v85, v96 offset:96
	;; [unrolled: 1-line block ×4, first 2 shown]
	ds_load_u16 v125, v96
	ds_load_u16 v93, v96 offset:160
	ds_load_u16 v109, v96 offset:192
	s_waitcnt lgkmcnt(62)
	ds_load_u16_d16_hi v162, v88 offset:1264
	ds_load_u16 v176, v88
	ds_load_u16 v168, v88 offset:32
	ds_load_u16 v160, v88 offset:64
	;; [unrolled: 1-line block ×5, first 2 shown]
	ds_load_u16_d16_hi v163, v88 offset:1744
	ds_load_u16_d16_hi v155, v88 offset:1776
	;; [unrolled: 1-line block ×5, first 2 shown]
	s_waitcnt lgkmcnt(61)
	ds_load_u16_d16_hi v183, v88 offset:3600
	ds_load_u16_d16_hi v175, v88 offset:3632
	;; [unrolled: 1-line block ×8, first 2 shown]
	ds_load_u16 v128, v88 offset:192
	s_waitcnt lgkmcnt(19)
	ds_load_u16_d16_hi v176, v88 offset:240
	s_waitcnt lgkmcnt(19)
	ds_load_u16_d16_hi v168, v88 offset:272
	;; [unrolled: 2-line block ×6, first 2 shown]
	ds_load_u16_d16_hi v161, v88 offset:784
	ds_load_u16_d16_hi v153, v88 offset:816
	;; [unrolled: 1-line block ×15, first 2 shown]
	s_waitcnt lgkmcnt(21)
	ds_load_u16_d16_hi v128, v88 offset:432
	ds_load_u16_d16_hi v170, v88 offset:1232
	;; [unrolled: 1-line block ×22, first 2 shown]
	ds_load_u16 v120, v186
	ds_load_u16 v112, v186 offset:32
	ds_load_u16 v72, v186 offset:64
	;; [unrolled: 1-line block ×5, first 2 shown]
	ds_load_u16_d16_hi v75, v186 offset:1744
	ds_load_u16_d16_hi v83, v186 offset:1776
	;; [unrolled: 1-line block ×13, first 2 shown]
	ds_load_u16 v104, v186 offset:192
	s_waitcnt lgkmcnt(19)
	ds_load_u16_d16_hi v120, v186 offset:240
	s_waitcnt lgkmcnt(19)
	ds_load_u16_d16_hi v112, v186 offset:272
	;; [unrolled: 2-line block ×6, first 2 shown]
	ds_load_u16_d16_hi v73, v186 offset:784
	ds_load_u16_d16_hi v81, v186 offset:816
	;; [unrolled: 1-line block ×15, first 2 shown]
	s_waitcnt lgkmcnt(21)
	ds_load_u16_d16_hi v104, v186 offset:432
	ds_load_u16_d16_hi v114, v186 offset:1232
	;; [unrolled: 1-line block ×21, first 2 shown]
	ds_bpermute_b32 v186, v193, v185
	s_waitcnt lgkmcnt(0)
	s_barrier
	buffer_gl0_inv
	s_and_saveexec_b32 s1, s0
	s_cbranch_execz .LBB19_495
; %bb.494:
	v_or_b32_e32 v187, v200, v232
	v_add_f32_e32 v185, v185, v186
	s_delay_alu instid0(VALU_DEP_2)
	v_mad_i32_i24 v187, 0xf0, v187, 0
	ds_store_2addr_b32 v187, v184, v185 offset0:56 offset1:57
.LBB19_495:
	s_or_b32 exec_lo, exec_lo, s1
	v_wmma_f32_16x16x16_f16 v[48:55], v[176:183], v[56:63], v[48:55]
	v_wmma_f32_16x16x16_f16 v[40:47], v[168:175], v[56:63], v[40:47]
	;; [unrolled: 1-line block ×7, first 2 shown]
	v_cmp_eq_u32_e32 vcc_lo, 0, v191
	v_cmp_eq_u32_e64 s1, 1, v191
	s_waitcnt lgkmcnt(0)
	s_barrier
	buffer_gl0_inv
	s_and_saveexec_b32 s2, s1
	s_delay_alu instid0(SALU_CYCLE_1)
	s_xor_b32 s1, exec_lo, s2
	s_cbranch_execz .LBB19_497
; %bb.496:
	s_barrier
	buffer_gl0_inv
                                        ; implicit-def: $vgpr193
                                        ; implicit-def: $vgpr189
.LBB19_497:
	s_or_saveexec_b32 s2, s1
	v_wmma_f32_16x16x16_f16 v[48:55], v[120:127], v[64:71], v[48:55]
	v_wmma_f32_16x16x16_f16 v[40:47], v[112:119], v[64:71], v[40:47]
	;; [unrolled: 1-line block ×7, first 2 shown]
	s_xor_b32 exec_lo, exec_lo, s2
	s_cbranch_execz .LBB19_501
; %bb.498:
	v_add_nc_u32_e32 v56, v200, v232
	s_delay_alu instid0(VALU_DEP_1)
	v_mad_i32_i24 v60, 0xf0, v56, 0
	ds_load_b64 v[58:59], v60 offset:224
	s_waitcnt lgkmcnt(0)
	s_barrier
	buffer_gl0_inv
	v_max_f32_e32 v57, v58, v58
	ds_bpermute_b32 v56, v193, v58
	s_waitcnt lgkmcnt(0)
	v_max_f32_e32 v56, v56, v56
	s_delay_alu instid0(VALU_DEP_1) | instskip(NEXT) | instid1(VALU_DEP_1)
	v_max_f32_e32 v56, v57, v56
	v_sub_f32_e32 v57, v58, v56
	s_delay_alu instid0(VALU_DEP_1) | instskip(SKIP_1) | instid1(VALU_DEP_2)
	v_mul_f32_e32 v58, 0x3fb8aa3b, v57
	v_cmp_ngt_f32_e64 s1, 0xc2ce8ed0, v57
	v_fma_f32 v61, 0x3fb8aa3b, v57, -v58
	v_rndne_f32_e32 v62, v58
	s_delay_alu instid0(VALU_DEP_1) | instskip(NEXT) | instid1(VALU_DEP_1)
	v_dual_fmamk_f32 v61, v57, 0x32a5705f, v61 :: v_dual_sub_f32 v58, v58, v62
	v_add_f32_e32 v58, v58, v61
	v_cvt_i32_f32_e32 v61, v62
	s_delay_alu instid0(VALU_DEP_2) | instskip(SKIP_2) | instid1(VALU_DEP_1)
	v_exp_f32_e32 v58, v58
	s_waitcnt_depctr 0xfff
	v_ldexp_f32 v58, v58, v61
	v_cndmask_b32_e64 v58, 0, v58, s1
	v_cmp_nlt_f32_e64 s1, 0x42b17218, v57
	s_delay_alu instid0(VALU_DEP_1) | instskip(SKIP_1) | instid1(VALU_DEP_1)
	v_cndmask_b32_e64 v57, 0x7f800000, v58, s1
	s_mov_b32 s1, 0
	v_mul_f32_e32 v58, v59, v57
	ds_bpermute_b32 v58, v193, v58
	s_waitcnt lgkmcnt(0)
	v_fmac_f32_e32 v58, v59, v57
	ds_store_b64 v60, v[57:58] offset:224
	s_and_saveexec_b32 s3, s0
	s_cbranch_execz .LBB19_500
; %bb.499:
	v_or_b32_e32 v57, v189, v232
	s_add_i32 s0, s24, s15
	s_delay_alu instid0(SALU_CYCLE_1) | instskip(NEXT) | instid1(SALU_CYCLE_1)
	s_lshl_b32 s0, s0, 5
	s_lshl_b64 s[0:1], s[0:1], 3
	s_delay_alu instid0(VALU_DEP_1)
	v_lshlrev_b32_e32 v59, 3, v57
	v_mov_b32_e32 v57, v58
	s_add_u32 s0, s50, s0
	s_addc_u32 s1, s51, s1
	global_store_b64 v59, v[56:57], s[0:1]
.LBB19_500:
	s_or_b32 exec_lo, exec_lo, s3
.LBB19_501:
	s_delay_alu instid0(SALU_CYCLE_1)
	s_or_b32 exec_lo, exec_lo, s2
	v_or_b32_e32 v56, v200, v188
	v_cvt_f16_f32_e32 v48, v48
	v_cvt_f16_f32_e32 v40, v40
	;; [unrolled: 1-line block ×4, first 2 shown]
	v_mul_i32_i24_e32 v56, 0xf0, v56
	v_cvt_f16_f32_e32 v16, v16
	v_cvt_f16_f32_e32 v8, v8
	;; [unrolled: 1-line block ×4, first 2 shown]
	v_add3_u32 v56, 0, v56, v205
	v_cvt_f16_f32_e32 v41, v41
	v_cvt_f16_f32_e32 v33, v33
	;; [unrolled: 1-line block ×13, first 2 shown]
	s_mov_b32 s1, 0
	v_cvt_f16_f32_e32 v51, v51
	v_cvt_f16_f32_e32 v43, v43
	;; [unrolled: 1-line block ×17, first 2 shown]
	ds_store_b16 v56, v48
	ds_store_b16 v56, v49 offset:4
	ds_store_b16 v56, v50 offset:8
	ds_store_b16 v56, v51 offset:12
	ds_store_b16 v56, v52 offset:16
	ds_store_b16 v56, v53 offset:20
	ds_store_b16 v56, v54 offset:24
	ds_store_b16 v56, v55 offset:28
	v_cvt_f16_f32_e32 v45, v45
	v_cvt_f16_f32_e32 v46, v46
	v_cvt_f16_f32_e32 v47, v47
	ds_store_b16 v56, v40 offset:32
	ds_store_b16 v56, v41 offset:36
	ds_store_b16 v56, v42 offset:40
	ds_store_b16 v56, v43 offset:44
	ds_store_b16 v56, v44 offset:48
	ds_store_b16 v56, v45 offset:52
	ds_store_b16 v56, v46 offset:56
	ds_store_b16 v56, v47 offset:60
	v_cvt_f16_f32_e32 v37, v37
	v_cvt_f16_f32_e32 v38, v38
	v_cvt_f16_f32_e32 v39, v39
	ds_store_b16 v56, v32 offset:64
	;; [unrolled: 11-line block ×6, first 2 shown]
	ds_store_b16 v56, v1 offset:196
	ds_store_b16 v56, v2 offset:200
	ds_store_b16 v56, v3 offset:204
	ds_store_b16 v56, v4 offset:208
	ds_store_b16 v56, v5 offset:212
	ds_store_b16 v56, v6 offset:216
	ds_store_b16 v56, v7 offset:220
	s_waitcnt lgkmcnt(0)
	s_waitcnt_vscnt null, 0x0
	s_barrier
	buffer_gl0_inv
	s_and_saveexec_b32 s2, vcc_lo
	s_cbranch_execz .LBB19_503
; %bb.502:
	v_lshrrev_b32_e32 v18, 1, v214
	v_bfe_u32 v16, v214, 1, 4
	v_lshlrev_b32_e32 v19, 2, v232
	s_mul_i32 s0, s15, 0x700
	s_delay_alu instid0(SALU_CYCLE_1)
	s_lshl_b64 s[4:5], s[0:1], 3
	v_add_nc_u32_e32 v0, 2, v18
	v_add_nc_u32_e32 v1, 4, v18
	v_and_or_b32 v3, 0x3e0, v214, v16
	v_add_nc_u32_e32 v4, 6, v18
	v_add_nc_u32_e32 v17, 8, v18
	v_lshlrev_b32_e32 v2, 1, v0
	v_and_b32_e32 v0, 15, v0
	v_lshlrev_b32_e32 v5, 1, v1
	v_and_b32_e32 v1, 15, v1
	v_mul_u32_u24_e32 v13, 56, v18
	v_lshlrev_b32_e32 v22, 1, v17
	v_and_or_b32 v0, 0x7e0, v2, v0
	v_mad_u32_u24 v2, 0xf0, v3, 0
	v_lshlrev_b32_e32 v3, 1, v4
	v_and_b32_e32 v4, 15, v4
	v_and_or_b32 v1, 0x7e0, v5, v1
	v_mad_u32_u24 v0, 0xf0, v0, 0
	v_add_nc_u32_e32 v5, 0xe0, v2
	v_add_nc_u32_e32 v2, v2, v19
	v_and_or_b32 v8, 0x7e0, v3, v4
	v_mad_u32_u24 v9, 0xf0, v1, 0
	v_add_nc_u32_e32 v4, 0xe0, v0
	v_add_nc_u32_e32 v6, v0, v19
	ds_load_2addr_stride64_b32 v[0:1], v5 offset1:15
	ds_load_2addr_stride64_b32 v[2:3], v2 offset1:15
	;; [unrolled: 1-line block ×4, first 2 shown]
	v_add_nc_u32_e32 v10, 0xe0, v9
	v_add_nc_u32_e32 v11, v9, v19
	v_mad_u32_u24 v12, 0xf0, v8, 0
	ds_load_2addr_stride64_b32 v[8:9], v10 offset1:15
	ds_load_2addr_stride64_b32 v[10:11], v11 offset1:15
	v_and_b32_e32 v17, 15, v17
	v_add_nc_u32_e32 v14, 0xe0, v12
	v_add_nc_u32_e32 v15, v12, v19
	v_add_lshl_u32 v20, v13, v232, 3
	ds_load_2addr_stride64_b32 v[12:13], v14 offset1:15
	ds_load_2addr_stride64_b32 v[14:15], v15 offset1:15
	s_add_u32 s3, s50, s4
	s_addc_u32 s4, s51, s5
	s_lshl_b32 s0, s24, 6
	s_waitcnt lgkmcnt(6)
	v_fma_mix_f32 v21, v0, v2, 0 op_sel_hi:[0,1,0]
	v_fma_mix_f32 v2, v0, v2, 0 op_sel:[0,1,0] op_sel_hi:[0,1,0]
	s_lshl_b64 s[0:1], s[0:1], 3
	s_waitcnt lgkmcnt(4)
	v_fma_mix_f32 v23, v4, v6, 0 op_sel_hi:[0,1,0]
	s_add_u32 s0, s3, s0
	v_fma_mix_f32 v0, v1, v3, v21 op_sel_hi:[0,1,0]
	v_fma_mix_f32 v1, v1, v3, v2 op_sel:[0,1,0] op_sel_hi:[0,1,0]
	v_fma_mix_f32 v3, v4, v6, 0 op_sel:[0,1,0] op_sel_hi:[0,1,0]
	v_and_or_b32 v6, 0x7e0, v22, v17
	v_fma_mix_f32 v2, v5, v7, v23 op_sel_hi:[0,1,0]
	s_waitcnt lgkmcnt(2)
	v_fma_mix_f32 v4, v8, v10, 0 op_sel_hi:[0,1,0]
	v_add_nc_u32_e32 v17, 10, v18
	v_fma_mix_f32 v3, v5, v7, v3 op_sel:[0,1,0] op_sel_hi:[0,1,0]
	v_fma_mix_f32 v5, v8, v10, 0 op_sel:[0,1,0] op_sel_hi:[0,1,0]
	v_mad_u32_u24 v6, 0xf0, v6, 0
	v_fma_mix_f32 v4, v9, v11, v4 op_sel_hi:[0,1,0]
	v_lshlrev_b32_e32 v7, 1, v17
	v_and_b32_e32 v8, 15, v17
	v_fma_mix_f32 v5, v9, v11, v5 op_sel:[0,1,0] op_sel_hi:[0,1,0]
	v_add_nc_u32_e32 v9, 0xe0, v6
	v_add_nc_u32_e32 v11, v6, v19
	;; [unrolled: 1-line block ×3, first 2 shown]
	v_and_or_b32 v17, 0x7e0, v7, v8
	ds_load_2addr_stride64_b32 v[6:7], v9 offset1:15
	ds_load_2addr_stride64_b32 v[8:9], v11 offset1:15
	s_waitcnt lgkmcnt(2)
	v_fma_mix_f32 v10, v12, v14, 0 op_sel_hi:[0,1,0]
	v_fma_mix_f32 v12, v12, v14, 0 op_sel:[0,1,0] op_sel_hi:[0,1,0]
	v_mad_u32_u24 v14, 0xf0, v17, 0
	v_lshlrev_b32_e32 v17, 1, v21
	v_and_b32_e32 v21, 15, v21
	v_fma_mix_f32 v10, v13, v15, v10 op_sel_hi:[0,1,0]
	v_fma_mix_f32 v11, v13, v15, v12 op_sel:[0,1,0] op_sel_hi:[0,1,0]
	v_add_nc_u32_e32 v12, 0xe0, v14
	v_add_nc_u32_e32 v14, v14, v19
	v_and_or_b32 v17, 0x7e0, v17, v21
	v_add_nc_u32_e32 v21, 14, v18
	ds_load_2addr_stride64_b32 v[12:13], v12 offset1:15
	ds_load_2addr_stride64_b32 v[14:15], v14 offset1:15
	s_addc_u32 s1, s4, s1
	v_mad_u32_u24 v17, 0xf0, v17, 0
	v_lshlrev_b32_e32 v23, 1, v21
	v_and_b32_e32 v21, 15, v21
	v_add_nc_u32_e32 v22, 0xa80, v20
	s_clause 0x3
	global_store_b64 v20, v[0:1], s[0:1]
	global_store_b64 v20, v[2:3], s[0:1] offset:896
	global_store_b64 v20, v[4:5], s[0:1] offset:1792
	global_store_b64 v22, v[10:11], s[0:1]
	s_waitcnt lgkmcnt(2)
	v_fma_mix_f32 v0, v6, v8, 0 op_sel_hi:[0,1,0]
	v_add_nc_u32_e32 v1, 0xe0, v17
	v_and_or_b32 v10, 0x7e0, v23, v21
	v_fma_mix_f32 v6, v6, v8, 0 op_sel:[0,1,0] op_sel_hi:[0,1,0]
	v_add_nc_u32_e32 v4, v17, v19
	ds_load_2addr_stride64_b32 v[2:3], v1 offset1:15
	ds_load_2addr_stride64_b32 v[4:5], v4 offset1:15
	v_mad_u32_u24 v8, 0xf0, v10, 0
	v_fma_mix_f32 v1, v7, v9, v6 op_sel:[0,1,0] op_sel_hi:[0,1,0]
	v_add_nc_u32_e32 v6, 32, v214
	v_fma_mix_f32 v0, v7, v9, v0 op_sel_hi:[0,1,0]
	s_waitcnt lgkmcnt(2)
	v_fma_mix_f32 v10, v12, v14, 0 op_sel_hi:[0,1,0]
	v_add_nc_u32_e32 v7, 0xe0, v8
	v_add_nc_u32_e32 v8, v8, v19
	v_and_or_b32 v11, 0x7e0, v6, v16
	v_add_nc_u32_e32 v16, 18, v18
	v_fma_mix_f32 v12, v12, v14, 0 op_sel:[0,1,0] op_sel_hi:[0,1,0]
	ds_load_2addr_stride64_b32 v[6:7], v7 offset1:15
	ds_load_2addr_stride64_b32 v[8:9], v8 offset1:15
	v_fma_mix_f32 v10, v13, v15, v10 op_sel_hi:[0,1,0]
	v_mad_u32_u24 v14, 0xf0, v11, 0
	v_lshlrev_b32_e32 v17, 1, v16
	v_and_b32_e32 v16, 15, v16
	v_fma_mix_f32 v11, v13, v15, v12 op_sel:[0,1,0] op_sel_hi:[0,1,0]
	v_add_nc_u32_e32 v24, 20, v18
	v_add_nc_u32_e32 v12, 0xe0, v14
	;; [unrolled: 1-line block ×3, first 2 shown]
	v_and_or_b32 v16, 0x7e0, v17, v16
	s_waitcnt lgkmcnt(2)
	v_fma_mix_f32 v17, v2, v4, 0 op_sel_hi:[0,1,0]
	v_fma_mix_f32 v4, v2, v4, 0 op_sel:[0,1,0] op_sel_hi:[0,1,0]
	ds_load_2addr_stride64_b32 v[12:13], v12 offset1:15
	ds_load_2addr_stride64_b32 v[14:15], v14 offset1:15
	v_add_nc_u32_e32 v21, 0xe00, v20
	v_mad_u32_u24 v16, 0xf0, v16, 0
	v_fma_mix_f32 v2, v3, v5, v17 op_sel_hi:[0,1,0]
	v_fma_mix_f32 v3, v3, v5, v4 op_sel:[0,1,0] op_sel_hi:[0,1,0]
	v_add_nc_u32_e32 v22, 0x1180, v20
	v_add_nc_u32_e32 v23, 0x1500, v20
	;; [unrolled: 1-line block ×4, first 2 shown]
	s_waitcnt lgkmcnt(2)
	v_fma_mix_f32 v25, v6, v8, 0 op_sel_hi:[0,1,0]
	v_fma_mix_f32 v6, v6, v8, 0 op_sel:[0,1,0] op_sel_hi:[0,1,0]
	ds_load_2addr_stride64_b32 v[4:5], v4 offset1:15
	ds_load_2addr_stride64_b32 v[16:17], v16 offset1:15
	v_lshlrev_b32_e32 v8, 1, v24
	v_and_b32_e32 v24, 15, v24
	s_clause 0x2
	global_store_b64 v21, v[0:1], s[0:1]
	global_store_b64 v22, v[10:11], s[0:1]
	;; [unrolled: 1-line block ×3, first 2 shown]
	v_fma_mix_f32 v1, v7, v9, v6 op_sel:[0,1,0] op_sel_hi:[0,1,0]
	v_add_nc_u32_e32 v6, 22, v18
	v_fma_mix_f32 v0, v7, v9, v25 op_sel_hi:[0,1,0]
	v_and_or_b32 v3, 0x7e0, v8, v24
	s_waitcnt lgkmcnt(2)
	v_fma_mix_f32 v7, v12, v14, 0 op_sel:[0,1,0] op_sel_hi:[0,1,0]
	v_fma_mix_f32 v2, v12, v14, 0 op_sel_hi:[0,1,0]
	v_lshlrev_b32_e32 v9, 1, v6
	v_and_b32_e32 v6, 15, v6
	v_mad_u32_u24 v8, 0xf0, v3, 0
	v_fma_mix_f32 v3, v13, v15, v7 op_sel:[0,1,0] op_sel_hi:[0,1,0]
	v_add_nc_u32_e32 v11, 24, v18
	v_fma_mix_f32 v2, v13, v15, v2 op_sel_hi:[0,1,0]
	v_and_or_b32 v10, 0x7e0, v9, v6
	v_add_nc_u32_e32 v7, 0xe0, v8
	v_add_nc_u32_e32 v8, v8, v19
	ds_load_2addr_stride64_b32 v[6:7], v7 offset1:15
	ds_load_2addr_stride64_b32 v[8:9], v8 offset1:15
	s_waitcnt lgkmcnt(2)
	v_fma_mix_f32 v12, v4, v16, 0 op_sel_hi:[0,1,0]
	v_mad_u32_u24 v10, 0xf0, v10, 0
	v_lshlrev_b32_e32 v13, 1, v11
	v_and_b32_e32 v11, 15, v11
	v_fma_mix_f32 v15, v4, v16, 0 op_sel:[0,1,0] op_sel_hi:[0,1,0]
	v_fma_mix_f32 v4, v5, v17, v12 op_sel_hi:[0,1,0]
	v_add_nc_u32_e32 v12, 0xe0, v10
	v_add_nc_u32_e32 v21, 0x1880, v20
	;; [unrolled: 1-line block ×3, first 2 shown]
	v_and_or_b32 v22, 0x7e0, v13, v11
	ds_load_2addr_stride64_b32 v[10:11], v12 offset1:15
	ds_load_2addr_stride64_b32 v[12:13], v16 offset1:15
	v_add_nc_u32_e32 v14, 0x1c00, v20
	v_mad_u32_u24 v16, 0xf0, v22, 0
	global_store_b64 v21, v[0:1], s[0:1]
	v_add_nc_u32_e32 v0, 26, v18
	v_fma_mix_f32 v5, v5, v17, v15 op_sel:[0,1,0] op_sel_hi:[0,1,0]
	v_add_nc_u32_e32 v15, 0x1f80, v20
	s_clause 0x1
	global_store_b64 v14, v[2:3], s[0:1]
	global_store_b64 v15, v[4:5], s[0:1]
	v_add_nc_u32_e32 v1, 0xe0, v16
	v_lshlrev_b32_e32 v4, 1, v0
	v_and_b32_e32 v5, 15, v0
	v_add_nc_u32_e32 v2, v16, v19
	s_waitcnt lgkmcnt(2)
	v_fma_mix_f32 v14, v6, v8, 0 op_sel_hi:[0,1,0]
	v_fma_mix_f32 v6, v6, v8, 0 op_sel:[0,1,0] op_sel_hi:[0,1,0]
	ds_load_2addr_stride64_b32 v[0:1], v1 offset1:15
	ds_load_2addr_stride64_b32 v[2:3], v2 offset1:15
	v_and_or_b32 v8, 0x7e0, v4, v5
	v_fma_mix_f32 v4, v7, v9, v14 op_sel_hi:[0,1,0]
	v_fma_mix_f32 v5, v7, v9, v6 op_sel:[0,1,0] op_sel_hi:[0,1,0]
	v_add_nc_u32_e32 v6, 28, v18
	s_waitcnt lgkmcnt(2)
	v_fma_mix_f32 v9, v10, v12, 0 op_sel:[0,1,0] op_sel_hi:[0,1,0]
	v_mad_u32_u24 v7, 0xf0, v8, 0
	v_fma_mix_f32 v8, v10, v12, 0 op_sel_hi:[0,1,0]
	v_add_nc_u32_e32 v14, 0x2300, v20
	v_lshlrev_b32_e32 v10, 1, v6
	v_and_b32_e32 v12, 15, v6
	v_add_nc_u32_e32 v15, 0xe0, v7
	v_add_nc_u32_e32 v16, v7, v19
	v_fma_mix_f32 v6, v11, v13, v8 op_sel_hi:[0,1,0]
	v_fma_mix_f32 v7, v11, v13, v9 op_sel:[0,1,0] op_sel_hi:[0,1,0]
	v_and_or_b32 v12, 0x7e0, v10, v12
	ds_load_2addr_stride64_b32 v[8:9], v15 offset1:15
	ds_load_2addr_stride64_b32 v[10:11], v16 offset1:15
	v_add_nc_u32_e32 v13, 30, v18
	v_add_nc_u32_e32 v15, 0x2680, v20
	;; [unrolled: 1-line block ×3, first 2 shown]
	v_mad_u32_u24 v12, 0xf0, v12, 0
	s_waitcnt lgkmcnt(2)
	v_fma_mix_f32 v16, v0, v2, 0 op_sel_hi:[0,1,0]
	v_lshlrev_b32_e32 v17, 1, v13
	v_and_b32_e32 v13, 15, v13
	v_fma_mix_f32 v2, v0, v2, 0 op_sel:[0,1,0] op_sel_hi:[0,1,0]
	v_add_nc_u32_e32 v18, 0xe0, v12
	v_add_nc_u32_e32 v12, v12, v19
	v_fma_mix_f32 v0, v1, v3, v16 op_sel_hi:[0,1,0]
	v_and_or_b32 v16, 0x7e0, v17, v13
	v_fma_mix_f32 v1, v1, v3, v2 op_sel:[0,1,0] op_sel_hi:[0,1,0]
	ds_load_2addr_stride64_b32 v[2:3], v18 offset1:15
	ds_load_2addr_stride64_b32 v[12:13], v12 offset1:15
	v_add_nc_u32_e32 v17, 0x2a00, v20
	global_store_b64 v14, v[4:5], s[0:1]
	v_mad_u32_u24 v4, 0xf0, v16, 0
	global_store_b64 v15, v[6:7], s[0:1]
	v_lshlrev_b32_e32 v14, 1, v22
	global_store_b64 v17, v[0:1], s[0:1]
	s_waitcnt lgkmcnt(2)
	v_fma_mix_f32 v0, v8, v10, 0 op_sel_hi:[0,1,0]
	v_add_nc_u32_e32 v1, 0xe0, v4
	v_and_b32_e32 v15, 15, v22
	v_fma_mix_f32 v8, v8, v10, 0 op_sel:[0,1,0] op_sel_hi:[0,1,0]
	v_add_nc_u32_e32 v6, v4, v19
	ds_load_2addr_stride64_b32 v[4:5], v1 offset1:15
	ds_load_2addr_stride64_b32 v[6:7], v6 offset1:15
	v_and_or_b32 v10, 0xfe0, v14, v15
	v_fma_mix_f32 v1, v9, v11, v8 op_sel:[0,1,0] op_sel_hi:[0,1,0]
	v_add_nc_u32_e32 v8, 4, v22
	v_fma_mix_f32 v0, v9, v11, v0 op_sel_hi:[0,1,0]
	v_add_nc_u32_e32 v9, 0x2d80, v20
	v_mad_u32_u24 v10, 0xf0, v10, 0
	v_lshlrev_b32_e32 v23, 2, v188
	v_lshlrev_b32_e32 v16, 1, v8
	v_and_b32_e32 v8, 15, v8
	s_waitcnt lgkmcnt(2)
	v_fma_mix_f32 v11, v2, v12, 0 op_sel_hi:[0,1,0]
	v_fma_mix_f32 v2, v2, v12, 0 op_sel:[0,1,0] op_sel_hi:[0,1,0]
	global_store_b64 v9, v[0:1], s[0:1]
	v_add_nc_u32_e32 v9, v10, v23
	v_and_or_b32 v8, 0x1fe0, v16, v8
	v_fma_mix_f32 v0, v3, v13, v11 op_sel_hi:[0,1,0]
	v_fma_mix_f32 v1, v3, v13, v2 op_sel:[0,1,0] op_sel_hi:[0,1,0]
	v_add_nc_u32_e32 v2, 0xe0, v10
	v_add_nc_u32_e32 v9, 0x80, v9
	v_mad_u32_u24 v10, 0xf0, v8, 0
	v_add_nc_u32_e32 v11, 8, v22
	ds_load_2addr_stride64_b32 v[2:3], v2 offset1:15
	ds_load_2addr_stride64_b32 v[8:9], v9 offset1:15
	s_waitcnt lgkmcnt(2)
	v_fma_mix_f32 v13, v4, v6, 0 op_sel_hi:[0,1,0]
	v_add_nc_u32_e32 v16, v10, v23
	v_lshlrev_b32_e32 v17, 1, v11
	v_and_b32_e32 v11, 15, v11
	v_fma_mix_f32 v6, v4, v6, 0 op_sel:[0,1,0] op_sel_hi:[0,1,0]
	v_fma_mix_f32 v4, v5, v7, v13 op_sel_hi:[0,1,0]
	v_add_nc_u32_e32 v10, 0xe0, v10
	v_add_nc_u32_e32 v13, 0x80, v16
	v_and_or_b32 v16, 0x1fe0, v17, v11
	v_add_nc_u32_e32 v12, 0x3100, v20
	v_fma_mix_f32 v5, v5, v7, v6 op_sel:[0,1,0] op_sel_hi:[0,1,0]
	ds_load_2addr_stride64_b32 v[6:7], v10 offset1:15
	ds_load_2addr_stride64_b32 v[10:11], v13 offset1:15
	v_add_nc_u32_e32 v17, 0x3480, v20
	v_mad_u32_u24 v13, 0xf0, v16, 0
	v_add_nc_u32_e32 v16, 12, v22
	s_clause 0x1
	global_store_b64 v12, v[0:1], s[0:1]
	global_store_b64 v17, v[4:5], s[0:1]
	v_mul_u32_u24_e32 v12, 56, v22
	v_add_nc_u32_e32 v0, v13, v23
	v_lshlrev_b32_e32 v1, 1, v16
	v_and_b32_e32 v4, 15, v16
	s_waitcnt lgkmcnt(2)
	v_fma_mix_f32 v5, v2, v8, 0 op_sel_hi:[0,1,0]
	v_fma_mix_f32 v2, v2, v8, 0 op_sel:[0,1,0] op_sel_hi:[0,1,0]
	v_add_nc_u32_e32 v8, 0xe0, v13
	v_add_nc_u32_e32 v13, 0x80, v0
	v_and_or_b32 v16, 0x1fe0, v1, v4
	v_fma_mix_f32 v0, v3, v9, v5 op_sel_hi:[0,1,0]
	v_fma_mix_f32 v1, v3, v9, v2 op_sel:[0,1,0] op_sel_hi:[0,1,0]
	ds_load_2addr_stride64_b32 v[2:3], v8 offset1:15
	ds_load_2addr_stride64_b32 v[4:5], v13 offset1:15
	v_add_lshl_u32 v24, v12, v188, 3
	v_mad_u32_u24 v13, 0xf0, v16, 0
	s_waitcnt lgkmcnt(2)
	v_fma_mix_f32 v12, v6, v10, 0 op_sel_hi:[0,1,0]
	v_fma_mix_f32 v10, v6, v10, 0 op_sel:[0,1,0] op_sel_hi:[0,1,0]
	v_add_nc_u32_e32 v14, 32, v14
	v_mad_u32_u24 v8, v22, 56, 0xe0
	v_add_nc_u32_e32 v16, v13, v23
	v_fma_mix_f32 v6, v7, v11, v12 op_sel_hi:[0,1,0]
	v_fma_mix_f32 v7, v7, v11, v10 op_sel:[0,1,0] op_sel_hi:[0,1,0]
	v_add_nc_u32_e32 v10, 0xe0, v13
	v_add_co_u32 v8, s3, v8, v188
	v_add_nc_u32_e32 v12, 0x80, v16
	v_mad_u32_u24 v16, v22, 56, 0x1c0
	ds_load_2addr_stride64_b32 v[10:11], v10 offset1:15
	ds_load_2addr_stride64_b32 v[12:13], v12 offset1:15
	v_add_co_ci_u32_e64 v9, null, 0, 0, s3
	s_waitcnt lgkmcnt(2)
	v_fma_mix_f32 v17, v2, v4, 0 op_sel_hi:[0,1,0]
	v_fma_mix_f32 v4, v2, v4, 0 op_sel:[0,1,0] op_sel_hi:[0,1,0]
	v_and_or_b32 v2, 0x1fe0, v14, v15
	v_add_co_u32 v14, s3, v16, v188
	s_delay_alu instid0(VALU_DEP_1) | instskip(NEXT) | instid1(VALU_DEP_3)
	v_add_co_ci_u32_e64 v15, null, 0, 0, s3
	v_mad_u32_u24 v16, 0xf0, v2, 0
	v_fma_mix_f32 v2, v3, v5, v17 op_sel_hi:[0,1,0]
	v_fma_mix_f32 v3, v3, v5, v4 op_sel:[0,1,0] op_sel_hi:[0,1,0]
	s_delay_alu instid0(VALU_DEP_4) | instskip(SKIP_4) | instid1(VALU_DEP_3)
	v_lshlrev_b64 v[4:5], 3, v[14:15]
	v_lshlrev_b64 v[8:9], 3, v[8:9]
	v_add_nc_u32_e32 v18, v16, v23
	v_add_nc_u32_e32 v14, 0xe0, v16
	;; [unrolled: 1-line block ×4, first 2 shown]
	v_mad_u32_u24 v18, v22, 56, 0x2a0
	ds_load_2addr_stride64_b32 v[14:15], v14 offset1:15
	ds_load_2addr_stride64_b32 v[16:17], v16 offset1:15
	s_waitcnt lgkmcnt(2)
	v_fma_mix_f32 v20, v10, v12, 0 op_sel_hi:[0,1,0]
	v_fma_mix_f32 v12, v10, v12, 0 op_sel:[0,1,0] op_sel_hi:[0,1,0]
	v_add_nc_u32_e32 v10, 20, v22
	v_add_co_u32 v18, s3, v18, v188
	s_delay_alu instid0(VALU_DEP_1) | instskip(NEXT) | instid1(VALU_DEP_3)
	v_add_co_ci_u32_e64 v19, null, 0, 0, s3
	v_lshlrev_b32_e32 v21, 1, v10
	v_and_b32_e32 v25, 15, v10
	v_add_co_u32 v8, vcc_lo, s0, v8
	s_delay_alu instid0(VALU_DEP_4)
	v_lshlrev_b64 v[18:19], 3, v[18:19]
	v_add_co_ci_u32_e32 v9, vcc_lo, s1, v9, vcc_lo
	v_add_co_u32 v4, vcc_lo, s0, v4
	v_fma_mix_f32 v10, v11, v13, v20 op_sel_hi:[0,1,0]
	v_and_or_b32 v20, 0x1fe0, v21, v25
	v_add_nc_u32_e32 v21, 24, v22
	v_add_co_ci_u32_e32 v5, vcc_lo, s1, v5, vcc_lo
	v_fma_mix_f32 v11, v11, v13, v12 op_sel:[0,1,0] op_sel_hi:[0,1,0]
	v_add_co_u32 v12, vcc_lo, s0, v18
	v_add_co_ci_u32_e32 v13, vcc_lo, s1, v19, vcc_lo
	v_mad_u32_u24 v20, 0xf0, v20, 0
	v_lshlrev_b32_e32 v19, 1, v21
	v_and_b32_e32 v21, 15, v21
	s_waitcnt lgkmcnt(0)
	v_fma_mix_f32 v18, v14, v16, 0 op_sel_hi:[0,1,0]
	v_mad_u32_u24 v25, v22, 56, 0x380
	v_add_nc_u32_e32 v26, v20, v23
	v_fma_mix_f32 v16, v14, v16, 0 op_sel:[0,1,0] op_sel_hi:[0,1,0]
	v_and_or_b32 v21, 0x1fe0, v19, v21
	v_fma_mix_f32 v14, v15, v17, v18 op_sel_hi:[0,1,0]
	v_add_co_u32 v18, s3, v25, v188
	s_delay_alu instid0(VALU_DEP_1)
	v_add_co_ci_u32_e64 v19, null, 0, 0, s3
	v_add_nc_u32_e32 v20, 0xe0, v20
	v_add_nc_u32_e32 v25, 0x80, v26
	v_mad_u32_u24 v26, 0xf0, v21, 0
	v_fma_mix_f32 v15, v15, v17, v16 op_sel:[0,1,0] op_sel_hi:[0,1,0]
	v_lshlrev_b64 v[16:17], 3, v[18:19]
	ds_load_2addr_stride64_b32 v[18:19], v20 offset1:15
	ds_load_2addr_stride64_b32 v[20:21], v25 offset1:15
	v_lshlrev_b32_e32 v28, 1, v27
	v_add_nc_u32_e32 v25, v26, v23
	v_and_b32_e32 v27, 15, v27
	v_add_nc_u32_e32 v26, 0xe0, v26
	v_add_co_u32 v16, vcc_lo, s0, v16
	s_delay_alu instid0(VALU_DEP_4)
	v_add_nc_u32_e32 v25, 0x80, v25
	v_add_co_ci_u32_e32 v17, vcc_lo, s1, v17, vcc_lo
	s_clause 0x4
	global_store_b64 v24, v[0:1], s[0:1] offset:256
	global_store_b64 v[8:9], v[6:7], off offset:256
	global_store_b64 v[4:5], v[2:3], off offset:256
	;; [unrolled: 1-line block ×4, first 2 shown]
	v_and_or_b32 v4, 0x1fe0, v28, v27
	ds_load_2addr_stride64_b32 v[0:1], v26 offset1:15
	ds_load_2addr_stride64_b32 v[2:3], v25 offset1:15
	v_mad_u32_u24 v5, v22, 56, 0x460
	v_mad_u32_u24 v10, v22, 56, 0x540
	;; [unrolled: 1-line block ×3, first 2 shown]
	v_add_nc_u32_e32 v24, v199, v192
	s_delay_alu instid0(VALU_DEP_4) | instskip(NEXT) | instid1(VALU_DEP_1)
	v_add_co_u32 v4, s3, v5, v188
	v_add_co_ci_u32_e64 v5, null, 0, 0, s3
	s_delay_alu instid0(VALU_DEP_4) | instskip(SKIP_2) | instid1(VALU_DEP_4)
	v_add_nc_u32_e32 v9, v8, v23
	v_add_nc_u32_e32 v11, 0xe0, v8
	v_add_co_u32 v8, s3, v10, v188
	v_lshlrev_b64 v[4:5], 3, v[4:5]
	s_delay_alu instid0(VALU_DEP_4)
	v_add_nc_u32_e32 v12, 0x80, v9
	v_add_co_ci_u32_e64 v9, null, 0, 0, s3
	s_waitcnt lgkmcnt(2)
	v_fma_mix_f32 v6, v18, v20, 0 op_sel_hi:[0,1,0]
	v_fma_mix_f32 v7, v18, v20, 0 op_sel:[0,1,0] op_sel_hi:[0,1,0]
	s_waitcnt lgkmcnt(0)
	v_fma_mix_f32 v14, v0, v2, 0 op_sel_hi:[0,1,0]
	v_lshlrev_b64 v[8:9], 3, v[8:9]
	v_fma_mix_f32 v2, v0, v2, 0 op_sel:[0,1,0] op_sel_hi:[0,1,0]
	v_add_co_u32 v4, vcc_lo, s0, v4
	v_fma_mix_f32 v6, v19, v21, v6 op_sel_hi:[0,1,0]
	v_fma_mix_f32 v7, v19, v21, v7 op_sel:[0,1,0] op_sel_hi:[0,1,0]
	v_add_co_ci_u32_e32 v5, vcc_lo, s1, v5, vcc_lo
	ds_load_2addr_stride64_b32 v[10:11], v11 offset1:15
	ds_load_2addr_stride64_b32 v[12:13], v12 offset1:15
	v_fma_mix_f32 v0, v1, v3, v14 op_sel_hi:[0,1,0]
	v_fma_mix_f32 v1, v1, v3, v2 op_sel:[0,1,0] op_sel_hi:[0,1,0]
	v_add_co_u32 v2, vcc_lo, s0, v8
	v_add_co_ci_u32_e32 v3, vcc_lo, s1, v9, vcc_lo
	global_store_b64 v[4:5], v[6:7], off offset:256
	v_add_nc_u32_e32 v6, 8, v24
	v_lshlrev_b32_e32 v4, 1, v24
	v_and_b32_e32 v5, 15, v24
	global_store_b64 v[2:3], v[0:1], off offset:256
	v_mad_u32_u24 v1, v22, 56, 0x620
	v_lshlrev_b32_e32 v3, 1, v6
	v_and_b32_e32 v6, 15, v6
	v_and_or_b32 v2, 0x1fe0, v4, v5
	v_add_nc_u32_e32 v4, 32, v4
	s_delay_alu instid0(VALU_DEP_3) | instskip(SKIP_1) | instid1(VALU_DEP_4)
	v_and_or_b32 v3, 0x3fe0, v3, v6
	v_add_nc_u32_e32 v6, 24, v24
	v_mad_u32_u24 v2, 0xf0, v2, 0
	s_delay_alu instid0(VALU_DEP_4)
	v_and_or_b32 v4, 0x3fe0, v4, v5
	s_waitcnt lgkmcnt(0)
	v_fma_mix_f32 v0, v10, v12, 0 op_sel_hi:[0,1,0]
	v_fma_mix_f32 v10, v10, v12, 0 op_sel:[0,1,0] op_sel_hi:[0,1,0]
	v_lshlrev_b32_e32 v5, 1, v6
	v_and_b32_e32 v6, 15, v6
	v_lshlrev_b32_e32 v12, 2, v190
	v_add_nc_u32_e32 v7, 0xe0, v2
	v_mad_u32_u24 v9, 0xf0, v3, 0
	v_mad_u32_u24 v14, 0xf0, v4, 0
	v_and_or_b32 v6, 0x3fe0, v5, v6
	v_add_nc_u32_e32 v8, v2, v12
	ds_load_2addr_stride64_b32 v[2:3], v7 offset1:15
	v_add_nc_u32_e32 v7, v9, v12
	v_add_nc_u32_e32 v9, 0xe0, v9
	v_mad_u32_u24 v17, 0xf0, v6, 0
	v_add_nc_u32_e32 v8, 0xc0, v8
	v_add_nc_u32_e32 v16, v14, v12
	;; [unrolled: 1-line block ×5, first 2 shown]
	ds_load_2addr_stride64_b32 v[4:5], v8 offset1:15
	ds_load_2addr_stride64_b32 v[6:7], v9 offset1:15
	;; [unrolled: 1-line block ×3, first 2 shown]
	v_add_nc_u32_e32 v19, 0xc0, v16
	v_add_co_u32 v14, s3, v1, v188
	v_add_nc_u32_e32 v1, 0xe0, v17
	v_add_nc_u32_e32 v12, 0xc0, v12
	ds_load_2addr_stride64_b32 v[16:17], v18 offset1:15
	ds_load_2addr_stride64_b32 v[18:19], v19 offset1:15
	;; [unrolled: 1-line block ×4, first 2 shown]
	v_add_co_ci_u32_e64 v15, null, 0, 0, s3
	v_mul_u32_u24_e32 v12, 56, v24
	v_fma_mix_f32 v0, v11, v13, v0 op_sel_hi:[0,1,0]
	v_fma_mix_f32 v1, v11, v13, v10 op_sel:[0,1,0] op_sel_hi:[0,1,0]
	s_delay_alu instid0(VALU_DEP_4) | instskip(NEXT) | instid1(VALU_DEP_4)
	v_lshlrev_b64 v[14:15], 3, v[14:15]
	v_or_b32_e32 v12, v12, v190
	s_waitcnt lgkmcnt(6)
	v_fma_mix_f32 v13, v2, v4, 0 op_sel_hi:[0,1,0]
	v_fma_mix_f32 v4, v2, v4, 0 op_sel:[0,1,0] op_sel_hi:[0,1,0]
	s_delay_alu instid0(VALU_DEP_4)
	v_add_co_u32 v10, vcc_lo, s0, v14
	s_waitcnt lgkmcnt(4)
	v_fma_mix_f32 v14, v6, v8, 0 op_sel_hi:[0,1,0]
	v_fma_mix_f32 v6, v6, v8, 0 op_sel:[0,1,0] op_sel_hi:[0,1,0]
	v_lshlrev_b32_e32 v12, 3, v12
	v_fma_mix_f32 v2, v3, v5, v13 op_sel_hi:[0,1,0]
	v_fma_mix_f32 v3, v3, v5, v4 op_sel:[0,1,0] op_sel_hi:[0,1,0]
	v_fma_mix_f32 v4, v7, v9, v14 op_sel_hi:[0,1,0]
	v_fma_mix_f32 v5, v7, v9, v6 op_sel:[0,1,0] op_sel_hi:[0,1,0]
	s_waitcnt lgkmcnt(2)
	v_fma_mix_f32 v6, v16, v18, 0 op_sel_hi:[0,1,0]
	v_fma_mix_f32 v7, v16, v18, 0 op_sel:[0,1,0] op_sel_hi:[0,1,0]
	s_waitcnt lgkmcnt(0)
	v_fma_mix_f32 v8, v20, v22, 0 op_sel_hi:[0,1,0]
	v_fma_mix_f32 v9, v20, v22, 0 op_sel:[0,1,0] op_sel_hi:[0,1,0]
	v_add_co_ci_u32_e32 v11, vcc_lo, s1, v15, vcc_lo
	v_add_nc_u32_e32 v13, 0xe00, v12
	v_fma_mix_f32 v6, v17, v19, v6 op_sel_hi:[0,1,0]
	v_fma_mix_f32 v7, v17, v19, v7 op_sel:[0,1,0] op_sel_hi:[0,1,0]
	v_add_nc_u32_e32 v14, 0x1c00, v12
	v_fma_mix_f32 v8, v21, v23, v8 op_sel_hi:[0,1,0]
	v_fma_mix_f32 v9, v21, v23, v9 op_sel:[0,1,0] op_sel_hi:[0,1,0]
	v_add_nc_u32_e32 v15, 0x2a00, v12
	s_clause 0x4
	global_store_b64 v[10:11], v[0:1], off offset:256
	global_store_b64 v12, v[2:3], s[0:1] offset:384
	global_store_b64 v13, v[4:5], s[0:1] offset:384
	;; [unrolled: 1-line block ×4, first 2 shown]
.LBB19_503:
	s_or_b32 exec_lo, exec_lo, s2
	s_waitcnt_vscnt null, 0x0
	s_barrier
	buffer_gl0_inv
	s_endpgm
	.section	.rodata,"a",@progbits
	.p2align	6, 0x0
	.amdhsa_kernel _ZL18flash_attn_ext_f16ILi112ELi112ELi8ELi4ELb0ELb0EEvPKcS1_S1_S1_S1_PKiPfP15HIP_vector_typeIfLj2EEffffjfiS5_IjLj3EEiiiiiiiiiiiliiliiiiil
		.amdhsa_group_segment_fixed_size 0
		.amdhsa_private_segment_fixed_size 1136
		.amdhsa_kernarg_size 464
		.amdhsa_user_sgpr_count 15
		.amdhsa_user_sgpr_dispatch_ptr 0
		.amdhsa_user_sgpr_queue_ptr 0
		.amdhsa_user_sgpr_kernarg_segment_ptr 1
		.amdhsa_user_sgpr_dispatch_id 0
		.amdhsa_user_sgpr_private_segment_size 0
		.amdhsa_wavefront_size32 1
		.amdhsa_uses_dynamic_stack 0
		.amdhsa_enable_private_segment 1
		.amdhsa_system_sgpr_workgroup_id_x 1
		.amdhsa_system_sgpr_workgroup_id_y 0
		.amdhsa_system_sgpr_workgroup_id_z 0
		.amdhsa_system_sgpr_workgroup_info 0
		.amdhsa_system_vgpr_workitem_id 1
		.amdhsa_next_free_vgpr 256
		.amdhsa_next_free_sgpr 105
		.amdhsa_reserve_vcc 1
		.amdhsa_float_round_mode_32 0
		.amdhsa_float_round_mode_16_64 0
		.amdhsa_float_denorm_mode_32 3
		.amdhsa_float_denorm_mode_16_64 3
		.amdhsa_dx10_clamp 1
		.amdhsa_ieee_mode 1
		.amdhsa_fp16_overflow 0
		.amdhsa_workgroup_processor_mode 1
		.amdhsa_memory_ordered 1
		.amdhsa_forward_progress 0
		.amdhsa_shared_vgpr_count 0
		.amdhsa_exception_fp_ieee_invalid_op 0
		.amdhsa_exception_fp_denorm_src 0
		.amdhsa_exception_fp_ieee_div_zero 0
		.amdhsa_exception_fp_ieee_overflow 0
		.amdhsa_exception_fp_ieee_underflow 0
		.amdhsa_exception_fp_ieee_inexact 0
		.amdhsa_exception_int_div_zero 0
	.end_amdhsa_kernel
	.section	.text._ZL18flash_attn_ext_f16ILi112ELi112ELi8ELi4ELb0ELb0EEvPKcS1_S1_S1_S1_PKiPfP15HIP_vector_typeIfLj2EEffffjfiS5_IjLj3EEiiiiiiiiiiiliiliiiiil,"axG",@progbits,_ZL18flash_attn_ext_f16ILi112ELi112ELi8ELi4ELb0ELb0EEvPKcS1_S1_S1_S1_PKiPfP15HIP_vector_typeIfLj2EEffffjfiS5_IjLj3EEiiiiiiiiiiiliiliiiiil,comdat
.Lfunc_end19:
	.size	_ZL18flash_attn_ext_f16ILi112ELi112ELi8ELi4ELb0ELb0EEvPKcS1_S1_S1_S1_PKiPfP15HIP_vector_typeIfLj2EEffffjfiS5_IjLj3EEiiiiiiiiiiiliiliiiiil, .Lfunc_end19-_ZL18flash_attn_ext_f16ILi112ELi112ELi8ELi4ELb0ELb0EEvPKcS1_S1_S1_S1_PKiPfP15HIP_vector_typeIfLj2EEffffjfiS5_IjLj3EEiiiiiiiiiiiliiliiiiil
                                        ; -- End function
	.section	.AMDGPU.csdata,"",@progbits
; Kernel info:
; codeLenInByte = 98876
; NumSgprs: 107
; NumVgprs: 256
; ScratchSize: 1136
; MemoryBound: 0
; FloatMode: 240
; IeeeMode: 1
; LDSByteSize: 0 bytes/workgroup (compile time only)
; SGPRBlocks: 13
; VGPRBlocks: 31
; NumSGPRsForWavesPerEU: 107
; NumVGPRsForWavesPerEU: 256
; Occupancy: 5
; WaveLimiterHint : 1
; COMPUTE_PGM_RSRC2:SCRATCH_EN: 1
; COMPUTE_PGM_RSRC2:USER_SGPR: 15
; COMPUTE_PGM_RSRC2:TRAP_HANDLER: 0
; COMPUTE_PGM_RSRC2:TGID_X_EN: 1
; COMPUTE_PGM_RSRC2:TGID_Y_EN: 0
; COMPUTE_PGM_RSRC2:TGID_Z_EN: 0
; COMPUTE_PGM_RSRC2:TIDIG_COMP_CNT: 1
	.section	.text._ZL18flash_attn_ext_f16ILi112ELi112ELi8ELi4ELb1ELb0EEvPKcS1_S1_S1_S1_PKiPfP15HIP_vector_typeIfLj2EEffffjfiS5_IjLj3EEiiiiiiiiiiiliiliiiiil,"axG",@progbits,_ZL18flash_attn_ext_f16ILi112ELi112ELi8ELi4ELb1ELb0EEvPKcS1_S1_S1_S1_PKiPfP15HIP_vector_typeIfLj2EEffffjfiS5_IjLj3EEiiiiiiiiiiiliiliiiiil,comdat
	.globl	_ZL18flash_attn_ext_f16ILi112ELi112ELi8ELi4ELb1ELb0EEvPKcS1_S1_S1_S1_PKiPfP15HIP_vector_typeIfLj2EEffffjfiS5_IjLj3EEiiiiiiiiiiiliiliiiiil ; -- Begin function _ZL18flash_attn_ext_f16ILi112ELi112ELi8ELi4ELb1ELb0EEvPKcS1_S1_S1_S1_PKiPfP15HIP_vector_typeIfLj2EEffffjfiS5_IjLj3EEiiiiiiiiiiiliiliiiiil
	.p2align	8
	.type	_ZL18flash_attn_ext_f16ILi112ELi112ELi8ELi4ELb1ELb0EEvPKcS1_S1_S1_S1_PKiPfP15HIP_vector_typeIfLj2EEffffjfiS5_IjLj3EEiiiiiiiiiiiliiliiiiil,@function
_ZL18flash_attn_ext_f16ILi112ELi112ELi8ELi4ELb1ELb0EEvPKcS1_S1_S1_S1_PKiPfP15HIP_vector_typeIfLj2EEffffjfiS5_IjLj3EEiiiiiiiiiiiliiliiiiil: ; @_ZL18flash_attn_ext_f16ILi112ELi112ELi8ELi4ELb1ELb0EEvPKcS1_S1_S1_S1_PKiPfP15HIP_vector_typeIfLj2EEffffjfiS5_IjLj3EEiiiiiiiiiiiliiliiiiil
; %bb.0:
	v_mov_b32_e32 v0, 0x6cc
	s_add_u32 s8, s0, 0xd0
	s_addc_u32 s9, s1, 0
	s_mov_b32 s32, 0
	s_getpc_b64 s[0:1]
	s_add_u32 s0, s0, _ZL14no_device_codePKciS0_iS0_@rel32@lo+4
	s_addc_u32 s1, s1, _ZL14no_device_codePKciS0_iS0_@rel32@hi+12
	s_delay_alu instid0(SALU_CYCLE_1)
	s_swappc_b64 s[30:31], s[0:1]
	.section	.rodata,"a",@progbits
	.p2align	6, 0x0
	.amdhsa_kernel _ZL18flash_attn_ext_f16ILi112ELi112ELi8ELi4ELb1ELb0EEvPKcS1_S1_S1_S1_PKiPfP15HIP_vector_typeIfLj2EEffffjfiS5_IjLj3EEiiiiiiiiiiiliiliiiiil
		.amdhsa_group_segment_fixed_size 0
		.amdhsa_private_segment_fixed_size 16
		.amdhsa_kernarg_size 464
		.amdhsa_user_sgpr_count 15
		.amdhsa_user_sgpr_dispatch_ptr 0
		.amdhsa_user_sgpr_queue_ptr 0
		.amdhsa_user_sgpr_kernarg_segment_ptr 1
		.amdhsa_user_sgpr_dispatch_id 0
		.amdhsa_user_sgpr_private_segment_size 0
		.amdhsa_wavefront_size32 1
		.amdhsa_uses_dynamic_stack 0
		.amdhsa_enable_private_segment 1
		.amdhsa_system_sgpr_workgroup_id_x 1
		.amdhsa_system_sgpr_workgroup_id_y 0
		.amdhsa_system_sgpr_workgroup_id_z 0
		.amdhsa_system_sgpr_workgroup_info 0
		.amdhsa_system_vgpr_workitem_id 0
		.amdhsa_next_free_vgpr 37
		.amdhsa_next_free_sgpr 34
		.amdhsa_reserve_vcc 1
		.amdhsa_float_round_mode_32 0
		.amdhsa_float_round_mode_16_64 0
		.amdhsa_float_denorm_mode_32 3
		.amdhsa_float_denorm_mode_16_64 3
		.amdhsa_dx10_clamp 1
		.amdhsa_ieee_mode 1
		.amdhsa_fp16_overflow 0
		.amdhsa_workgroup_processor_mode 1
		.amdhsa_memory_ordered 1
		.amdhsa_forward_progress 0
		.amdhsa_shared_vgpr_count 0
		.amdhsa_exception_fp_ieee_invalid_op 0
		.amdhsa_exception_fp_denorm_src 0
		.amdhsa_exception_fp_ieee_div_zero 0
		.amdhsa_exception_fp_ieee_overflow 0
		.amdhsa_exception_fp_ieee_underflow 0
		.amdhsa_exception_fp_ieee_inexact 0
		.amdhsa_exception_int_div_zero 0
	.end_amdhsa_kernel
	.section	.text._ZL18flash_attn_ext_f16ILi112ELi112ELi8ELi4ELb1ELb0EEvPKcS1_S1_S1_S1_PKiPfP15HIP_vector_typeIfLj2EEffffjfiS5_IjLj3EEiiiiiiiiiiiliiliiiiil,"axG",@progbits,_ZL18flash_attn_ext_f16ILi112ELi112ELi8ELi4ELb1ELb0EEvPKcS1_S1_S1_S1_PKiPfP15HIP_vector_typeIfLj2EEffffjfiS5_IjLj3EEiiiiiiiiiiiliiliiiiil,comdat
.Lfunc_end20:
	.size	_ZL18flash_attn_ext_f16ILi112ELi112ELi8ELi4ELb1ELb0EEvPKcS1_S1_S1_S1_PKiPfP15HIP_vector_typeIfLj2EEffffjfiS5_IjLj3EEiiiiiiiiiiiliiliiiiil, .Lfunc_end20-_ZL18flash_attn_ext_f16ILi112ELi112ELi8ELi4ELb1ELb0EEvPKcS1_S1_S1_S1_PKiPfP15HIP_vector_typeIfLj2EEffffjfiS5_IjLj3EEiiiiiiiiiiiliiliiiiil
                                        ; -- End function
	.section	.AMDGPU.csdata,"",@progbits
; Kernel info:
; codeLenInByte = 52
; NumSgprs: 36
; NumVgprs: 37
; ScratchSize: 16
; MemoryBound: 0
; FloatMode: 240
; IeeeMode: 1
; LDSByteSize: 0 bytes/workgroup (compile time only)
; SGPRBlocks: 4
; VGPRBlocks: 4
; NumSGPRsForWavesPerEU: 36
; NumVGPRsForWavesPerEU: 37
; Occupancy: 16
; WaveLimiterHint : 1
; COMPUTE_PGM_RSRC2:SCRATCH_EN: 1
; COMPUTE_PGM_RSRC2:USER_SGPR: 15
; COMPUTE_PGM_RSRC2:TRAP_HANDLER: 0
; COMPUTE_PGM_RSRC2:TGID_X_EN: 1
; COMPUTE_PGM_RSRC2:TGID_Y_EN: 0
; COMPUTE_PGM_RSRC2:TGID_Z_EN: 0
; COMPUTE_PGM_RSRC2:TIDIG_COMP_CNT: 0
	.section	.text._ZL33flash_attn_stream_k_fixup_uniformILi112ELi8ELi4EEvPfPK15HIP_vector_typeIfLj2EEiiiiiiS1_IjLj3EES5_S5_,"axG",@progbits,_ZL33flash_attn_stream_k_fixup_uniformILi112ELi8ELi4EEvPfPK15HIP_vector_typeIfLj2EEiiiiiiS1_IjLj3EES5_S5_,comdat
	.globl	_ZL33flash_attn_stream_k_fixup_uniformILi112ELi8ELi4EEvPfPK15HIP_vector_typeIfLj2EEiiiiiiS1_IjLj3EES5_S5_ ; -- Begin function _ZL33flash_attn_stream_k_fixup_uniformILi112ELi8ELi4EEvPfPK15HIP_vector_typeIfLj2EEiiiiiiS1_IjLj3EES5_S5_
	.p2align	8
	.type	_ZL33flash_attn_stream_k_fixup_uniformILi112ELi8ELi4EEvPfPK15HIP_vector_typeIfLj2EEiiiiiiS1_IjLj3EES5_S5_,@function
_ZL33flash_attn_stream_k_fixup_uniformILi112ELi8ELi4EEvPfPK15HIP_vector_typeIfLj2EEiiiiiiS1_IjLj3EES5_S5_: ; @_ZL33flash_attn_stream_k_fixup_uniformILi112ELi8ELi4EEvPfPK15HIP_vector_typeIfLj2EEiiiiiiS1_IjLj3EES5_S5_
; %bb.0:
	s_clause 0x1
	s_load_b256 s[4:11], s[0:1], 0x1c
	s_load_b128 s[16:19], s[0:1], 0x3c
	s_waitcnt lgkmcnt(0)
	s_mul_hi_u32 s2, s7, s13
	s_delay_alu instid0(SALU_CYCLE_1) | instskip(NEXT) | instid1(SALU_CYCLE_1)
	s_add_i32 s2, s13, s2
	s_lshr_b32 s2, s2, s8
	s_delay_alu instid0(SALU_CYCLE_1) | instskip(SKIP_2) | instid1(SALU_CYCLE_1)
	s_mul_i32 s3, s2, s9
	s_load_b64 s[8:9], s[0:1], 0x10
	s_sub_i32 s3, s13, s3
	s_mul_hi_u32 s7, s3, s10
	s_delay_alu instid0(SALU_CYCLE_1) | instskip(NEXT) | instid1(SALU_CYCLE_1)
	s_add_i32 s7, s3, s7
	s_lshr_b32 s7, s7, s11
	s_delay_alu instid0(SALU_CYCLE_1) | instskip(NEXT) | instid1(SALU_CYCLE_1)
	s_mul_i32 s10, s7, s16
	s_sub_i32 s3, s3, s10
	s_delay_alu instid0(SALU_CYCLE_1) | instskip(NEXT) | instid1(SALU_CYCLE_1)
	s_mul_hi_u32 s10, s3, s17
	s_add_i32 s10, s3, s10
	s_delay_alu instid0(SALU_CYCLE_1) | instskip(NEXT) | instid1(SALU_CYCLE_1)
	s_lshr_b32 s11, s10, s18
	s_mul_i32 s10, s11, s19
	s_lshl_b32 s11, s11, 2
	s_sub_i32 s10, s3, s10
	s_delay_alu instid0(SALU_CYCLE_1) | instskip(NEXT) | instid1(SALU_CYCLE_1)
	s_lshl_b32 s3, s10, 3
	s_add_i32 s3, s3, s14
	s_waitcnt lgkmcnt(0)
	s_cmp_lt_i32 s3, s8
	s_cselect_b32 s3, -1, 0
	s_add_i32 s11, s11, s15
	s_delay_alu instid0(SALU_CYCLE_1) | instskip(SKIP_1) | instid1(SALU_CYCLE_1)
	s_cmp_lt_i32 s11, s5
	s_cselect_b32 s12, -1, 0
	s_and_b32 s3, s3, s12
	s_delay_alu instid0(SALU_CYCLE_1)
	s_and_not1_b32 vcc_lo, exec_lo, s3
	s_cbranch_vccnz .LBB21_6
; %bb.1:
	s_mul_i32 s8, s2, s8
	s_mul_i32 s7, s7, s5
	s_add_i32 s8, s8, s14
	s_add_i32 s5, s11, s7
	s_mul_i32 s8, s8, s9
	s_load_b128 s[0:3], s[0:1], 0x0
	s_mul_i32 s7, s9, s10
	s_add_i32 s5, s5, s8
	s_mulk_i32 s7, 0x380
	s_mulk_i32 s5, 0x70
	s_lshl_b32 s9, s14, 2
	v_add3_u32 v1, s5, s7, v0
	s_mul_i32 s5, s13, s6
	s_delay_alu instid0(SALU_CYCLE_1) | instskip(NEXT) | instid1(VALU_DEP_1)
	s_add_i32 s10, s5, s6
	v_ashrrev_i32_e32 v2, 31, v1
	s_delay_alu instid0(VALU_DEP_1) | instskip(SKIP_1) | instid1(VALU_DEP_1)
	v_lshlrev_b64 v[1:2], 2, v[1:2]
	s_waitcnt lgkmcnt(0)
	v_add_co_u32 v1, vcc_lo, s0, v1
	s_delay_alu instid0(VALU_DEP_2) | instskip(SKIP_4) | instid1(SALU_CYCLE_1)
	v_add_co_ci_u32_e32 v2, vcc_lo, s1, v2, vcc_lo
	s_add_i32 s0, s9, s15
	s_lshl_b32 s1, s10, 5
	global_load_b32 v5, v[1:2], off
	s_add_i32 s0, s0, s1
	s_sub_i32 s0, s0, 32
	s_delay_alu instid0(SALU_CYCLE_1) | instskip(NEXT) | instid1(SALU_CYCLE_1)
	s_ashr_i32 s1, s0, 31
	s_lshl_b64 s[0:1], s[0:1], 3
	s_delay_alu instid0(SALU_CYCLE_1)
	s_add_u32 s0, s2, s0
	s_addc_u32 s1, s3, s1
	s_add_i32 s7, s10, -2
	s_load_b32 s11, s[0:1], 0x4
	s_cmp_lt_i32 s7, s5
	s_cbranch_scc1 .LBB21_4
; %bb.2:
	s_load_b32 s12, s[0:1], 0x0
	s_lshl_b32 s16, s4, 7
	s_mulk_i32 s14, 0x1c0
	s_ashr_i32 s17, s16, 31
	s_waitcnt lgkmcnt(0)
	v_mov_b32_e32 v6, s11
	s_lshl_b64 s[0:1], s[16:17], 2
	s_delay_alu instid0(SALU_CYCLE_1)
	s_add_u32 s7, s2, s0
	s_addc_u32 s8, s3, s1
	s_add_i32 s13, s13, 1
	s_lshl_b32 s4, s4, 5
	s_mul_i32 s0, s6, s13
	s_mul_i32 s6, s15, 0x70
	s_lshl_b32 s1, s0, 5
	s_mulk_i32 s0, 0xe00
	s_add_i32 s6, s6, s14
	s_add_i32 s1, s15, s1
	;; [unrolled: 1-line block ×4, first 2 shown]
	v_add3_u32 v3, s6, v0, 0xffffe400
	v_mov_b32_e32 v0, s12
	s_add_i32 s0, s0, s9
	s_add_i32 s4, s10, -1
	s_sub_i32 s0, s0, 64
.LBB21_3:                               ; =>This Inner Loop Header: Depth=1
	s_delay_alu instid0(VALU_DEP_2) | instskip(SKIP_1) | instid1(SALU_CYCLE_1)
	v_ashrrev_i32_e32 v4, 31, v3
	s_ashr_i32 s1, s0, 31
	s_lshl_b64 s[10:11], s[0:1], 3
	s_delay_alu instid0(SALU_CYCLE_1) | instskip(NEXT) | instid1(VALU_DEP_1)
	s_add_u32 s10, s2, s10
	v_lshlrev_b64 v[7:8], 2, v[3:4]
	s_addc_u32 s11, s3, s11
	s_add_i32 s4, s4, -1
	s_sub_i32 s0, s0, 32
	s_cmp_le_i32 s4, s5
	s_load_b64 s[10:11], s[10:11], 0x0
	v_add_co_u32 v7, vcc_lo, s7, v7
	v_add_co_ci_u32_e32 v8, vcc_lo, s8, v8, vcc_lo
	global_load_b32 v4, v[7:8], off
	v_max_f32_e32 v7, v0, v0
	s_waitcnt lgkmcnt(0)
	v_max_f32_e64 v8, s10, s10
	s_delay_alu instid0(VALU_DEP_1) | instskip(NEXT) | instid1(VALU_DEP_1)
	v_max_f32_e32 v7, v7, v8
	v_sub_f32_e32 v8, s10, v7
	s_delay_alu instid0(VALU_DEP_1) | instskip(NEXT) | instid1(VALU_DEP_1)
	v_dual_sub_f32 v0, v0, v7 :: v_dual_mul_f32 v9, 0x3fb8aa3b, v8
	v_fma_f32 v10, 0x3fb8aa3b, v8, -v9
	v_rndne_f32_e32 v11, v9
	s_delay_alu instid0(VALU_DEP_3) | instskip(NEXT) | instid1(VALU_DEP_2)
	v_mul_f32_e32 v12, 0x3fb8aa3b, v0
	v_dual_fmac_f32 v10, 0x32a5705f, v8 :: v_dual_sub_f32 v9, v9, v11
	v_cvt_i32_f32_e32 v11, v11
	s_delay_alu instid0(VALU_DEP_3) | instskip(SKIP_1) | instid1(VALU_DEP_4)
	v_fma_f32 v13, 0x3fb8aa3b, v0, -v12
	v_rndne_f32_e32 v14, v12
	v_add_f32_e32 v9, v9, v10
	v_cmp_ngt_f32_e32 vcc_lo, 0xc2ce8ed0, v8
	s_delay_alu instid0(VALU_DEP_3) | instskip(NEXT) | instid1(VALU_DEP_3)
	v_sub_f32_e32 v10, v12, v14
	v_exp_f32_e32 v9, v9
	s_waitcnt_depctr 0xfff
	v_ldexp_f32 v9, v9, v11
	v_cvt_i32_f32_e32 v11, v14
	s_delay_alu instid0(VALU_DEP_2) | instskip(SKIP_1) | instid1(VALU_DEP_2)
	v_cndmask_b32_e32 v9, 0, v9, vcc_lo
	v_cmp_nlt_f32_e32 vcc_lo, 0x42b17218, v8
	v_cndmask_b32_e32 v9, 0x7f800000, v9, vcc_lo
	v_cmp_ngt_f32_e32 vcc_lo, 0xc2ce8ed0, v0
	v_fmac_f32_e32 v13, 0x32a5705f, v0
	s_delay_alu instid0(VALU_DEP_1) | instskip(NEXT) | instid1(VALU_DEP_1)
	v_add_f32_e32 v10, v10, v13
	v_exp_f32_e32 v10, v10
	s_waitcnt_depctr 0xfff
	v_ldexp_f32 v10, v10, v11
	s_delay_alu instid0(VALU_DEP_1)
	v_dual_mov_b32 v11, v6 :: v_dual_cndmask_b32 v10, 0, v10
	v_cmp_le_f32_e32 vcc_lo, 0xc1a00000, v8
	s_waitcnt vmcnt(1)
	v_dual_cndmask_b32 v8, 0, v9 :: v_dual_mov_b32 v9, v5
	v_cmp_nlt_f32_e32 vcc_lo, 0x42b17218, v0
	v_cndmask_b32_e32 v5, 0x7f800000, v10, vcc_lo
	s_delay_alu instid0(VALU_DEP_3) | instskip(SKIP_2) | instid1(VALU_DEP_3)
	v_mul_f32_e32 v10, s11, v8
	v_cmp_le_f32_e32 vcc_lo, 0xc1a00000, v0
	v_mov_b32_e32 v0, v7
	v_mov_b32_e32 v6, v10
	s_waitcnt vmcnt(0)
	v_dual_cndmask_b32 v12, 0, v5 :: v_dual_mul_f32 v5, v4, v8
	s_delay_alu instid0(VALU_DEP_1) | instskip(NEXT) | instid1(VALU_DEP_2)
	v_dual_fmac_f32 v6, v11, v12 :: v_dual_add_nc_u32 v3, 0xfffff200, v3
	v_fmac_f32_e32 v5, v9, v12
	s_cbranch_scc0 .LBB21_3
	s_branch .LBB21_5
.LBB21_4:
	s_waitcnt lgkmcnt(0)
	v_mov_b32_e32 v6, s11
.LBB21_5:
	s_waitcnt vmcnt(0)
	s_delay_alu instid0(VALU_DEP_1) | instskip(NEXT) | instid1(VALU_DEP_1)
	v_div_scale_f32 v0, null, v6, v6, v5
	v_rcp_f32_e32 v3, v0
	s_waitcnt_depctr 0xfff
	v_fma_f32 v4, -v0, v3, 1.0
	s_delay_alu instid0(VALU_DEP_1) | instskip(SKIP_1) | instid1(VALU_DEP_1)
	v_fmac_f32_e32 v3, v4, v3
	v_div_scale_f32 v4, vcc_lo, v5, v6, v5
	v_mul_f32_e32 v7, v4, v3
	s_delay_alu instid0(VALU_DEP_1) | instskip(NEXT) | instid1(VALU_DEP_1)
	v_fma_f32 v8, -v0, v7, v4
	v_fmac_f32_e32 v7, v8, v3
	s_delay_alu instid0(VALU_DEP_1) | instskip(NEXT) | instid1(VALU_DEP_1)
	v_fma_f32 v0, -v0, v7, v4
	v_div_fmas_f32 v0, v0, v3, v7
	s_delay_alu instid0(VALU_DEP_1)
	v_div_fixup_f32 v0, v0, v6, v5
	global_store_b32 v[1:2], v0, off
.LBB21_6:
	s_nop 0
	s_sendmsg sendmsg(MSG_DEALLOC_VGPRS)
	s_endpgm
	.section	.rodata,"a",@progbits
	.p2align	6, 0x0
	.amdhsa_kernel _ZL33flash_attn_stream_k_fixup_uniformILi112ELi8ELi4EEvPfPK15HIP_vector_typeIfLj2EEiiiiiiS1_IjLj3EES5_S5_
		.amdhsa_group_segment_fixed_size 0
		.amdhsa_private_segment_fixed_size 0
		.amdhsa_kernarg_size 76
		.amdhsa_user_sgpr_count 13
		.amdhsa_user_sgpr_dispatch_ptr 0
		.amdhsa_user_sgpr_queue_ptr 0
		.amdhsa_user_sgpr_kernarg_segment_ptr 1
		.amdhsa_user_sgpr_dispatch_id 0
		.amdhsa_user_sgpr_private_segment_size 0
		.amdhsa_wavefront_size32 1
		.amdhsa_uses_dynamic_stack 0
		.amdhsa_enable_private_segment 0
		.amdhsa_system_sgpr_workgroup_id_x 1
		.amdhsa_system_sgpr_workgroup_id_y 1
		.amdhsa_system_sgpr_workgroup_id_z 1
		.amdhsa_system_sgpr_workgroup_info 0
		.amdhsa_system_vgpr_workitem_id 0
		.amdhsa_next_free_vgpr 15
		.amdhsa_next_free_sgpr 20
		.amdhsa_reserve_vcc 1
		.amdhsa_float_round_mode_32 0
		.amdhsa_float_round_mode_16_64 0
		.amdhsa_float_denorm_mode_32 3
		.amdhsa_float_denorm_mode_16_64 3
		.amdhsa_dx10_clamp 1
		.amdhsa_ieee_mode 1
		.amdhsa_fp16_overflow 0
		.amdhsa_workgroup_processor_mode 1
		.amdhsa_memory_ordered 1
		.amdhsa_forward_progress 0
		.amdhsa_shared_vgpr_count 0
		.amdhsa_exception_fp_ieee_invalid_op 0
		.amdhsa_exception_fp_denorm_src 0
		.amdhsa_exception_fp_ieee_div_zero 0
		.amdhsa_exception_fp_ieee_overflow 0
		.amdhsa_exception_fp_ieee_underflow 0
		.amdhsa_exception_fp_ieee_inexact 0
		.amdhsa_exception_int_div_zero 0
	.end_amdhsa_kernel
	.section	.text._ZL33flash_attn_stream_k_fixup_uniformILi112ELi8ELi4EEvPfPK15HIP_vector_typeIfLj2EEiiiiiiS1_IjLj3EES5_S5_,"axG",@progbits,_ZL33flash_attn_stream_k_fixup_uniformILi112ELi8ELi4EEvPfPK15HIP_vector_typeIfLj2EEiiiiiiS1_IjLj3EES5_S5_,comdat
.Lfunc_end21:
	.size	_ZL33flash_attn_stream_k_fixup_uniformILi112ELi8ELi4EEvPfPK15HIP_vector_typeIfLj2EEiiiiiiS1_IjLj3EES5_S5_, .Lfunc_end21-_ZL33flash_attn_stream_k_fixup_uniformILi112ELi8ELi4EEvPfPK15HIP_vector_typeIfLj2EEiiiiiiS1_IjLj3EES5_S5_
                                        ; -- End function
	.section	.AMDGPU.csdata,"",@progbits
; Kernel info:
; codeLenInByte = 992
; NumSgprs: 22
; NumVgprs: 15
; ScratchSize: 0
; MemoryBound: 0
; FloatMode: 240
; IeeeMode: 1
; LDSByteSize: 0 bytes/workgroup (compile time only)
; SGPRBlocks: 2
; VGPRBlocks: 1
; NumSGPRsForWavesPerEU: 22
; NumVGPRsForWavesPerEU: 15
; Occupancy: 16
; WaveLimiterHint : 0
; COMPUTE_PGM_RSRC2:SCRATCH_EN: 0
; COMPUTE_PGM_RSRC2:USER_SGPR: 13
; COMPUTE_PGM_RSRC2:TRAP_HANDLER: 0
; COMPUTE_PGM_RSRC2:TGID_X_EN: 1
; COMPUTE_PGM_RSRC2:TGID_Y_EN: 1
; COMPUTE_PGM_RSRC2:TGID_Z_EN: 1
; COMPUTE_PGM_RSRC2:TIDIG_COMP_CNT: 0
	.section	.text._ZL33flash_attn_stream_k_fixup_generalILi112ELi8ELi4EEvPfPK15HIP_vector_typeIfLj2EEiiiiS1_IjLj3EES5_S5_S5_,"axG",@progbits,_ZL33flash_attn_stream_k_fixup_generalILi112ELi8ELi4EEvPfPK15HIP_vector_typeIfLj2EEiiiiS1_IjLj3EES5_S5_S5_,comdat
	.globl	_ZL33flash_attn_stream_k_fixup_generalILi112ELi8ELi4EEvPfPK15HIP_vector_typeIfLj2EEiiiiS1_IjLj3EES5_S5_S5_ ; -- Begin function _ZL33flash_attn_stream_k_fixup_generalILi112ELi8ELi4EEvPfPK15HIP_vector_typeIfLj2EEiiiiS1_IjLj3EES5_S5_S5_
	.p2align	8
	.type	_ZL33flash_attn_stream_k_fixup_generalILi112ELi8ELi4EEvPfPK15HIP_vector_typeIfLj2EEiiiiS1_IjLj3EES5_S5_S5_,@function
_ZL33flash_attn_stream_k_fixup_generalILi112ELi8ELi4EEvPfPK15HIP_vector_typeIfLj2EEiiiiS1_IjLj3EES5_S5_S5_: ; @_ZL33flash_attn_stream_k_fixup_generalILi112ELi8ELi4EEvPfPK15HIP_vector_typeIfLj2EEiiiiS1_IjLj3EES5_S5_S5_
; %bb.0:
	s_clause 0x1
	s_load_b128 s[4:7], s[0:1], 0x10
	s_load_b32 s20, s[0:1], 0x50
	s_mov_b32 s2, 0
	s_waitcnt lgkmcnt(0)
	s_mul_hi_i32 s3, s7, s13
	s_mul_i32 s12, s7, s13
	s_cmp_lg_u64 s[2:3], 0
	s_cbranch_scc0 .LBB22_21
; %bb.1:
	v_cvt_f32_ubyte0_e32 v1, 0
	v_cvt_f32_u32_e32 v2, s20
	s_sub_u32 s10, 0, s20
	s_subb_u32 s11, 0, 0
	s_delay_alu instid0(VALU_DEP_1) | instskip(NEXT) | instid1(VALU_DEP_1)
	v_fmamk_f32 v1, v1, 0x4f800000, v2
	v_rcp_f32_e32 v1, v1
	s_waitcnt_depctr 0xfff
	v_mul_f32_e32 v1, 0x5f7ffffc, v1
	s_delay_alu instid0(VALU_DEP_1) | instskip(NEXT) | instid1(VALU_DEP_1)
	v_mul_f32_e32 v2, 0x2f800000, v1
	v_trunc_f32_e32 v2, v2
	s_delay_alu instid0(VALU_DEP_1) | instskip(SKIP_1) | instid1(VALU_DEP_2)
	v_fmamk_f32 v1, v2, 0xcf800000, v1
	v_cvt_u32_f32_e32 v2, v2
	v_cvt_u32_f32_e32 v1, v1
	s_delay_alu instid0(VALU_DEP_2) | instskip(NEXT) | instid1(VALU_DEP_2)
	v_readfirstlane_b32 s8, v2
	v_readfirstlane_b32 s9, v1
	s_delay_alu instid0(VALU_DEP_2) | instskip(NEXT) | instid1(VALU_DEP_1)
	s_mul_i32 s16, s10, s8
	s_mul_hi_u32 s18, s10, s9
	s_mul_i32 s17, s11, s9
	s_add_i32 s16, s18, s16
	s_mul_i32 s19, s10, s9
	s_add_i32 s16, s16, s17
	s_mul_hi_u32 s18, s9, s19
	s_mul_hi_u32 s21, s8, s19
	s_mul_i32 s17, s8, s19
	s_mul_hi_u32 s19, s9, s16
	s_mul_i32 s9, s9, s16
	s_mul_hi_u32 s22, s8, s16
	s_add_u32 s9, s18, s9
	s_addc_u32 s18, 0, s19
	s_add_u32 s9, s9, s17
	s_mul_i32 s16, s8, s16
	s_addc_u32 s9, s18, s21
	s_addc_u32 s17, s22, 0
	s_add_u32 s9, s9, s16
	s_addc_u32 s16, 0, s17
	v_add_co_u32 v1, s9, v1, s9
	s_delay_alu instid0(VALU_DEP_1) | instskip(SKIP_1) | instid1(VALU_DEP_1)
	s_cmp_lg_u32 s9, 0
	s_addc_u32 s8, s8, s16
	v_readfirstlane_b32 s9, v1
	s_mul_i32 s16, s10, s8
	s_delay_alu instid0(VALU_DEP_1)
	s_mul_hi_u32 s17, s10, s9
	s_mul_i32 s11, s11, s9
	s_add_i32 s16, s17, s16
	s_mul_i32 s10, s10, s9
	s_add_i32 s16, s16, s11
	s_mul_hi_u32 s17, s8, s10
	s_mul_i32 s18, s8, s10
	s_mul_hi_u32 s10, s9, s10
	s_mul_hi_u32 s19, s9, s16
	s_mul_i32 s9, s9, s16
	s_mul_hi_u32 s11, s8, s16
	s_add_u32 s9, s10, s9
	s_addc_u32 s10, 0, s19
	s_add_u32 s9, s9, s18
	s_mul_i32 s16, s8, s16
	s_addc_u32 s9, s10, s17
	s_addc_u32 s10, s11, 0
	s_add_u32 s9, s9, s16
	s_addc_u32 s10, 0, s10
	v_add_co_u32 v1, s9, v1, s9
	s_delay_alu instid0(VALU_DEP_1) | instskip(SKIP_2) | instid1(SALU_CYCLE_1)
	s_cmp_lg_u32 s9, 0
	s_addc_u32 s16, s8, s10
	s_ashr_i32 s8, s3, 31
	s_add_u32 s10, s12, s8
	s_addc_u32 s11, s3, s8
	v_readfirstlane_b32 s3, v1
	s_mov_b32 s9, s8
	s_delay_alu instid0(SALU_CYCLE_1) | instskip(NEXT) | instid1(SALU_CYCLE_1)
	s_xor_b64 s[10:11], s[10:11], s[8:9]
	s_mul_i32 s18, s10, s16
	s_delay_alu instid0(VALU_DEP_1)
	s_mul_hi_u32 s19, s10, s3
	s_mul_hi_u32 s17, s10, s16
	;; [unrolled: 1-line block ×3, first 2 shown]
	s_mul_i32 s3, s11, s3
	s_add_u32 s18, s19, s18
	s_addc_u32 s17, 0, s17
	s_mul_hi_u32 s21, s11, s16
	s_add_u32 s3, s18, s3
	s_mul_i32 s16, s11, s16
	s_addc_u32 s3, s17, s22
	s_addc_u32 s17, s21, 0
	s_add_u32 s3, s3, s16
	s_addc_u32 s16, 0, s17
	s_mul_i32 s18, s20, s3
	s_add_u32 s17, s3, 1
	v_sub_co_u32 v1, s10, s10, s18
	s_mul_hi_u32 s18, s20, s3
	s_addc_u32 s19, s16, 0
	s_mul_i32 s21, s20, s16
	s_delay_alu instid0(VALU_DEP_1)
	v_sub_co_u32 v2, s22, v1, s20
	s_add_u32 s23, s3, 2
	s_addc_u32 s24, s16, 0
	s_add_i32 s18, s18, s21
	s_cmp_lg_u32 s10, 0
	v_readfirstlane_b32 s10, v2
	s_subb_u32 s11, s11, s18
	s_cmp_lg_u32 s22, 0
	s_subb_u32 s18, s11, 0
	s_delay_alu instid0(VALU_DEP_1) | instskip(SKIP_4) | instid1(SALU_CYCLE_1)
	s_cmp_ge_u32 s10, s20
	s_cselect_b32 s10, -1, 0
	s_cmp_eq_u32 s18, 0
	v_readfirstlane_b32 s18, v1
	s_cselect_b32 s10, s10, -1
	s_cmp_lg_u32 s10, 0
	s_cselect_b32 s10, s23, s17
	s_cselect_b32 s17, s24, s19
	s_cmp_ge_u32 s18, s20
	s_cselect_b32 s18, -1, 0
	s_cmp_eq_u32 s11, 0
	s_cselect_b32 s11, s18, -1
	s_delay_alu instid0(SALU_CYCLE_1) | instskip(SKIP_2) | instid1(SALU_CYCLE_1)
	s_cmp_lg_u32 s11, 0
	s_cselect_b32 s11, s17, s16
	s_cselect_b32 s10, s10, s3
	s_xor_b64 s[10:11], s[10:11], s[8:9]
	s_delay_alu instid0(SALU_CYCLE_1)
	s_sub_u32 s16, s10, s8
	s_load_b128 s[8:11], s[0:1], 0x44
	s_and_not1_b32 vcc_lo, exec_lo, s2
	s_cbranch_vccnz .LBB22_3
.LBB22_2:
	v_cvt_f32_u32_e32 v1, s20
	s_sub_i32 s3, 0, s20
	s_delay_alu instid0(VALU_DEP_1) | instskip(SKIP_2) | instid1(VALU_DEP_1)
	v_rcp_iflag_f32_e32 v1, v1
	s_waitcnt_depctr 0xfff
	v_mul_f32_e32 v1, 0x4f7ffffe, v1
	v_cvt_u32_f32_e32 v1, v1
	s_delay_alu instid0(VALU_DEP_1) | instskip(NEXT) | instid1(VALU_DEP_1)
	v_readfirstlane_b32 s2, v1
	s_mul_i32 s3, s3, s2
	s_delay_alu instid0(SALU_CYCLE_1) | instskip(NEXT) | instid1(SALU_CYCLE_1)
	s_mul_hi_u32 s3, s2, s3
	s_add_i32 s2, s2, s3
	s_delay_alu instid0(SALU_CYCLE_1) | instskip(NEXT) | instid1(SALU_CYCLE_1)
	s_mul_hi_u32 s2, s12, s2
	s_mul_i32 s3, s2, s20
	s_waitcnt lgkmcnt(0)
	s_add_i32 s11, s2, 1
	s_sub_i32 s3, s12, s3
	s_delay_alu instid0(SALU_CYCLE_1)
	s_sub_i32 s12, s3, s20
	s_cmp_ge_u32 s3, s20
	s_cselect_b32 s2, s11, s2
	s_cselect_b32 s3, s12, s3
	s_add_i32 s11, s2, 1
	s_cmp_ge_u32 s3, s20
	s_cselect_b32 s16, s11, s2
.LBB22_3:
	s_waitcnt lgkmcnt(0)
	s_add_i32 s11, s13, 1
	s_mov_b32 s2, 0
	s_mul_hi_i32 s3, s7, s11
	s_mul_i32 s11, s7, s11
	s_cmp_lg_u64 s[2:3], 0
	s_cbranch_scc0 .LBB22_22
; %bb.4:
	v_cvt_f32_ubyte0_e32 v1, 0
	v_cvt_f32_u32_e32 v2, s20
	s_sub_u32 s18, 0, s20
	s_subb_u32 s19, 0, 0
	s_delay_alu instid0(VALU_DEP_1) | instskip(NEXT) | instid1(VALU_DEP_1)
	v_fmamk_f32 v1, v1, 0x4f800000, v2
	v_rcp_f32_e32 v1, v1
	s_waitcnt_depctr 0xfff
	v_mul_f32_e32 v1, 0x5f7ffffc, v1
	s_delay_alu instid0(VALU_DEP_1) | instskip(NEXT) | instid1(VALU_DEP_1)
	v_mul_f32_e32 v2, 0x2f800000, v1
	v_trunc_f32_e32 v2, v2
	s_delay_alu instid0(VALU_DEP_1) | instskip(SKIP_1) | instid1(VALU_DEP_2)
	v_fmamk_f32 v1, v2, 0xcf800000, v1
	v_cvt_u32_f32_e32 v2, v2
	v_cvt_u32_f32_e32 v1, v1
	s_delay_alu instid0(VALU_DEP_2) | instskip(NEXT) | instid1(VALU_DEP_2)
	v_readfirstlane_b32 s12, v2
	v_readfirstlane_b32 s17, v1
	s_delay_alu instid0(VALU_DEP_2) | instskip(NEXT) | instid1(VALU_DEP_1)
	s_mul_i32 s21, s18, s12
	s_mul_hi_u32 s23, s18, s17
	s_mul_i32 s22, s19, s17
	s_add_i32 s21, s23, s21
	s_mul_i32 s24, s18, s17
	s_add_i32 s21, s21, s22
	s_mul_hi_u32 s23, s17, s24
	s_mul_hi_u32 s25, s12, s24
	s_mul_i32 s22, s12, s24
	s_mul_hi_u32 s24, s17, s21
	s_mul_i32 s17, s17, s21
	s_mul_hi_u32 s26, s12, s21
	s_add_u32 s17, s23, s17
	s_addc_u32 s23, 0, s24
	s_add_u32 s17, s17, s22
	s_mul_i32 s21, s12, s21
	s_addc_u32 s17, s23, s25
	s_addc_u32 s22, s26, 0
	s_add_u32 s17, s17, s21
	s_addc_u32 s21, 0, s22
	v_add_co_u32 v1, s17, v1, s17
	s_delay_alu instid0(VALU_DEP_1) | instskip(SKIP_1) | instid1(VALU_DEP_1)
	s_cmp_lg_u32 s17, 0
	s_addc_u32 s12, s12, s21
	v_readfirstlane_b32 s17, v1
	s_mul_i32 s21, s18, s12
	s_delay_alu instid0(VALU_DEP_1)
	s_mul_hi_u32 s22, s18, s17
	s_mul_i32 s19, s19, s17
	s_add_i32 s21, s22, s21
	s_mul_i32 s18, s18, s17
	s_add_i32 s21, s21, s19
	s_mul_hi_u32 s22, s12, s18
	s_mul_i32 s23, s12, s18
	s_mul_hi_u32 s18, s17, s18
	s_mul_hi_u32 s24, s17, s21
	s_mul_i32 s17, s17, s21
	s_mul_hi_u32 s19, s12, s21
	s_add_u32 s17, s18, s17
	s_addc_u32 s18, 0, s24
	s_add_u32 s17, s17, s23
	s_mul_i32 s21, s12, s21
	s_addc_u32 s17, s18, s22
	s_addc_u32 s18, s19, 0
	s_add_u32 s17, s17, s21
	s_addc_u32 s18, 0, s18
	v_add_co_u32 v1, s17, v1, s17
	s_delay_alu instid0(VALU_DEP_1) | instskip(SKIP_2) | instid1(SALU_CYCLE_1)
	s_cmp_lg_u32 s17, 0
	s_addc_u32 s12, s12, s18
	s_ashr_i32 s18, s3, 31
	s_add_u32 s22, s11, s18
	s_addc_u32 s23, s3, s18
	v_readfirstlane_b32 s3, v1
	s_mov_b32 s19, s18
	s_delay_alu instid0(SALU_CYCLE_1) | instskip(NEXT) | instid1(SALU_CYCLE_1)
	s_xor_b64 s[22:23], s[22:23], s[18:19]
	s_mul_i32 s21, s22, s12
	s_delay_alu instid0(VALU_DEP_1)
	s_mul_hi_u32 s24, s22, s3
	s_mul_hi_u32 s17, s22, s12
	s_mul_hi_u32 s26, s23, s3
	s_mul_i32 s3, s23, s3
	s_add_u32 s21, s24, s21
	s_addc_u32 s17, 0, s17
	s_mul_hi_u32 s25, s23, s12
	s_add_u32 s3, s21, s3
	s_mul_i32 s12, s23, s12
	s_addc_u32 s3, s17, s26
	s_addc_u32 s17, s25, 0
	s_add_u32 s3, s3, s12
	s_addc_u32 s12, 0, s17
	s_mul_i32 s21, s20, s3
	s_add_u32 s17, s3, 1
	v_sub_co_u32 v1, s21, s22, s21
	s_mul_hi_u32 s22, s20, s3
	s_addc_u32 s24, s12, 0
	s_mul_i32 s25, s20, s12
	s_delay_alu instid0(VALU_DEP_1)
	v_sub_co_u32 v2, s26, v1, s20
	s_add_u32 s27, s3, 2
	s_addc_u32 s28, s12, 0
	s_add_i32 s22, s22, s25
	s_cmp_lg_u32 s21, 0
	v_readfirstlane_b32 s21, v2
	s_subb_u32 s22, s23, s22
	s_cmp_lg_u32 s26, 0
	s_subb_u32 s23, s22, 0
	s_delay_alu instid0(VALU_DEP_1) | instskip(SKIP_4) | instid1(SALU_CYCLE_1)
	s_cmp_ge_u32 s21, s20
	s_cselect_b32 s21, -1, 0
	s_cmp_eq_u32 s23, 0
	v_readfirstlane_b32 s23, v1
	s_cselect_b32 s21, s21, -1
	s_cmp_lg_u32 s21, 0
	s_cselect_b32 s17, s27, s17
	s_cselect_b32 s21, s28, s24
	s_cmp_ge_u32 s23, s20
	s_cselect_b32 s23, -1, 0
	s_cmp_eq_u32 s22, 0
	s_cselect_b32 s22, s23, -1
	s_delay_alu instid0(SALU_CYCLE_1) | instskip(SKIP_2) | instid1(SALU_CYCLE_1)
	s_cmp_lg_u32 s22, 0
	s_cselect_b32 s23, s21, s12
	s_cselect_b32 s22, s17, s3
	s_xor_b64 s[22:23], s[22:23], s[18:19]
	s_delay_alu instid0(SALU_CYCLE_1)
	s_sub_u32 s18, s22, s18
	s_and_not1_b32 vcc_lo, exec_lo, s2
	s_cbranch_vccnz .LBB22_6
.LBB22_5:
	v_cvt_f32_u32_e32 v1, s20
	s_sub_i32 s3, 0, s20
	s_delay_alu instid0(VALU_DEP_1) | instskip(SKIP_2) | instid1(VALU_DEP_1)
	v_rcp_iflag_f32_e32 v1, v1
	s_waitcnt_depctr 0xfff
	v_mul_f32_e32 v1, 0x4f7ffffe, v1
	v_cvt_u32_f32_e32 v1, v1
	s_delay_alu instid0(VALU_DEP_1) | instskip(NEXT) | instid1(VALU_DEP_1)
	v_readfirstlane_b32 s2, v1
	s_mul_i32 s3, s3, s2
	s_delay_alu instid0(SALU_CYCLE_1) | instskip(NEXT) | instid1(SALU_CYCLE_1)
	s_mul_hi_u32 s3, s2, s3
	s_add_i32 s2, s2, s3
	s_delay_alu instid0(SALU_CYCLE_1) | instskip(NEXT) | instid1(SALU_CYCLE_1)
	s_mul_hi_u32 s2, s11, s2
	s_mul_i32 s3, s2, s20
	s_delay_alu instid0(SALU_CYCLE_1)
	s_sub_i32 s3, s11, s3
	s_add_i32 s11, s2, 1
	s_sub_i32 s12, s3, s20
	s_cmp_ge_u32 s3, s20
	s_cselect_b32 s2, s11, s2
	s_cselect_b32 s3, s12, s3
	s_add_i32 s11, s2, 1
	s_cmp_ge_u32 s3, s20
	s_cselect_b32 s18, s11, s2
.LBB22_6:
	s_delay_alu instid0(SALU_CYCLE_1) | instskip(SKIP_3) | instid1(SALU_CYCLE_1)
	s_cmp_eq_u32 s16, s18
	s_mul_hi_u32 s2, s16, s8
	s_cselect_b32 s3, -1, 0
	s_add_i32 s2, s2, s16
	s_lshr_b32 s11, s2, s9
	s_delay_alu instid0(SALU_CYCLE_1) | instskip(NEXT) | instid1(SALU_CYCLE_1)
	s_mul_i32 s2, s11, s10
	s_cmp_eq_u32 s2, s16
	s_mul_hi_u32 s2, s18, s8
	s_cselect_b32 s12, -1, 0
	s_add_i32 s2, s2, s18
	s_delay_alu instid0(SALU_CYCLE_1) | instskip(NEXT) | instid1(SALU_CYCLE_1)
	s_lshr_b32 s2, s2, s9
	s_cmp_eq_u32 s11, s2
	s_mul_i32 s2, s2, s10
	s_cselect_b32 s17, -1, 0
	s_cmp_lg_u32 s2, s18
	s_cselect_b32 s2, -1, 0
	s_or_b32 s3, s3, s12
	s_and_b32 s2, s17, s2
	s_delay_alu instid0(SALU_CYCLE_1) | instskip(NEXT) | instid1(SALU_CYCLE_1)
	s_or_b32 s2, s3, s2
	s_and_b32 vcc_lo, exec_lo, s2
	s_cbranch_vccnz .LBB22_24
; %bb.7:
	s_load_b256 s[24:31], s[0:1], 0x20
	s_waitcnt lgkmcnt(0)
	s_mul_hi_u32 s2, s16, s24
	s_delay_alu instid0(SALU_CYCLE_1) | instskip(NEXT) | instid1(SALU_CYCLE_1)
	s_add_i32 s2, s2, s16
	s_lshr_b32 s17, s2, s25
	s_load_b32 s2, s[0:1], 0x40
	s_mul_i32 s3, s17, s26
	s_delay_alu instid0(SALU_CYCLE_1) | instskip(NEXT) | instid1(SALU_CYCLE_1)
	s_sub_i32 s3, s16, s3
	s_mul_hi_u32 s12, s3, s27
	s_delay_alu instid0(SALU_CYCLE_1) | instskip(NEXT) | instid1(SALU_CYCLE_1)
	s_add_i32 s12, s3, s12
	s_lshr_b32 s19, s12, s28
	s_delay_alu instid0(SALU_CYCLE_1) | instskip(NEXT) | instid1(SALU_CYCLE_1)
	s_mul_i32 s12, s19, s29
	s_sub_i32 s3, s3, s12
	s_delay_alu instid0(SALU_CYCLE_1) | instskip(NEXT) | instid1(SALU_CYCLE_1)
	s_mul_hi_u32 s12, s3, s30
	s_add_i32 s12, s3, s12
	s_delay_alu instid0(SALU_CYCLE_1)
	s_lshr_b32 s12, s12, s31
	s_waitcnt lgkmcnt(0)
	s_mul_i32 s2, s12, s2
	s_lshl_b32 s21, s12, 2
	s_sub_i32 s2, s3, s2
	s_mov_b32 s12, 0
	s_mul_hi_u32 s3, s2, s8
	s_delay_alu instid0(SALU_CYCLE_1) | instskip(NEXT) | instid1(SALU_CYCLE_1)
	s_add_i32 s2, s2, s3
	s_lshr_b32 s18, s2, s9
	s_delay_alu instid0(SALU_CYCLE_1) | instskip(NEXT) | instid1(SALU_CYCLE_1)
	s_lshl_b32 s2, s18, 3
	s_add_i32 s2, s2, s14
	s_delay_alu instid0(SALU_CYCLE_1) | instskip(SKIP_2) | instid1(SALU_CYCLE_1)
	s_cmp_lt_i32 s2, s4
	s_cselect_b32 s2, -1, 0
	s_add_i32 s21, s21, s15
	s_cmp_lt_i32 s21, s6
	s_cselect_b32 s3, -1, 0
	s_delay_alu instid0(SALU_CYCLE_1) | instskip(NEXT) | instid1(SALU_CYCLE_1)
	s_and_b32 s2, s2, s3
	s_and_not1_b32 vcc_lo, exec_lo, s2
	s_cbranch_vccnz .LBB22_24
; %bb.8:
	s_load_b128 s[0:3], s[0:1], 0x0
	s_lshl_b32 s22, s20, 7
	s_mov_b32 s23, s12
	s_lshl_b32 s24, s14, 2
	s_lshl_b64 s[22:23], s[22:23], 2
	s_mul_i32 s19, s19, s6
	s_mul_i32 s4, s17, s4
	s_add_i32 s6, s24, s15
	v_cvt_f32_ubyte0_e32 v3, 0
	v_cvt_f32_u32_e32 v4, s20
	s_waitcnt lgkmcnt(0)
	s_add_u32 s15, s2, s22
	s_addc_u32 s17, s3, s23
	s_add_i32 s4, s4, s14
	s_add_i32 s14, s21, s19
	s_mul_i32 s4, s4, s5
	s_mul_i32 s5, s5, s18
	s_add_i32 s4, s14, s4
	s_mulk_i32 s5, 0x380
	s_mulk_i32 s4, 0x70
	s_delay_alu instid0(SALU_CYCLE_1) | instskip(NEXT) | instid1(VALU_DEP_1)
	v_add3_u32 v1, s5, s4, v0
	v_ashrrev_i32_e32 v2, 31, v1
	s_delay_alu instid0(VALU_DEP_1) | instskip(NEXT) | instid1(VALU_DEP_1)
	v_lshlrev_b64 v[1:2], 2, v[1:2]
	v_add_co_u32 v1, vcc_lo, s0, v1
	s_delay_alu instid0(VALU_DEP_2) | instskip(SKIP_1) | instid1(SALU_CYCLE_1)
	v_add_co_ci_u32_e32 v2, vcc_lo, s1, v2, vcc_lo
	s_lshl_b32 s0, s13, 5
	s_add_i32 s0, s6, s0
	global_load_b32 v5, v[1:2], off
	s_ashr_i32 s1, s0, 31
	s_delay_alu instid0(SALU_CYCLE_1) | instskip(NEXT) | instid1(SALU_CYCLE_1)
	s_lshl_b64 s[0:1], s[0:1], 3
	s_add_u32 s0, s2, s0
	s_addc_u32 s1, s3, s1
	s_add_i32 s18, s13, -1
	s_load_b64 s[0:1], s[0:1], 0x0
	v_fmac_f32_e32 v4, 0x4f800000, v3
	s_sub_i32 s14, 0, s20
	s_delay_alu instid0(VALU_DEP_1)
	v_rcp_f32_e32 v3, v4
	s_waitcnt_depctr 0xfff
	v_mul_f32_e32 v6, 0x5f7ffffc, v3
	v_cvt_f32_u32_e32 v3, s20
	s_waitcnt lgkmcnt(0)
	v_mov_b32_e32 v8, s0
	s_delay_alu instid0(VALU_DEP_3) | instskip(NEXT) | instid1(VALU_DEP_3)
	v_mul_f32_e32 v4, 0x2f800000, v6
	v_rcp_iflag_f32_e32 v7, v3
	s_delay_alu instid0(VALU_DEP_1) | instskip(SKIP_1) | instid1(VALU_DEP_2)
	v_trunc_f32_e32 v9, v4
	v_mad_u64_u32 v[3:4], null, 0x70, s6, v[0:1]
	v_fmac_f32_e32 v6, 0xcf800000, v9
	s_waitcnt_depctr 0xfff
	v_dual_mul_f32 v10, 0x4f7ffffe, v7 :: v_dual_mov_b32 v7, s1
	v_cvt_u32_f32_e32 v4, v9
	v_cvt_u32_f32_e32 v0, v6
	s_delay_alu instid0(VALU_DEP_3)
	v_cvt_u32_f32_e32 v6, v10
.LBB22_9:                               ; =>This Inner Loop Header: Depth=1
	s_mul_hi_i32 s13, s18, s7
	s_mul_i32 s4, s18, s7
	s_cmp_lg_u64 s[12:13], 0
	s_mov_b32 s5, -1
                                        ; implicit-def: $sgpr0_sgpr1
	s_cbranch_scc0 .LBB22_11
; %bb.10:                               ;   in Loop: Header=BB22_9 Depth=1
	v_readfirstlane_b32 s0, v0
	v_readfirstlane_b32 s1, v4
	s_sub_u32 s5, 0, s20
	s_subb_u32 s19, 0, 0
	s_delay_alu instid0(VALU_DEP_2) | instskip(NEXT) | instid1(VALU_DEP_1)
	s_mul_hi_u32 s21, s5, s0
	s_mul_i32 s22, s5, s1
	s_mul_i32 s23, s19, s0
	s_add_i32 s21, s21, s22
	s_mul_i32 s22, s5, s0
	s_add_i32 s21, s21, s23
	s_mul_hi_u32 s23, s0, s22
	s_mul_i32 s24, s0, s21
	s_mul_hi_u32 s0, s0, s21
	s_add_u32 s23, s23, s24
	s_mul_i32 s25, s1, s22
	s_addc_u32 s0, 0, s0
	s_mul_hi_u32 s22, s1, s22
	s_mul_hi_u32 s24, s1, s21
	s_add_u32 s23, s23, s25
	s_addc_u32 s0, s0, s22
	s_mul_i32 s21, s1, s21
	s_addc_u32 s22, s24, 0
	s_add_u32 s0, s0, s21
	s_addc_u32 s21, 0, s22
	v_add_co_u32 v9, s0, v0, s0
	s_delay_alu instid0(VALU_DEP_1) | instskip(SKIP_1) | instid1(VALU_DEP_1)
	s_cmp_lg_u32 s0, 0
	s_addc_u32 s1, s1, s21
	v_readfirstlane_b32 s0, v9
	s_mul_i32 s21, s5, s1
	s_delay_alu instid0(VALU_DEP_1)
	s_mul_hi_u32 s22, s5, s0
	s_mul_i32 s19, s19, s0
	s_add_i32 s21, s22, s21
	s_mul_i32 s5, s5, s0
	s_add_i32 s21, s21, s19
	s_mul_hi_u32 s19, s1, s5
	s_mul_i32 s23, s1, s5
	s_mul_i32 s24, s0, s21
	s_mul_hi_u32 s5, s0, s5
	s_mul_hi_u32 s0, s0, s21
	s_add_u32 s5, s5, s24
	s_addc_u32 s0, 0, s0
	s_mul_hi_u32 s22, s1, s21
	s_add_u32 s5, s5, s23
	s_addc_u32 s0, s0, s19
	s_mul_i32 s5, s1, s21
	s_addc_u32 s19, s22, 0
	s_add_u32 s0, s0, s5
	s_addc_u32 s5, 0, s19
	v_add_co_u32 v9, s0, v9, s0
	s_delay_alu instid0(VALU_DEP_1) | instskip(SKIP_2) | instid1(SALU_CYCLE_1)
	s_cmp_lg_u32 s0, 0
	s_addc_u32 s5, s1, s5
	s_ashr_i32 s0, s13, 31
	s_add_u32 s22, s4, s0
	s_addc_u32 s23, s13, s0
	v_readfirstlane_b32 s13, v9
	s_mov_b32 s1, s0
	s_delay_alu instid0(SALU_CYCLE_1) | instskip(NEXT) | instid1(SALU_CYCLE_1)
	s_xor_b64 s[22:23], s[22:23], s[0:1]
	s_mul_i32 s19, s22, s5
	s_delay_alu instid0(VALU_DEP_1)
	s_mul_hi_u32 s21, s22, s13
	s_mul_hi_u32 s24, s22, s5
	s_add_u32 s19, s21, s19
	s_mul_i32 s25, s23, s13
	s_addc_u32 s21, 0, s24
	s_mul_hi_u32 s13, s23, s13
	s_mul_hi_u32 s24, s23, s5
	s_add_u32 s19, s19, s25
	s_addc_u32 s13, s21, s13
	s_mul_i32 s5, s23, s5
	s_addc_u32 s19, s24, 0
	s_add_u32 s5, s13, s5
	s_addc_u32 s13, 0, s19
	s_mul_i32 s21, s20, s5
	s_add_u32 s19, s5, 1
	v_sub_co_u32 v9, s21, s22, s21
	s_addc_u32 s22, s13, 0
	s_mul_i32 s25, s20, s13
	s_mul_hi_u32 s27, s20, s5
	s_delay_alu instid0(VALU_DEP_1)
	v_sub_co_u32 v10, s26, v9, s20
	s_add_u32 s24, s5, 2
	s_addc_u32 s28, s13, 0
	s_add_i32 s27, s27, s25
	s_cmp_lg_u32 s21, 0
	v_readfirstlane_b32 s21, v10
	s_subb_u32 s23, s23, s27
	s_cmp_lg_u32 s26, 0
	s_subb_u32 s25, s23, 0
	s_delay_alu instid0(VALU_DEP_1) | instskip(SKIP_4) | instid1(SALU_CYCLE_1)
	s_cmp_ge_u32 s21, s20
	s_cselect_b32 s21, -1, 0
	s_cmp_eq_u32 s25, 0
	v_readfirstlane_b32 s25, v9
	s_cselect_b32 s21, s21, -1
	s_cmp_lg_u32 s21, 0
	s_cselect_b32 s19, s24, s19
	s_cselect_b32 s21, s28, s22
	s_cmp_ge_u32 s25, s20
	s_cselect_b32 s22, -1, 0
	s_cmp_eq_u32 s23, 0
	s_cselect_b32 s22, s22, -1
	s_delay_alu instid0(SALU_CYCLE_1) | instskip(SKIP_4) | instid1(SALU_CYCLE_1)
	s_cmp_lg_u32 s22, 0
	s_cselect_b32 s23, s21, s13
	s_cselect_b32 s22, s19, s5
	s_mov_b32 s5, 0
	s_xor_b64 s[22:23], s[22:23], s[0:1]
	s_sub_u32 s0, s22, s0
.LBB22_11:                              ;   in Loop: Header=BB22_9 Depth=1
	s_and_not1_b32 vcc_lo, exec_lo, s5
	s_cbranch_vccnz .LBB22_13
; %bb.12:                               ;   in Loop: Header=BB22_9 Depth=1
	v_readfirstlane_b32 s0, v6
	s_delay_alu instid0(VALU_DEP_1) | instskip(NEXT) | instid1(SALU_CYCLE_1)
	s_mul_i32 s1, s14, s0
	s_mul_hi_u32 s1, s0, s1
	s_delay_alu instid0(SALU_CYCLE_1) | instskip(NEXT) | instid1(SALU_CYCLE_1)
	s_add_i32 s0, s0, s1
	s_mul_hi_u32 s0, s4, s0
	s_delay_alu instid0(SALU_CYCLE_1) | instskip(NEXT) | instid1(SALU_CYCLE_1)
	s_mul_i32 s1, s0, s20
	s_sub_i32 s1, s4, s1
	s_add_i32 s4, s0, 1
	s_sub_i32 s5, s1, s20
	s_cmp_ge_u32 s1, s20
	s_cselect_b32 s0, s4, s0
	s_cselect_b32 s1, s5, s1
	s_add_i32 s4, s0, 1
	s_cmp_ge_u32 s1, s20
	s_cselect_b32 s0, s4, s0
.LBB22_13:                              ;   in Loop: Header=BB22_9 Depth=1
	s_delay_alu instid0(SALU_CYCLE_1)
	s_cmp_lg_u32 s16, s0
	s_cbranch_scc0 .LBB22_17
; %bb.14:                               ;   in Loop: Header=BB22_9 Depth=1
	s_add_i32 s1, s18, s20
	s_mov_b32 s5, s12
	s_lshl_b32 s1, s1, 5
	s_mov_b32 s19, s16
	s_add_i32 s4, s1, s6
	s_mul_hi_u32 s1, s0, s8
	s_lshl_b64 s[4:5], s[4:5], 3
	s_delay_alu instid0(SALU_CYCLE_1) | instskip(SKIP_2) | instid1(SALU_CYCLE_1)
	s_add_u32 s4, s2, s4
	s_addc_u32 s5, s3, s5
	s_add_i32 s1, s1, s0
	s_lshr_b32 s1, s1, s9
	s_delay_alu instid0(SALU_CYCLE_1) | instskip(NEXT) | instid1(SALU_CYCLE_1)
	s_mul_i32 s13, s1, s10
	s_cmp_eq_u32 s13, s0
	s_cselect_b32 s13, -1, 0
	s_cmp_lt_u32 s1, s11
	s_cselect_b32 s1, -1, 0
	s_delay_alu instid0(SALU_CYCLE_1)
	s_or_b32 s1, s1, s13
	s_mov_b32 s13, -1
	s_and_b32 vcc_lo, exec_lo, s1
	s_mov_b32 s1, s18
	s_cbranch_vccnz .LBB22_16
; %bb.15:                               ;   in Loop: Header=BB22_9 Depth=1
	s_add_i32 s1, s18, -1
	s_mov_b32 s13, 0
	s_mov_b32 s19, s0
.LBB22_16:                              ;   in Loop: Header=BB22_9 Depth=1
	v_mad_u64_u32 v[9:10], null, 0xe00, s18, v[3:4]
	s_load_b64 s[4:5], s[4:5], 0x0
	s_delay_alu instid0(VALU_DEP_1) | instskip(NEXT) | instid1(VALU_DEP_1)
	v_ashrrev_i32_e32 v10, 31, v9
	v_lshlrev_b64 v[9:10], 2, v[9:10]
	s_delay_alu instid0(VALU_DEP_1) | instskip(NEXT) | instid1(VALU_DEP_2)
	v_add_co_u32 v9, vcc_lo, s15, v9
	v_add_co_ci_u32_e32 v10, vcc_lo, s17, v10, vcc_lo
	s_waitcnt lgkmcnt(0)
	v_max_f32_e64 v11, s4, s4
	global_load_b32 v10, v[9:10], off
	v_max_f32_e32 v9, v8, v8
	s_delay_alu instid0(VALU_DEP_1) | instskip(NEXT) | instid1(VALU_DEP_1)
	v_max_f32_e32 v9, v9, v11
	v_sub_f32_e32 v12, v8, v9
	s_delay_alu instid0(VALU_DEP_1) | instskip(NEXT) | instid1(VALU_DEP_1)
	v_dual_mul_f32 v14, 0x3fb8aa3b, v12 :: v_dual_sub_f32 v11, s4, v9
	v_rndne_f32_e32 v18, v14
	s_delay_alu instid0(VALU_DEP_2) | instskip(SKIP_2) | instid1(VALU_DEP_4)
	v_mul_f32_e32 v13, 0x3fb8aa3b, v11
	v_fma_f32 v17, 0x3fb8aa3b, v12, -v14
	v_cmp_ngt_f32_e32 vcc_lo, 0xc2ce8ed0, v11
	v_sub_f32_e32 v14, v14, v18
	s_delay_alu instid0(VALU_DEP_4) | instskip(SKIP_2) | instid1(VALU_DEP_3)
	v_fma_f32 v15, 0x3fb8aa3b, v11, -v13
	v_rndne_f32_e32 v16, v13
	v_fmac_f32_e32 v17, 0x32a5705f, v12
	v_fmac_f32_e32 v15, 0x32a5705f, v11
	s_delay_alu instid0(VALU_DEP_2) | instskip(NEXT) | instid1(VALU_DEP_1)
	v_dual_sub_f32 v13, v13, v16 :: v_dual_add_f32 v14, v14, v17
	v_add_f32_e32 v13, v13, v15
	s_delay_alu instid0(VALU_DEP_2) | instskip(SKIP_2) | instid1(VALU_DEP_3)
	v_exp_f32_e32 v14, v14
	v_cvt_i32_f32_e32 v15, v16
	v_cvt_i32_f32_e32 v16, v18
	v_exp_f32_e32 v13, v13
	s_waitcnt_depctr 0xfff
	v_ldexp_f32 v14, v14, v16
	v_ldexp_f32 v13, v13, v15
	s_delay_alu instid0(VALU_DEP_1) | instskip(SKIP_1) | instid1(VALU_DEP_4)
	v_cndmask_b32_e32 v13, 0, v13, vcc_lo
	v_cmp_ngt_f32_e32 vcc_lo, 0xc2ce8ed0, v12
	v_cndmask_b32_e32 v14, 0, v14, vcc_lo
	v_cmp_nlt_f32_e32 vcc_lo, 0x42b17218, v11
	s_delay_alu instid0(VALU_DEP_4) | instskip(SKIP_1) | instid1(VALU_DEP_4)
	v_cndmask_b32_e32 v13, 0x7f800000, v13, vcc_lo
	v_cmp_nlt_f32_e32 vcc_lo, 0x42b17218, v12
	v_cndmask_b32_e32 v14, 0x7f800000, v14, vcc_lo
	v_cmp_le_f32_e32 vcc_lo, 0xc1a00000, v11
	s_delay_alu instid0(VALU_DEP_4) | instskip(SKIP_1) | instid1(VALU_DEP_4)
	v_cndmask_b32_e32 v11, 0, v13, vcc_lo
	v_cmp_le_f32_e32 vcc_lo, 0xc1a00000, v12
	v_cndmask_b32_e32 v12, 0, v14, vcc_lo
	s_waitcnt vmcnt(0)
	s_delay_alu instid0(VALU_DEP_3) | instskip(NEXT) | instid1(VALU_DEP_1)
	v_mul_f32_e32 v10, v10, v11
	v_dual_mul_f32 v11, s5, v11 :: v_dual_fmac_f32 v10, v5, v12
	s_delay_alu instid0(VALU_DEP_1)
	v_fmac_f32_e32 v11, v7, v12
	s_cbranch_execz .LBB22_18
	s_branch .LBB22_19
.LBB22_17:                              ;   in Loop: Header=BB22_9 Depth=1
                                        ; implicit-def: $sgpr13
                                        ; implicit-def: $vgpr10
                                        ; implicit-def: $vgpr9
                                        ; implicit-def: $vgpr11
                                        ; implicit-def: $sgpr1
                                        ; implicit-def: $sgpr19
.LBB22_18:                              ;   in Loop: Header=BB22_9 Depth=1
	s_waitcnt vmcnt(0)
	v_dual_mov_b32 v11, v7 :: v_dual_mov_b32 v10, v5
	v_mov_b32_e32 v9, v8
	s_add_i32 s1, s18, -1
	s_mov_b32 s13, 0
	s_mov_b32 s19, s16
.LBB22_19:                              ;   in Loop: Header=BB22_9 Depth=1
	s_and_not1_b32 vcc_lo, exec_lo, s13
	s_cbranch_vccz .LBB22_23
; %bb.20:                               ;   in Loop: Header=BB22_9 Depth=1
	v_dual_mov_b32 v7, v11 :: v_dual_mov_b32 v8, v9
	s_waitcnt vmcnt(0)
	v_mov_b32_e32 v5, v10
	s_mov_b32 s16, s19
	s_mov_b32 s18, s1
	s_branch .LBB22_9
.LBB22_21:
                                        ; implicit-def: $sgpr16_sgpr17
	s_load_b128 s[8:11], s[0:1], 0x44
	s_branch .LBB22_2
.LBB22_22:
                                        ; implicit-def: $sgpr18_sgpr19
	s_branch .LBB22_5
.LBB22_23:
	v_div_scale_f32 v0, null, v11, v11, v10
	s_delay_alu instid0(VALU_DEP_1) | instskip(SKIP_2) | instid1(VALU_DEP_1)
	v_rcp_f32_e32 v3, v0
	s_waitcnt_depctr 0xfff
	v_fma_f32 v4, -v0, v3, 1.0
	v_fmac_f32_e32 v3, v4, v3
	v_div_scale_f32 v4, vcc_lo, v10, v11, v10
	s_waitcnt vmcnt(0)
	s_delay_alu instid0(VALU_DEP_1) | instskip(NEXT) | instid1(VALU_DEP_1)
	v_mul_f32_e32 v5, v4, v3
	v_fma_f32 v6, -v0, v5, v4
	s_delay_alu instid0(VALU_DEP_1) | instskip(NEXT) | instid1(VALU_DEP_1)
	v_fmac_f32_e32 v5, v6, v3
	v_fma_f32 v0, -v0, v5, v4
	s_delay_alu instid0(VALU_DEP_1) | instskip(NEXT) | instid1(VALU_DEP_1)
	v_div_fmas_f32 v0, v0, v3, v5
	v_div_fixup_f32 v0, v0, v11, v10
	global_store_b32 v[1:2], v0, off
.LBB22_24:
	s_nop 0
	s_sendmsg sendmsg(MSG_DEALLOC_VGPRS)
	s_endpgm
	.section	.rodata,"a",@progbits
	.p2align	6, 0x0
	.amdhsa_kernel _ZL33flash_attn_stream_k_fixup_generalILi112ELi8ELi4EEvPfPK15HIP_vector_typeIfLj2EEiiiiS1_IjLj3EES5_S5_S5_
		.amdhsa_group_segment_fixed_size 0
		.amdhsa_private_segment_fixed_size 0
		.amdhsa_kernarg_size 336
		.amdhsa_user_sgpr_count 13
		.amdhsa_user_sgpr_dispatch_ptr 0
		.amdhsa_user_sgpr_queue_ptr 0
		.amdhsa_user_sgpr_kernarg_segment_ptr 1
		.amdhsa_user_sgpr_dispatch_id 0
		.amdhsa_user_sgpr_private_segment_size 0
		.amdhsa_wavefront_size32 1
		.amdhsa_uses_dynamic_stack 0
		.amdhsa_enable_private_segment 0
		.amdhsa_system_sgpr_workgroup_id_x 1
		.amdhsa_system_sgpr_workgroup_id_y 1
		.amdhsa_system_sgpr_workgroup_id_z 1
		.amdhsa_system_sgpr_workgroup_info 0
		.amdhsa_system_vgpr_workitem_id 0
		.amdhsa_next_free_vgpr 19
		.amdhsa_next_free_sgpr 32
		.amdhsa_reserve_vcc 1
		.amdhsa_float_round_mode_32 0
		.amdhsa_float_round_mode_16_64 0
		.amdhsa_float_denorm_mode_32 3
		.amdhsa_float_denorm_mode_16_64 3
		.amdhsa_dx10_clamp 1
		.amdhsa_ieee_mode 1
		.amdhsa_fp16_overflow 0
		.amdhsa_workgroup_processor_mode 1
		.amdhsa_memory_ordered 1
		.amdhsa_forward_progress 0
		.amdhsa_shared_vgpr_count 0
		.amdhsa_exception_fp_ieee_invalid_op 0
		.amdhsa_exception_fp_denorm_src 0
		.amdhsa_exception_fp_ieee_div_zero 0
		.amdhsa_exception_fp_ieee_overflow 0
		.amdhsa_exception_fp_ieee_underflow 0
		.amdhsa_exception_fp_ieee_inexact 0
		.amdhsa_exception_int_div_zero 0
	.end_amdhsa_kernel
	.section	.text._ZL33flash_attn_stream_k_fixup_generalILi112ELi8ELi4EEvPfPK15HIP_vector_typeIfLj2EEiiiiS1_IjLj3EES5_S5_S5_,"axG",@progbits,_ZL33flash_attn_stream_k_fixup_generalILi112ELi8ELi4EEvPfPK15HIP_vector_typeIfLj2EEiiiiS1_IjLj3EES5_S5_S5_,comdat
.Lfunc_end22:
	.size	_ZL33flash_attn_stream_k_fixup_generalILi112ELi8ELi4EEvPfPK15HIP_vector_typeIfLj2EEiiiiS1_IjLj3EES5_S5_S5_, .Lfunc_end22-_ZL33flash_attn_stream_k_fixup_generalILi112ELi8ELi4EEvPfPK15HIP_vector_typeIfLj2EEiiiiS1_IjLj3EES5_S5_S5_
                                        ; -- End function
	.section	.AMDGPU.csdata,"",@progbits
; Kernel info:
; codeLenInByte = 3224
; NumSgprs: 34
; NumVgprs: 19
; ScratchSize: 0
; MemoryBound: 0
; FloatMode: 240
; IeeeMode: 1
; LDSByteSize: 0 bytes/workgroup (compile time only)
; SGPRBlocks: 4
; VGPRBlocks: 2
; NumSGPRsForWavesPerEU: 34
; NumVGPRsForWavesPerEU: 19
; Occupancy: 16
; WaveLimiterHint : 0
; COMPUTE_PGM_RSRC2:SCRATCH_EN: 0
; COMPUTE_PGM_RSRC2:USER_SGPR: 13
; COMPUTE_PGM_RSRC2:TRAP_HANDLER: 0
; COMPUTE_PGM_RSRC2:TGID_X_EN: 1
; COMPUTE_PGM_RSRC2:TGID_Y_EN: 1
; COMPUTE_PGM_RSRC2:TGID_Z_EN: 1
; COMPUTE_PGM_RSRC2:TIDIG_COMP_CNT: 0
	.section	.text._ZL26flash_attn_combine_resultsILi112EEvPKfPK15HIP_vector_typeIfLj2EEPfi,"axG",@progbits,_ZL26flash_attn_combine_resultsILi112EEvPKfPK15HIP_vector_typeIfLj2EEPfi,comdat
	.globl	_ZL26flash_attn_combine_resultsILi112EEvPKfPK15HIP_vector_typeIfLj2EEPfi ; -- Begin function _ZL26flash_attn_combine_resultsILi112EEvPKfPK15HIP_vector_typeIfLj2EEPfi
	.p2align	8
	.type	_ZL26flash_attn_combine_resultsILi112EEvPKfPK15HIP_vector_typeIfLj2EEPfi,@function
_ZL26flash_attn_combine_resultsILi112EEvPKfPK15HIP_vector_typeIfLj2EEPfi: ; @_ZL26flash_attn_combine_resultsILi112EEvPKfPK15HIP_vector_typeIfLj2EEPfi
; %bb.0:
	s_clause 0x3
	s_load_b64 s[2:3], s[0:1], 0x20
	s_load_b32 s12, s[0:1], 0x18
	s_load_b128 s[8:11], s[0:1], 0x0
	s_load_b64 s[16:17], s[0:1], 0x10
	v_lshlrev_b32_e32 v7, 2, v0
	s_mov_b32 s4, exec_lo
	s_waitcnt lgkmcnt(0)
	s_mul_i32 s0, s2, s15
	s_lshl_b32 s1, s12, 1
	s_add_i32 s0, s0, s13
	s_delay_alu instid0(SALU_CYCLE_1) | instskip(NEXT) | instid1(SALU_CYCLE_1)
	s_mul_i32 s7, s0, s3
	s_add_i32 s7, s7, s14
	s_delay_alu instid0(SALU_CYCLE_1)
	s_mul_i32 s2, s7, s12
	v_cmpx_gt_i32_e64 s1, v0
	s_cbranch_execz .LBB23_3
; %bb.1:
	s_ashr_i32 s3, s2, 31
	v_dual_mov_b32 v4, v0 :: v_dual_add_nc_u32 v3, 0, v7
	s_lshl_b64 s[14:15], s[2:3], 3
	s_delay_alu instid0(SALU_CYCLE_1) | instskip(SKIP_2) | instid1(VALU_DEP_1)
	s_add_u32 s0, s10, s14
	s_addc_u32 s3, s11, s15
	v_add_co_u32 v1, s0, s0, v7
	v_add_co_ci_u32_e64 v2, null, s3, 0, s0
	s_mov_b32 s3, 0
	.p2align	6
.LBB23_2:                               ; =>This Inner Loop Header: Depth=1
	global_load_b32 v5, v[1:2], off
	v_add_nc_u32_e32 v4, 0x70, v4
	v_add_co_u32 v1, vcc_lo, 0x1c0, v1
	v_add_co_ci_u32_e32 v2, vcc_lo, 0, v2, vcc_lo
	s_delay_alu instid0(VALU_DEP_3) | instskip(NEXT) | instid1(VALU_DEP_1)
	v_cmp_le_i32_e64 s0, s1, v4
	s_or_b32 s3, s0, s3
	s_waitcnt vmcnt(0)
	ds_store_b32 v3, v5
	v_add_nc_u32_e32 v3, 0x1c0, v3
	s_and_not1_b32 exec_lo, exec_lo, s3
	s_cbranch_execnz .LBB23_2
.LBB23_3:
	s_or_b32 exec_lo, exec_lo, s4
	v_mov_b32_e32 v1, 0
	s_waitcnt lgkmcnt(0)
	s_barrier
	buffer_gl0_inv
	s_cmp_lt_i32 s12, 2
	ds_load_b32 v8, v1
	s_cbranch_scc1 .LBB23_11
; %bb.4:
	s_add_i32 s1, s12, -2
	s_add_i32 s0, s12, -1
	s_cmp_lt_u32 s1, 7
	s_cbranch_scc1 .LBB23_8
; %bb.5:
	s_mov_b32 s3, 0
	s_add_i32 s1, 0, 8
	s_and_b32 s4, s0, -8
	.p2align	6
.LBB23_6:                               ; =>This Inner Loop Header: Depth=1
	v_mov_b32_e32 v9, s1
	s_mov_b32 s5, s3
	s_add_i32 s3, s3, 8
	s_add_i32 s1, s1, 64
	s_cmp_eq_u32 s4, s3
	ds_load_2addr_b32 v[1:2], v9 offset1:2
	ds_load_2addr_b32 v[3:4], v9 offset0:4 offset1:6
	ds_load_2addr_b32 v[5:6], v9 offset0:8 offset1:10
	;; [unrolled: 1-line block ×3, first 2 shown]
	s_waitcnt lgkmcnt(3)
	v_max3_f32 v1, v8, v1, v2
	s_waitcnt lgkmcnt(2)
	s_delay_alu instid0(VALU_DEP_1) | instskip(SKIP_1) | instid1(VALU_DEP_1)
	v_max3_f32 v1, v1, v3, v4
	s_waitcnt lgkmcnt(1)
	v_max3_f32 v1, v1, v5, v6
	s_waitcnt lgkmcnt(0)
	s_delay_alu instid0(VALU_DEP_1)
	v_max3_f32 v8, v1, v9, v10
	s_cbranch_scc0 .LBB23_6
; %bb.7:
	s_add_i32 s1, s5, 9
	s_and_b32 s0, s0, 7
	s_delay_alu instid0(SALU_CYCLE_1)
	s_cmp_eq_u32 s0, 0
	s_cbranch_scc0 .LBB23_9
	s_branch .LBB23_11
.LBB23_8:
	s_mov_b32 s1, 1
	s_and_b32 s0, s0, 7
	s_delay_alu instid0(SALU_CYCLE_1)
	s_cmp_eq_u32 s0, 0
	s_cbranch_scc1 .LBB23_11
.LBB23_9:
	s_lshl_b32 s1, s1, 3
	s_delay_alu instid0(SALU_CYCLE_1)
	s_add_i32 s1, s1, 0
.LBB23_10:                              ; =>This Inner Loop Header: Depth=1
	s_waitcnt lgkmcnt(0)
	s_delay_alu instid0(VALU_DEP_1)
	v_dual_mov_b32 v1, s1 :: v_dual_max_f32 v2, v8, v8
	s_add_i32 s0, s0, -1
	s_add_i32 s1, s1, 8
	s_cmp_lg_u32 s0, 0
	ds_load_b32 v1, v1
	s_waitcnt lgkmcnt(0)
	v_max_f32_e32 v1, v1, v1
	s_delay_alu instid0(VALU_DEP_1)
	v_max_f32_e32 v8, v2, v1
	s_cbranch_scc1 .LBB23_10
.LBB23_11:
	s_cmp_lt_i32 s12, 1
	s_cbranch_scc1 .LBB23_16
; %bb.12:
	s_mul_i32 s10, s2, 0x70
	v_mov_b32_e32 v9, 0
	s_ashr_i32 s11, s10, 31
	s_cmp_lt_u32 s12, 8
	s_mov_b32 s14, 0
	s_cbranch_scc1 .LBB23_17
; %bb.13:
	s_lshl_b64 s[0:1], s[10:11], 2
	v_dual_mov_b32 v6, 0 :: v_dual_add_nc_u32 v3, 0x1c0, v0
	s_add_u32 s15, s8, s0
	s_addc_u32 s18, s9, s1
	v_add_co_u32 v1, s0, s15, v7
	s_delay_alu instid0(VALU_DEP_1) | instskip(SKIP_1) | instid1(VALU_DEP_3)
	v_add_co_ci_u32_e64 v2, null, s18, 0, s0
	v_dual_mov_b32 v10, 0 :: v_dual_mov_b32 v9, 0
	v_add_co_u32 v1, vcc_lo, 0x1c0, v1
	s_delay_alu instid0(VALU_DEP_3)
	v_add_co_ci_u32_e32 v2, vcc_lo, 0, v2, vcc_lo
	s_and_b32 s13, s12, 0x7ffffff8
	s_mov_b32 s19, 0
.LBB23_14:                              ; =>This Inner Loop Header: Depth=1
	v_dual_mov_b32 v4, v6 :: v_dual_add_nc_u32 v5, 0xfffffe40, v3
	s_clause 0x1
	global_load_b32 v27, v[1:2], off
	global_load_b32 v28, v[1:2], off offset:448
	s_add_i32 s19, s19, 8
	v_lshlrev_b64 v[11:12], 2, v[5:6]
	v_lshlrev_b64 v[13:14], 2, v[3:4]
	v_add_nc_u32_e32 v5, 0xffffff90, v3
	s_delay_alu instid0(VALU_DEP_3) | instskip(NEXT) | instid1(VALU_DEP_4)
	v_add_co_u32 v11, vcc_lo, s15, v11
	v_add_co_ci_u32_e32 v12, vcc_lo, s18, v12, vcc_lo
	s_delay_alu instid0(VALU_DEP_3)
	v_lshlrev_b64 v[15:16], 2, v[5:6]
	v_add_co_u32 v13, vcc_lo, s15, v13
	global_load_b32 v29, v[11:12], off
	v_add_nc_u32_e32 v5, 0x70, v3
	v_add_co_ci_u32_e32 v14, vcc_lo, s18, v14, vcc_lo
	v_add_co_u32 v15, vcc_lo, s15, v15
	v_add_co_ci_u32_e32 v16, vcc_lo, s18, v16, vcc_lo
	global_load_b32 v31, v[13:14], off
	v_lshlrev_b64 v[11:12], 2, v[5:6]
	v_add_nc_u32_e32 v5, 0xe0, v3
	global_load_b32 v30, v[15:16], off
	v_lshlrev_b64 v[17:18], 2, v[5:6]
	v_add_nc_u32_e32 v5, 0x150, v3
	v_add_co_u32 v11, vcc_lo, s15, v11
	v_add_co_ci_u32_e32 v12, vcc_lo, s18, v12, vcc_lo
	s_delay_alu instid0(VALU_DEP_3)
	v_lshlrev_b64 v[4:5], 2, v[5:6]
	v_add_nc_u32_e32 v3, 0x380, v3
	global_load_b32 v32, v[11:12], off
	v_add_co_u32 v11, vcc_lo, s15, v17
	v_add_co_ci_u32_e32 v12, vcc_lo, s18, v18, vcc_lo
	v_add_co_u32 v4, vcc_lo, s15, v4
	v_add_co_ci_u32_e32 v5, vcc_lo, s18, v5, vcc_lo
	s_clause 0x1
	global_load_b32 v33, v[11:12], off
	global_load_b32 v4, v[4:5], off
	v_mov_b32_e32 v5, s14
	ds_load_2addr_b64 v[11:14], v5 offset1:1
	ds_load_2addr_b64 v[15:18], v5 offset0:2 offset1:3
	ds_load_2addr_b64 v[19:22], v5 offset0:4 offset1:5
	ds_load_2addr_b64 v[23:26], v5 offset0:6 offset1:7
	s_add_i32 s14, s14, 64
	s_cmp_eq_u32 s13, s19
	s_waitcnt lgkmcnt(3)
	v_sub_f32_e32 v5, v11, v8
	v_sub_f32_e32 v11, v13, v8
	s_waitcnt lgkmcnt(2)
	v_sub_f32_e32 v13, v15, v8
	v_sub_f32_e32 v15, v17, v8
	;; [unrolled: 3-line block ×3, first 2 shown]
	s_waitcnt lgkmcnt(0)
	s_delay_alu instid0(VALU_DEP_1) | instskip(SKIP_2) | instid1(VALU_DEP_3)
	v_dual_sub_f32 v21, v23, v8 :: v_dual_mul_f32 v38, 0x3fb8aa3b, v19
	v_mul_f32_e32 v34, 0x3fb8aa3b, v11
	v_cmp_ngt_f32_e32 vcc_lo, 0xc2ce8ed0, v11
	v_fma_f32 v51, 0x3fb8aa3b, v19, -v38
	s_delay_alu instid0(VALU_DEP_3) | instskip(SKIP_2) | instid1(VALU_DEP_4)
	v_fma_f32 v43, 0x3fb8aa3b, v11, -v34
	v_rndne_f32_e32 v44, v34
	v_rndne_f32_e32 v52, v38
	v_fmac_f32_e32 v51, 0x32a5705f, v19
	s_delay_alu instid0(VALU_DEP_3) | instskip(SKIP_1) | instid1(VALU_DEP_4)
	v_dual_fmac_f32 v43, 0x32a5705f, v11 :: v_dual_sub_f32 v34, v34, v44
	v_cvt_i32_f32_e32 v44, v44
	v_sub_f32_e32 v38, v38, v52
	v_cvt_i32_f32_e32 v52, v52
	s_delay_alu instid0(VALU_DEP_4)
	v_add_f32_e32 v34, v34, v43
	v_mul_f32_e32 v36, 0x3fb8aa3b, v15
	v_cmp_ngt_f32_e64 s6, 0xc2ce8ed0, v5
	v_cmp_ngt_f32_e64 s1, 0xc2ce8ed0, v15
	v_add_f32_e32 v38, v38, v51
	v_exp_f32_e32 v34, v34
	v_fma_f32 v47, 0x3fb8aa3b, v15, -v36
	v_rndne_f32_e32 v48, v36
	v_cmp_ngt_f32_e64 s3, 0xc2ce8ed0, v19
	v_exp_f32_e32 v38, v38
	s_delay_alu instid0(VALU_DEP_2) | instskip(SKIP_1) | instid1(TRANS32_DEP_2)
	v_dual_fmac_f32 v47, 0x32a5705f, v15 :: v_dual_sub_f32 v36, v36, v48
	v_cvt_i32_f32_e32 v48, v48
	v_ldexp_f32 v34, v34, v44
	v_sub_f32_e32 v23, v25, v8
	s_delay_alu instid0(VALU_DEP_4) | instskip(SKIP_1) | instid1(VALU_DEP_4)
	v_dual_mul_f32 v25, 0x3fb8aa3b, v5 :: v_dual_add_f32 v36, v36, v47
	v_cmp_ngt_f32_e64 s2, 0xc2ce8ed0, v17
	v_cndmask_b32_e32 v34, 0, v34, vcc_lo
	v_cmp_nlt_f32_e32 vcc_lo, 0x42b17218, v5
	s_delay_alu instid0(VALU_DEP_4)
	v_fma_f32 v41, 0x3fb8aa3b, v5, -v25
	v_rndne_f32_e32 v42, v25
	v_mul_f32_e32 v40, 0x3fb8aa3b, v23
	v_exp_f32_e32 v36, v36
	v_cmp_ngt_f32_e64 s0, 0xc2ce8ed0, v13
	v_fmac_f32_e32 v41, 0x32a5705f, v5
	v_sub_f32_e32 v25, v25, v42
	v_cvt_i32_f32_e32 v42, v42
	v_fma_f32 v55, 0x3fb8aa3b, v23, -v40
	v_rndne_f32_e32 v56, v40
	v_ldexp_f32 v38, v38, v52
	v_add_f32_e32 v25, v25, v41
	v_cmp_ngt_f32_e64 s5, 0xc2ce8ed0, v23
	v_ldexp_f32 v36, v36, v48
	v_dual_fmac_f32 v55, 0x32a5705f, v23 :: v_dual_sub_f32 v40, v40, v56
	s_delay_alu instid0(VALU_DEP_4) | instskip(SKIP_1) | instid1(VALU_DEP_3)
	v_exp_f32_e32 v25, v25
	v_cvt_i32_f32_e32 v56, v56
	v_cndmask_b32_e64 v36, 0, v36, s1
	v_cndmask_b32_e64 v38, 0, v38, s3
	v_add_f32_e32 v40, v40, v55
	v_cmp_ngt_f32_e64 s4, 0xc2ce8ed0, v21
	s_delay_alu instid0(VALU_DEP_2) | instskip(NEXT) | instid1(TRANS32_DEP_2)
	v_exp_f32_e32 v40, v40
	v_ldexp_f32 v25, v25, v42
	s_delay_alu instid0(VALU_DEP_1) | instskip(SKIP_4) | instid1(VALU_DEP_3)
	v_cndmask_b32_e64 v25, 0, v25, s6
	s_waitcnt_depctr 0xfff
	v_ldexp_f32 v40, v40, v56
	v_cndmask_b32_e32 v5, 0x7f800000, v25, vcc_lo
	v_cmp_nlt_f32_e32 vcc_lo, 0x42b17218, v11
	v_cndmask_b32_e64 v40, 0, v40, s5
	s_delay_alu instid0(VALU_DEP_3) | instskip(SKIP_2) | instid1(VALU_DEP_3)
	v_dual_fmac_f32 v10, v5, v12 :: v_dual_cndmask_b32 v11, 0x7f800000, v34
	v_mul_f32_e32 v35, 0x3fb8aa3b, v13
	v_cmp_nlt_f32_e32 vcc_lo, 0x42b17218, v13
	v_fmac_f32_e32 v10, v11, v14
	s_delay_alu instid0(VALU_DEP_3) | instskip(SKIP_1) | instid1(VALU_DEP_2)
	v_fma_f32 v45, 0x3fb8aa3b, v13, -v35
	v_rndne_f32_e32 v46, v35
	v_fmac_f32_e32 v45, 0x32a5705f, v13
	s_delay_alu instid0(VALU_DEP_2) | instskip(SKIP_1) | instid1(VALU_DEP_2)
	v_sub_f32_e32 v35, v35, v46
	v_cvt_i32_f32_e32 v46, v46
	v_add_f32_e32 v35, v35, v45
	s_delay_alu instid0(VALU_DEP_1) | instskip(SKIP_2) | instid1(VALU_DEP_1)
	v_exp_f32_e32 v35, v35
	s_waitcnt_depctr 0xfff
	v_ldexp_f32 v35, v35, v46
	v_cndmask_b32_e64 v35, 0, v35, s0
	v_cmp_nlt_f32_e64 s0, 0x42b17218, v23
	s_waitcnt vmcnt(5)
	v_fmac_f32_e32 v9, v29, v5
	s_delay_alu instid0(VALU_DEP_3) | instskip(SKIP_2) | instid1(VALU_DEP_3)
	v_cndmask_b32_e32 v5, 0x7f800000, v35, vcc_lo
	v_mul_f32_e32 v37, 0x3fb8aa3b, v17
	v_cmp_nlt_f32_e32 vcc_lo, 0x42b17218, v15
	v_dual_fmac_f32 v9, v27, v11 :: v_dual_fmac_f32 v10, v5, v16
	s_delay_alu instid0(VALU_DEP_3)
	v_fma_f32 v49, 0x3fb8aa3b, v17, -v37
	v_rndne_f32_e32 v50, v37
	v_cndmask_b32_e32 v11, 0x7f800000, v36, vcc_lo
	v_mul_f32_e32 v39, 0x3fb8aa3b, v21
	v_fmac_f32_e32 v9, v28, v5
	v_fmac_f32_e32 v49, 0x32a5705f, v17
	v_sub_f32_e32 v37, v37, v50
	v_fmac_f32_e32 v10, v11, v18
	v_fma_f32 v53, 0x3fb8aa3b, v21, -v39
	v_rndne_f32_e32 v54, v39
	v_cvt_i32_f32_e32 v50, v50
	v_add_f32_e32 v37, v37, v49
	v_cmp_nlt_f32_e32 vcc_lo, 0x42b17218, v17
	v_fmac_f32_e32 v53, 0x32a5705f, v21
	v_sub_f32_e32 v39, v39, v54
	v_cvt_i32_f32_e32 v54, v54
	v_exp_f32_e32 v37, v37
	s_waitcnt vmcnt(3)
	v_fmac_f32_e32 v9, v30, v11
	v_add_f32_e32 v39, v39, v53
	s_delay_alu instid0(VALU_DEP_1) | instskip(SKIP_2) | instid1(VALU_DEP_1)
	v_exp_f32_e32 v39, v39
	s_waitcnt_depctr 0xfff
	v_ldexp_f32 v37, v37, v50
	v_cndmask_b32_e64 v37, 0, v37, s2
	v_ldexp_f32 v39, v39, v54
	s_delay_alu instid0(VALU_DEP_2) | instskip(SKIP_1) | instid1(VALU_DEP_3)
	v_cndmask_b32_e32 v5, 0x7f800000, v37, vcc_lo
	v_cmp_nlt_f32_e32 vcc_lo, 0x42b17218, v19
	v_cndmask_b32_e64 v39, 0, v39, s4
	s_delay_alu instid0(VALU_DEP_3) | instskip(SKIP_3) | instid1(VALU_DEP_2)
	v_dual_fmac_f32 v10, v5, v20 :: v_dual_cndmask_b32 v11, 0x7f800000, v38
	v_fmac_f32_e32 v9, v31, v5
	v_cmp_nlt_f32_e32 vcc_lo, 0x42b17218, v21
	s_waitcnt vmcnt(2)
	v_dual_fmac_f32 v10, v11, v22 :: v_dual_fmac_f32 v9, v32, v11
	v_cndmask_b32_e32 v5, 0x7f800000, v39, vcc_lo
	v_cndmask_b32_e64 v11, 0x7f800000, v40, s0
	v_add_co_u32 v1, vcc_lo, 0xe00, v1
	v_add_co_ci_u32_e32 v2, vcc_lo, 0, v2, vcc_lo
	s_delay_alu instid0(VALU_DEP_4) | instskip(SKIP_1) | instid1(VALU_DEP_1)
	v_fmac_f32_e32 v10, v5, v24
	s_waitcnt vmcnt(1)
	v_dual_fmac_f32 v9, v33, v5 :: v_dual_fmac_f32 v10, v11, v26
	s_waitcnt vmcnt(0)
	s_delay_alu instid0(VALU_DEP_1)
	v_fmac_f32_e32 v9, v4, v11
	s_cbranch_scc0 .LBB23_14
; %bb.15:
	s_and_b32 s1, s12, 7
	s_delay_alu instid0(SALU_CYCLE_1)
	s_cmp_eq_u32 s1, 0
	s_cbranch_scc0 .LBB23_18
	s_branch .LBB23_20
.LBB23_16:
	v_mov_b32_e32 v0, 0x7fc00000
	s_branch .LBB23_21
.LBB23_17:
	v_mov_b32_e32 v10, 0
	s_mov_b32 s13, 0
	s_and_b32 s1, s12, 7
	s_delay_alu instid0(SALU_CYCLE_1)
	s_cmp_eq_u32 s1, 0
	s_cbranch_scc1 .LBB23_20
.LBB23_18:
	v_mad_u64_u32 v[1:2], null, 0x70, s13, v[0:1]
	v_mov_b32_e32 v2, 0
	s_lshl_b64 s[2:3], s[10:11], 2
	s_delay_alu instid0(SALU_CYCLE_1) | instskip(SKIP_1) | instid1(VALU_DEP_1)
	s_add_u32 s0, s8, s2
	s_addc_u32 s2, s9, s3
	v_lshlrev_b64 v[0:1], 2, v[1:2]
	s_delay_alu instid0(VALU_DEP_1) | instskip(NEXT) | instid1(VALU_DEP_2)
	v_add_co_u32 v0, vcc_lo, s0, v0
	v_add_co_ci_u32_e32 v1, vcc_lo, s2, v1, vcc_lo
	s_lshl_b32 s0, s13, 3
	s_delay_alu instid0(SALU_CYCLE_1)
	s_add_i32 s2, s0, 0
	s_set_inst_prefetch_distance 0x1
	.p2align	6
.LBB23_19:                              ; =>This Inner Loop Header: Depth=1
	global_load_b32 v4, v[0:1], off
	v_mov_b32_e32 v2, s2
	s_add_i32 s1, s1, -1
	s_add_i32 s2, s2, 8
	s_cmp_lg_u32 s1, 0
	ds_load_b64 v[2:3], v2
	s_waitcnt lgkmcnt(0)
	v_sub_f32_e32 v2, v2, v8
	s_delay_alu instid0(VALU_DEP_1) | instskip(NEXT) | instid1(VALU_DEP_1)
	v_mul_f32_e32 v5, 0x3fb8aa3b, v2
	v_fma_f32 v6, 0x3fb8aa3b, v2, -v5
	v_rndne_f32_e32 v11, v5
	s_delay_alu instid0(VALU_DEP_1) | instskip(NEXT) | instid1(VALU_DEP_1)
	v_dual_fmac_f32 v6, 0x32a5705f, v2 :: v_dual_sub_f32 v5, v5, v11
	v_add_f32_e32 v5, v5, v6
	v_cvt_i32_f32_e32 v6, v11
	v_cmp_ngt_f32_e32 vcc_lo, 0xc2ce8ed0, v2
	v_cmp_nlt_f32_e64 s0, 0x42b17218, v2
	s_delay_alu instid0(VALU_DEP_4) | instskip(SKIP_2) | instid1(VALU_DEP_1)
	v_exp_f32_e32 v5, v5
	s_waitcnt_depctr 0xfff
	v_ldexp_f32 v5, v5, v6
	v_cndmask_b32_e32 v5, 0, v5, vcc_lo
	v_add_co_u32 v0, vcc_lo, 0x1c0, v0
	v_add_co_ci_u32_e32 v1, vcc_lo, 0, v1, vcc_lo
	s_delay_alu instid0(VALU_DEP_3) | instskip(SKIP_1) | instid1(VALU_DEP_1)
	v_cndmask_b32_e64 v2, 0x7f800000, v5, s0
	s_waitcnt vmcnt(0)
	v_dual_fmac_f32 v10, v2, v3 :: v_dual_fmac_f32 v9, v4, v2
	s_cbranch_scc1 .LBB23_19
.LBB23_20:
	s_set_inst_prefetch_distance 0x2
	s_delay_alu instid0(VALU_DEP_1) | instskip(NEXT) | instid1(VALU_DEP_1)
	v_div_scale_f32 v0, null, v10, v10, v9
	v_rcp_f32_e32 v1, v0
	s_waitcnt_depctr 0xfff
	v_fma_f32 v2, -v0, v1, 1.0
	s_delay_alu instid0(VALU_DEP_1) | instskip(SKIP_1) | instid1(VALU_DEP_1)
	v_fmac_f32_e32 v1, v2, v1
	v_div_scale_f32 v2, vcc_lo, v9, v10, v9
	v_mul_f32_e32 v3, v2, v1
	s_delay_alu instid0(VALU_DEP_1) | instskip(NEXT) | instid1(VALU_DEP_1)
	v_fma_f32 v4, -v0, v3, v2
	v_fmac_f32_e32 v3, v4, v1
	s_delay_alu instid0(VALU_DEP_1) | instskip(NEXT) | instid1(VALU_DEP_1)
	v_fma_f32 v0, -v0, v3, v2
	v_div_fmas_f32 v0, v0, v1, v3
	s_delay_alu instid0(VALU_DEP_1)
	v_div_fixup_f32 v0, v0, v10, v9
.LBB23_21:
	s_mul_i32 s0, s7, 0x70
	s_delay_alu instid0(SALU_CYCLE_1) | instskip(NEXT) | instid1(SALU_CYCLE_1)
	s_ashr_i32 s1, s0, 31
	s_lshl_b64 s[0:1], s[0:1], 2
	s_delay_alu instid0(SALU_CYCLE_1)
	s_add_u32 s0, s16, s0
	s_addc_u32 s1, s17, s1
	global_store_b32 v7, v0, s[0:1]
	s_nop 0
	s_sendmsg sendmsg(MSG_DEALLOC_VGPRS)
	s_endpgm
	.section	.rodata,"a",@progbits
	.p2align	6, 0x0
	.amdhsa_kernel _ZL26flash_attn_combine_resultsILi112EEvPKfPK15HIP_vector_typeIfLj2EEPfi
		.amdhsa_group_segment_fixed_size 0
		.amdhsa_private_segment_fixed_size 0
		.amdhsa_kernarg_size 288
		.amdhsa_user_sgpr_count 13
		.amdhsa_user_sgpr_dispatch_ptr 0
		.amdhsa_user_sgpr_queue_ptr 0
		.amdhsa_user_sgpr_kernarg_segment_ptr 1
		.amdhsa_user_sgpr_dispatch_id 0
		.amdhsa_user_sgpr_private_segment_size 0
		.amdhsa_wavefront_size32 1
		.amdhsa_uses_dynamic_stack 0
		.amdhsa_enable_private_segment 0
		.amdhsa_system_sgpr_workgroup_id_x 1
		.amdhsa_system_sgpr_workgroup_id_y 1
		.amdhsa_system_sgpr_workgroup_id_z 1
		.amdhsa_system_sgpr_workgroup_info 0
		.amdhsa_system_vgpr_workitem_id 0
		.amdhsa_next_free_vgpr 57
		.amdhsa_next_free_sgpr 20
		.amdhsa_reserve_vcc 1
		.amdhsa_float_round_mode_32 0
		.amdhsa_float_round_mode_16_64 0
		.amdhsa_float_denorm_mode_32 3
		.amdhsa_float_denorm_mode_16_64 3
		.amdhsa_dx10_clamp 1
		.amdhsa_ieee_mode 1
		.amdhsa_fp16_overflow 0
		.amdhsa_workgroup_processor_mode 1
		.amdhsa_memory_ordered 1
		.amdhsa_forward_progress 0
		.amdhsa_shared_vgpr_count 0
		.amdhsa_exception_fp_ieee_invalid_op 0
		.amdhsa_exception_fp_denorm_src 0
		.amdhsa_exception_fp_ieee_div_zero 0
		.amdhsa_exception_fp_ieee_overflow 0
		.amdhsa_exception_fp_ieee_underflow 0
		.amdhsa_exception_fp_ieee_inexact 0
		.amdhsa_exception_int_div_zero 0
	.end_amdhsa_kernel
	.section	.text._ZL26flash_attn_combine_resultsILi112EEvPKfPK15HIP_vector_typeIfLj2EEPfi,"axG",@progbits,_ZL26flash_attn_combine_resultsILi112EEvPKfPK15HIP_vector_typeIfLj2EEPfi,comdat
.Lfunc_end23:
	.size	_ZL26flash_attn_combine_resultsILi112EEvPKfPK15HIP_vector_typeIfLj2EEPfi, .Lfunc_end23-_ZL26flash_attn_combine_resultsILi112EEvPKfPK15HIP_vector_typeIfLj2EEPfi
                                        ; -- End function
	.section	.AMDGPU.csdata,"",@progbits
; Kernel info:
; codeLenInByte = 2380
; NumSgprs: 22
; NumVgprs: 57
; ScratchSize: 0
; MemoryBound: 0
; FloatMode: 240
; IeeeMode: 1
; LDSByteSize: 0 bytes/workgroup (compile time only)
; SGPRBlocks: 2
; VGPRBlocks: 7
; NumSGPRsForWavesPerEU: 22
; NumVGPRsForWavesPerEU: 57
; Occupancy: 16
; WaveLimiterHint : 1
; COMPUTE_PGM_RSRC2:SCRATCH_EN: 0
; COMPUTE_PGM_RSRC2:USER_SGPR: 13
; COMPUTE_PGM_RSRC2:TRAP_HANDLER: 0
; COMPUTE_PGM_RSRC2:TGID_X_EN: 1
; COMPUTE_PGM_RSRC2:TGID_Y_EN: 1
; COMPUTE_PGM_RSRC2:TGID_Z_EN: 1
; COMPUTE_PGM_RSRC2:TIDIG_COMP_CNT: 0
	.section	.text._ZL18flash_attn_ext_f16ILi128ELi128ELi8ELi4ELb0ELb0EEvPKcS1_S1_S1_S1_PKiPfP15HIP_vector_typeIfLj2EEffffjfiS5_IjLj3EEiiiiiiiiiiiliiliiiiil,"axG",@progbits,_ZL18flash_attn_ext_f16ILi128ELi128ELi8ELi4ELb0ELb0EEvPKcS1_S1_S1_S1_PKiPfP15HIP_vector_typeIfLj2EEffffjfiS5_IjLj3EEiiiiiiiiiiiliiliiiiil,comdat
	.globl	_ZL18flash_attn_ext_f16ILi128ELi128ELi8ELi4ELb0ELb0EEvPKcS1_S1_S1_S1_PKiPfP15HIP_vector_typeIfLj2EEffffjfiS5_IjLj3EEiiiiiiiiiiiliiliiiiil ; -- Begin function _ZL18flash_attn_ext_f16ILi128ELi128ELi8ELi4ELb0ELb0EEvPKcS1_S1_S1_S1_PKiPfP15HIP_vector_typeIfLj2EEffffjfiS5_IjLj3EEiiiiiiiiiiiliiliiiiil
	.p2align	8
	.type	_ZL18flash_attn_ext_f16ILi128ELi128ELi8ELi4ELb0ELb0EEvPKcS1_S1_S1_S1_PKiPfP15HIP_vector_typeIfLj2EEffffjfiS5_IjLj3EEiiiiiiiiiiiliiliiiiil,@function
_ZL18flash_attn_ext_f16ILi128ELi128ELi8ELi4ELb0ELb0EEvPKcS1_S1_S1_S1_PKiPfP15HIP_vector_typeIfLj2EEffffjfiS5_IjLj3EEiiiiiiiiiiiliiliiiiil: ; @_ZL18flash_attn_ext_f16ILi128ELi128ELi8ELi4ELb0ELb0EEvPKcS1_S1_S1_S1_PKiPfP15HIP_vector_typeIfLj2EEffffjfiS5_IjLj3EEiiiiiiiiiiiliiliiiiil
; %bb.0:
	s_clause 0x2
	s_load_b64 s[2:3], s[0:1], 0x80
	s_load_b128 s[8:11], s[0:1], 0x64
	s_load_b32 s37, s[0:1], 0xd0
	s_mov_b32 s36, s15
	s_waitcnt lgkmcnt(0)
	s_abs_i32 s4, s3
	s_abs_i32 s7, s9
	v_cvt_f32_u32_e32 v1, s4
	s_sub_i32 s6, 0, s4
	v_cvt_f32_u32_e32 v3, s37
	s_delay_alu instid0(VALU_DEP_2) | instskip(SKIP_2) | instid1(VALU_DEP_1)
	v_rcp_iflag_f32_e32 v1, v1
	s_waitcnt_depctr 0xfff
	v_mul_f32_e32 v1, 0x4f7ffffe, v1
	v_cvt_u32_f32_e32 v1, v1
	s_delay_alu instid0(VALU_DEP_1) | instskip(SKIP_1) | instid1(VALU_DEP_2)
	v_readfirstlane_b32 s5, v1
	v_cvt_f32_ubyte0_e32 v1, 0
	s_mul_i32 s6, s6, s5
	s_delay_alu instid0(SALU_CYCLE_1) | instskip(NEXT) | instid1(SALU_CYCLE_1)
	s_mul_hi_u32 s6, s5, s6
	s_add_i32 s5, s5, s6
	s_xor_b32 s6, s9, s3
	s_mul_hi_u32 s5, s7, s5
	s_ashr_i32 s6, s6, 31
	s_mul_i32 s12, s5, s4
	s_delay_alu instid0(SALU_CYCLE_1)
	s_sub_i32 s7, s7, s12
	s_add_i32 s12, s5, 1
	s_sub_i32 s13, s7, s4
	s_cmp_ge_u32 s7, s4
	s_cselect_b32 s5, s12, s5
	s_cselect_b32 s7, s13, s7
	s_add_i32 s12, s5, 1
	s_cmp_ge_u32 s7, s4
	s_cselect_b32 s4, s12, s5
	s_add_i32 s2, s2, 63
	s_xor_b32 s4, s4, s6
	s_add_i32 s5, s8, 7
	s_sub_i32 s33, s4, s6
	s_ashr_i32 s7, s2, 31
	s_add_i32 s4, s33, 3
	s_lshr_b32 s76, s5, 3
	s_lshr_b32 s5, s7, 26
	s_ashr_i32 s6, s4, 31
	s_add_i32 s2, s2, s5
	s_lshr_b32 s5, s6, 30
	s_ashr_i32 s80, s2, 6
	s_add_i32 s4, s4, s5
	s_mul_i32 s75, s76, s80
	s_ashr_i32 s2, s4, 2
	s_delay_alu instid0(SALU_CYCLE_1) | instskip(SKIP_2) | instid1(SALU_CYCLE_1)
	s_mul_i32 s78, s75, s2
	s_mov_b32 s2, 0
	s_mul_i32 s77, s78, s3
	s_mul_i32 s4, s77, s10
	s_delay_alu instid0(SALU_CYCLE_1) | instskip(SKIP_2) | instid1(SALU_CYCLE_1)
	s_ashr_i32 s5, s4, 31
	s_mul_hi_u32 s3, s4, s15
	s_mul_i32 s6, s5, s15
	s_add_i32 s3, s3, s6
	s_mul_i32 s6, s4, s15
	s_cmp_lg_u64 s[2:3], 0
	s_cbranch_scc0 .LBB24_306
; %bb.1:
	v_fmamk_f32 v2, v1, 0x4f800000, v3
	s_sub_u32 s12, 0, s37
	s_subb_u32 s13, 0, 0
	s_delay_alu instid0(VALU_DEP_1) | instskip(SKIP_2) | instid1(VALU_DEP_1)
	v_rcp_f32_e32 v2, v2
	s_waitcnt_depctr 0xfff
	v_mul_f32_e32 v2, 0x5f7ffffc, v2
	v_mul_f32_e32 v4, 0x2f800000, v2
	s_delay_alu instid0(VALU_DEP_1) | instskip(NEXT) | instid1(VALU_DEP_1)
	v_trunc_f32_e32 v4, v4
	v_fmamk_f32 v2, v4, 0xcf800000, v2
	v_cvt_u32_f32_e32 v4, v4
	s_delay_alu instid0(VALU_DEP_2) | instskip(NEXT) | instid1(VALU_DEP_2)
	v_cvt_u32_f32_e32 v2, v2
	v_readfirstlane_b32 s7, v4
	s_delay_alu instid0(VALU_DEP_2) | instskip(NEXT) | instid1(VALU_DEP_2)
	v_readfirstlane_b32 s10, v2
	s_mul_i32 s14, s12, s7
	s_delay_alu instid0(VALU_DEP_1)
	s_mul_hi_u32 s16, s12, s10
	s_mul_i32 s15, s13, s10
	s_add_i32 s14, s16, s14
	s_mul_i32 s17, s12, s10
	s_add_i32 s14, s14, s15
	s_mul_hi_u32 s16, s10, s17
	s_mul_hi_u32 s18, s7, s17
	s_mul_i32 s15, s7, s17
	s_mul_hi_u32 s17, s10, s14
	s_mul_i32 s10, s10, s14
	s_mul_hi_u32 s19, s7, s14
	s_add_u32 s10, s16, s10
	s_addc_u32 s16, 0, s17
	s_add_u32 s10, s10, s15
	s_mul_i32 s14, s7, s14
	s_addc_u32 s10, s16, s18
	s_addc_u32 s15, s19, 0
	s_add_u32 s10, s10, s14
	s_addc_u32 s14, 0, s15
	v_add_co_u32 v2, s10, v2, s10
	s_delay_alu instid0(VALU_DEP_1) | instskip(SKIP_1) | instid1(VALU_DEP_1)
	s_cmp_lg_u32 s10, 0
	s_addc_u32 s7, s7, s14
	v_readfirstlane_b32 s10, v2
	s_mul_i32 s14, s12, s7
	s_delay_alu instid0(VALU_DEP_1)
	s_mul_hi_u32 s15, s12, s10
	s_mul_i32 s13, s13, s10
	s_add_i32 s14, s15, s14
	s_mul_i32 s12, s12, s10
	s_add_i32 s14, s14, s13
	s_mul_hi_u32 s15, s7, s12
	s_mul_i32 s16, s7, s12
	s_mul_hi_u32 s12, s10, s12
	s_mul_hi_u32 s17, s10, s14
	s_mul_i32 s10, s10, s14
	s_mul_hi_u32 s13, s7, s14
	s_add_u32 s10, s12, s10
	s_addc_u32 s12, 0, s17
	s_add_u32 s10, s10, s16
	s_mul_i32 s14, s7, s14
	s_addc_u32 s10, s12, s15
	s_addc_u32 s12, s13, 0
	s_add_u32 s10, s10, s14
	s_addc_u32 s12, 0, s12
	v_add_co_u32 v2, s10, v2, s10
	s_delay_alu instid0(VALU_DEP_1) | instskip(SKIP_2) | instid1(SALU_CYCLE_1)
	s_cmp_lg_u32 s10, 0
	s_addc_u32 s7, s7, s12
	s_ashr_i32 s12, s3, 31
	s_add_u32 s14, s6, s12
	s_addc_u32 s15, s3, s12
	v_readfirstlane_b32 s3, v2
	s_mov_b32 s13, s12
	s_delay_alu instid0(SALU_CYCLE_1) | instskip(NEXT) | instid1(SALU_CYCLE_1)
	s_xor_b64 s[14:15], s[14:15], s[12:13]
	s_mul_i32 s16, s14, s7
	s_delay_alu instid0(VALU_DEP_1)
	s_mul_hi_u32 s17, s14, s3
	s_mul_hi_u32 s10, s14, s7
	;; [unrolled: 1-line block ×3, first 2 shown]
	s_mul_i32 s3, s15, s3
	s_add_u32 s16, s17, s16
	s_addc_u32 s10, 0, s10
	s_mul_hi_u32 s18, s15, s7
	s_add_u32 s3, s16, s3
	s_mul_i32 s7, s15, s7
	s_addc_u32 s3, s10, s19
	s_addc_u32 s10, s18, 0
	s_add_u32 s3, s3, s7
	s_addc_u32 s7, 0, s10
	s_mul_i32 s16, s37, s3
	s_add_u32 s10, s3, 1
	v_sub_co_u32 v2, s14, s14, s16
	s_mul_hi_u32 s16, s37, s3
	s_addc_u32 s17, s7, 0
	s_mul_i32 s18, s37, s7
	s_delay_alu instid0(VALU_DEP_1)
	v_sub_co_u32 v4, s19, v2, s37
	s_add_u32 s20, s3, 2
	s_addc_u32 s21, s7, 0
	s_add_i32 s16, s16, s18
	s_cmp_lg_u32 s14, 0
	v_readfirstlane_b32 s14, v4
	s_subb_u32 s15, s15, s16
	s_cmp_lg_u32 s19, 0
	s_subb_u32 s16, s15, 0
	s_delay_alu instid0(VALU_DEP_1) | instskip(SKIP_4) | instid1(SALU_CYCLE_1)
	s_cmp_ge_u32 s14, s37
	s_cselect_b32 s14, -1, 0
	s_cmp_eq_u32 s16, 0
	v_readfirstlane_b32 s16, v2
	s_cselect_b32 s14, s14, -1
	s_cmp_lg_u32 s14, 0
	s_cselect_b32 s10, s20, s10
	s_cselect_b32 s14, s21, s17
	s_cmp_ge_u32 s16, s37
	s_cselect_b32 s16, -1, 0
	s_cmp_eq_u32 s15, 0
	s_cselect_b32 s15, s16, -1
	s_delay_alu instid0(SALU_CYCLE_1) | instskip(SKIP_2) | instid1(SALU_CYCLE_1)
	s_cmp_lg_u32 s15, 0
	s_cselect_b32 s15, s14, s7
	s_cselect_b32 s14, s10, s3
	s_xor_b64 s[14:15], s[14:15], s[12:13]
	s_delay_alu instid0(SALU_CYCLE_1)
	s_sub_u32 s58, s14, s12
	s_load_b64 s[56:57], s[0:1], 0x74
	v_cvt_f32_u32_e32 v2, s37
	s_and_not1_b32 vcc_lo, exec_lo, s2
	s_cbranch_vccnz .LBB24_3
.LBB24_2:
	s_delay_alu instid0(VALU_DEP_1) | instskip(SKIP_3) | instid1(VALU_DEP_1)
	v_rcp_iflag_f32_e32 v4, v2
	s_sub_i32 s3, 0, s37
	s_waitcnt_depctr 0xfff
	v_mul_f32_e32 v4, 0x4f7ffffe, v4
	v_cvt_u32_f32_e32 v4, v4
	s_delay_alu instid0(VALU_DEP_1) | instskip(NEXT) | instid1(VALU_DEP_1)
	v_readfirstlane_b32 s2, v4
	s_mul_i32 s3, s3, s2
	s_delay_alu instid0(SALU_CYCLE_1) | instskip(NEXT) | instid1(SALU_CYCLE_1)
	s_mul_hi_u32 s3, s2, s3
	s_add_i32 s2, s2, s3
	s_delay_alu instid0(SALU_CYCLE_1) | instskip(NEXT) | instid1(SALU_CYCLE_1)
	s_mul_hi_u32 s2, s6, s2
	s_mul_i32 s3, s2, s37
	s_delay_alu instid0(SALU_CYCLE_1)
	s_sub_i32 s3, s6, s3
	s_add_i32 s6, s2, 1
	s_sub_i32 s7, s3, s37
	s_cmp_ge_u32 s3, s37
	s_cselect_b32 s2, s6, s2
	s_cselect_b32 s3, s7, s3
	s_add_i32 s6, s2, 1
	s_cmp_ge_u32 s3, s37
	s_cselect_b32 s58, s6, s2
.LBB24_3:
	s_add_i32 s6, s36, 1
	s_delay_alu instid0(SALU_CYCLE_1) | instskip(SKIP_4) | instid1(SALU_CYCLE_1)
	s_mul_i32 s2, s5, s6
	s_mul_hi_u32 s3, s4, s6
	s_mul_i32 s4, s4, s6
	s_add_i32 s3, s3, s2
	s_mov_b32 s2, 0
	s_cmp_lg_u64 s[2:3], 0
	s_cbranch_scc0 .LBB24_307
; %bb.4:
	v_fmamk_f32 v1, v1, 0x4f800000, v3
	s_sub_u32 s7, 0, s37
	s_subb_u32 s10, 0, 0
	s_delay_alu instid0(VALU_DEP_1) | instskip(SKIP_2) | instid1(VALU_DEP_1)
	v_rcp_f32_e32 v1, v1
	s_waitcnt_depctr 0xfff
	v_mul_f32_e32 v1, 0x5f7ffffc, v1
	v_mul_f32_e32 v3, 0x2f800000, v1
	s_delay_alu instid0(VALU_DEP_1) | instskip(NEXT) | instid1(VALU_DEP_1)
	v_trunc_f32_e32 v3, v3
	v_fmamk_f32 v1, v3, 0xcf800000, v1
	v_cvt_u32_f32_e32 v3, v3
	s_delay_alu instid0(VALU_DEP_2) | instskip(NEXT) | instid1(VALU_DEP_2)
	v_cvt_u32_f32_e32 v1, v1
	v_readfirstlane_b32 s5, v3
	s_delay_alu instid0(VALU_DEP_2) | instskip(NEXT) | instid1(VALU_DEP_2)
	v_readfirstlane_b32 s6, v1
	s_mul_i32 s12, s7, s5
	s_delay_alu instid0(VALU_DEP_1)
	s_mul_hi_u32 s14, s7, s6
	s_mul_i32 s13, s10, s6
	s_add_i32 s12, s14, s12
	s_mul_i32 s15, s7, s6
	s_add_i32 s12, s12, s13
	s_mul_hi_u32 s14, s6, s15
	s_mul_hi_u32 s16, s5, s15
	s_mul_i32 s13, s5, s15
	s_mul_hi_u32 s15, s6, s12
	s_mul_i32 s6, s6, s12
	s_mul_hi_u32 s17, s5, s12
	s_add_u32 s6, s14, s6
	s_addc_u32 s14, 0, s15
	s_add_u32 s6, s6, s13
	s_mul_i32 s12, s5, s12
	s_addc_u32 s6, s14, s16
	s_addc_u32 s13, s17, 0
	s_add_u32 s6, s6, s12
	s_addc_u32 s12, 0, s13
	v_add_co_u32 v1, s6, v1, s6
	s_delay_alu instid0(VALU_DEP_1) | instskip(SKIP_1) | instid1(VALU_DEP_1)
	s_cmp_lg_u32 s6, 0
	s_addc_u32 s5, s5, s12
	v_readfirstlane_b32 s6, v1
	s_mul_i32 s12, s7, s5
	s_delay_alu instid0(VALU_DEP_1)
	s_mul_hi_u32 s13, s7, s6
	s_mul_i32 s10, s10, s6
	s_add_i32 s12, s13, s12
	s_mul_i32 s7, s7, s6
	s_add_i32 s12, s12, s10
	s_mul_hi_u32 s13, s5, s7
	s_mul_i32 s14, s5, s7
	s_mul_hi_u32 s7, s6, s7
	s_mul_hi_u32 s15, s6, s12
	s_mul_i32 s6, s6, s12
	s_mul_hi_u32 s10, s5, s12
	s_add_u32 s6, s7, s6
	s_addc_u32 s7, 0, s15
	s_add_u32 s6, s6, s14
	s_mul_i32 s12, s5, s12
	s_addc_u32 s6, s7, s13
	s_addc_u32 s7, s10, 0
	s_add_u32 s6, s6, s12
	s_addc_u32 s7, 0, s7
	v_add_co_u32 v1, s6, v1, s6
	s_delay_alu instid0(VALU_DEP_1) | instskip(SKIP_2) | instid1(SALU_CYCLE_1)
	s_cmp_lg_u32 s6, 0
	s_addc_u32 s5, s5, s7
	s_ashr_i32 s6, s3, 31
	s_add_u32 s12, s4, s6
	s_addc_u32 s13, s3, s6
	v_readfirstlane_b32 s3, v1
	s_mov_b32 s7, s6
	s_delay_alu instid0(SALU_CYCLE_1) | instskip(NEXT) | instid1(SALU_CYCLE_1)
	s_xor_b64 s[12:13], s[12:13], s[6:7]
	s_mul_i32 s14, s12, s5
	s_delay_alu instid0(VALU_DEP_1)
	s_mul_hi_u32 s15, s12, s3
	s_mul_hi_u32 s10, s12, s5
	;; [unrolled: 1-line block ×3, first 2 shown]
	s_mul_i32 s3, s13, s3
	s_add_u32 s14, s15, s14
	s_addc_u32 s10, 0, s10
	s_mul_hi_u32 s16, s13, s5
	s_add_u32 s3, s14, s3
	s_mul_i32 s5, s13, s5
	s_addc_u32 s3, s10, s17
	s_addc_u32 s10, s16, 0
	s_add_u32 s3, s3, s5
	s_addc_u32 s5, 0, s10
	s_mul_i32 s14, s37, s3
	s_add_u32 s10, s3, 1
	v_sub_co_u32 v1, s12, s12, s14
	s_mul_hi_u32 s14, s37, s3
	s_addc_u32 s15, s5, 0
	s_mul_i32 s16, s37, s5
	s_delay_alu instid0(VALU_DEP_1)
	v_sub_co_u32 v3, s17, v1, s37
	s_add_u32 s18, s3, 2
	s_addc_u32 s19, s5, 0
	s_add_i32 s14, s14, s16
	s_cmp_lg_u32 s12, 0
	v_readfirstlane_b32 s12, v3
	s_subb_u32 s13, s13, s14
	s_cmp_lg_u32 s17, 0
	s_subb_u32 s14, s13, 0
	s_delay_alu instid0(VALU_DEP_1) | instskip(SKIP_4) | instid1(SALU_CYCLE_1)
	s_cmp_ge_u32 s12, s37
	s_cselect_b32 s12, -1, 0
	s_cmp_eq_u32 s14, 0
	v_readfirstlane_b32 s14, v1
	s_cselect_b32 s12, s12, -1
	s_cmp_lg_u32 s12, 0
	s_cselect_b32 s10, s18, s10
	s_cselect_b32 s12, s19, s15
	s_cmp_ge_u32 s14, s37
	s_cselect_b32 s14, -1, 0
	s_cmp_eq_u32 s13, 0
	s_cselect_b32 s13, s14, -1
	s_delay_alu instid0(SALU_CYCLE_1) | instskip(SKIP_2) | instid1(SALU_CYCLE_1)
	s_cmp_lg_u32 s13, 0
	s_cselect_b32 s13, s12, s5
	s_cselect_b32 s12, s10, s3
	s_xor_b64 s[12:13], s[12:13], s[6:7]
	s_delay_alu instid0(SALU_CYCLE_1)
	s_sub_u32 s62, s12, s6
	s_load_b64 s[34:35], s[0:1], 0x5c
	s_and_not1_b32 vcc_lo, exec_lo, s2
	s_cbranch_vccnz .LBB24_6
.LBB24_5:
	v_rcp_iflag_f32_e32 v1, v2
	s_sub_i32 s3, 0, s37
	s_waitcnt_depctr 0xfff
	v_mul_f32_e32 v1, 0x4f7ffffe, v1
	s_delay_alu instid0(VALU_DEP_1) | instskip(NEXT) | instid1(VALU_DEP_1)
	v_cvt_u32_f32_e32 v1, v1
	v_readfirstlane_b32 s2, v1
	s_delay_alu instid0(VALU_DEP_1) | instskip(NEXT) | instid1(SALU_CYCLE_1)
	s_mul_i32 s3, s3, s2
	s_mul_hi_u32 s3, s2, s3
	s_delay_alu instid0(SALU_CYCLE_1) | instskip(NEXT) | instid1(SALU_CYCLE_1)
	s_add_i32 s2, s2, s3
	s_mul_hi_u32 s2, s4, s2
	s_delay_alu instid0(SALU_CYCLE_1) | instskip(NEXT) | instid1(SALU_CYCLE_1)
	s_mul_i32 s3, s2, s37
	s_sub_i32 s3, s4, s3
	s_add_i32 s4, s2, 1
	s_sub_i32 s5, s3, s37
	s_cmp_ge_u32 s3, s37
	s_cselect_b32 s2, s4, s2
	s_cselect_b32 s3, s5, s3
	s_add_i32 s4, s2, 1
	s_cmp_ge_u32 s3, s37
	s_cselect_b32 s62, s4, s2
.LBB24_6:
	s_abs_i32 s81, s80
	v_bfe_u32 v204, v0, 10, 10
	v_cvt_f32_u32_e32 v1, s81
	s_clause 0x6
	s_load_b512 s[16:31], s[0:1], 0x0
	s_load_b32 s2, s[0:1], 0x40
	s_load_b64 s[4:5], s[0:1], 0x8c
	s_load_b64 s[14:15], s[0:1], 0xb8
	s_load_b128 s[44:47], s[0:1], 0x98
	s_load_b64 s[50:51], s[0:1], 0xa8
	s_load_b64 s[52:53], s[0:1], 0xc8
	s_ashr_i32 s1, s80, 31
                                        ; implicit-def: $vgpr255 : SGPR spill to VGPR lane
	s_abs_i32 s3, s58
	v_rcp_iflag_f32_e32 v1, v1
	v_writelane_b32 v255, s1, 0
	s_sub_i32 s1, 0, s81
	s_ashr_i32 s59, s11, 3
	s_waitcnt lgkmcnt(0)
	s_ashr_i32 s41, s56, 3
	s_ashr_i32 s0, s58, 31
	v_and_b32_e32 v222, 0x3ff, v0
	v_lshlrev_b32_e32 v167, 3, v204
	v_and_b32_e32 v168, 1, v204
	v_and_b32_e32 v221, 3, v204
	s_waitcnt_depctr 0xfff
	v_dual_mul_f32 v1, 0x4f7ffffe, v1 :: v_dual_add_nc_u32 v220, 4, v204
	v_lshrrev_b32_e32 v233, 2, v204
	v_add_nc_u32_e32 v75, 8, v204
	v_cvt_f16_f32_e32 v0, s2
	s_delay_alu instid0(VALU_DEP_4)
	v_cvt_u32_f32_e32 v1, v1
	v_writelane_b32 v255, s4, 1
	s_ashr_i32 s12, s4, 2
	s_ashr_i32 s82, s15, 1
	;; [unrolled: 1-line block ×3, first 2 shown]
	v_readfirstlane_b32 s83, v1
	v_writelane_b32 v255, s5, 2
	v_add_nc_u32_e32 v74, 12, v204
	v_add_nc_u32_e32 v73, 16, v204
	;; [unrolled: 1-line block ×3, first 2 shown]
	s_mul_i32 s1, s1, s83
	v_add_nc_u32_e32 v71, 24, v204
	s_mul_hi_u32 s1, s83, s1
	v_pack_b32_f16 v219, v0, v0
	s_add_i32 s79, s83, s1
	v_add_nc_u32_e32 v70, 28, v204
	s_mul_hi_u32 s1, s3, s79
	s_mov_b32 s65, 0
	s_mul_i32 s1, s1, s81
	scratch_store_b32 off, v222, off offset:276 ; 4-byte Folded Spill
	s_sub_i32 s1, s3, s1
	s_delay_alu instid0(SALU_CYCLE_1) | instskip(SKIP_2) | instid1(SALU_CYCLE_1)
	s_sub_i32 s3, s1, s81
	s_cmp_ge_u32 s1, s81
	s_cselect_b32 s1, s3, s1
	s_sub_i32 s3, s1, s81
	s_cmp_ge_u32 s1, s81
	s_cselect_b32 s1, s3, s1
	s_sub_i32 s3, s62, s58
	s_xor_b32 s1, s1, s0
	s_delay_alu instid0(SALU_CYCLE_1) | instskip(NEXT) | instid1(SALU_CYCLE_1)
	s_sub_i32 s100, s1, s0
	s_add_i32 s0, s3, s100
	s_delay_alu instid0(SALU_CYCLE_1)
	s_min_i32 s99, s80, s0
	s_cmp_gt_i32 s62, s58
	s_cselect_b32 s3, -1, 0
	s_cmp_le_i32 s62, s58
	s_cselect_b32 s1, -1, 0
	s_cmp_gt_i32 s80, s0
	s_cselect_b32 s0, -1, 0
	s_delay_alu instid0(SALU_CYCLE_1) | instskip(NEXT) | instid1(SALU_CYCLE_1)
	s_or_b32 s0, s0, s1
	s_and_b32 vcc_lo, exec_lo, s0
	s_cbranch_vccz .LBB24_9
; %bb.7:
	s_and_not1_b32 vcc_lo, exec_lo, s3
	s_cbranch_vccz .LBB24_270
.LBB24_8:
	s_endpgm
.LBB24_9:
	v_lshrrev_b32_e32 v244, 4, v222
	s_cmp_eq_u64 s[24:25], 0
	v_dual_mov_b32 v238, 0 :: v_dual_and_b32 v1, 0x3f0, v167
	s_cselect_b32 s61, -1, 0
	s_delay_alu instid0(VALU_DEP_2)
	v_lshl_add_u32 v3, v204, 1, v244
	s_cmp_lg_u64 s[26:27], 0
	v_lshlrev_b32_e32 v35, 4, v204
	s_cselect_b32 s88, -1, 0
	s_lshl_b32 s0, s12, 3
	v_mul_lo_u32 v0, s12, v3
	v_mul_lo_u32 v12, s10, v3
	s_lshl_b32 s1, s10, 3
	s_lshl_b32 s64, s36, 5
	s_ashr_i32 s83, s82, 31
	s_ashr_i32 s13, s12, 31
	;; [unrolled: 1-line block ×3, first 2 shown]
	v_mad_u32_u24 v218, 0x110, v1, 0
	v_add_nc_u32_e32 v2, s0, v0
	v_add_nc_u32_e32 v18, s1, v12
	v_and_or_b32 v1, v222, 12, v1
	v_and_b32_e32 v31, 16, v35
	v_mul_u32_u24_e32 v36, 0x110, v3
	v_add_nc_u32_e32 v4, s0, v2
	v_add_nc_u32_e32 v20, s1, v18
	v_lshrrev_b32_e32 v37, 2, v1
	v_and_b32_e32 v38, 8, v167
	v_lshlrev_b32_e32 v40, 1, v244
	v_add_nc_u32_e32 v6, s0, v4
	v_add_nc_u32_e32 v22, s1, v20
	v_mad_u32_u24 v37, 0x90, v37, 0
	v_lshlrev_b32_e32 v41, 1, v31
	v_mul_u32_u24_e32 v38, 0x220, v38
	v_add_nc_u32_e32 v8, s0, v6
	v_add_nc_u32_e32 v24, s1, v22
	v_writelane_b32 v255, s37, 3
	v_add3_u32 v209, v37, v40, v41
	v_add3_u32 v37, 0, 64, v38
	v_add_nc_u32_e32 v10, s0, v8
	v_add_nc_u32_e32 v26, s1, v24
	v_add3_u32 v40, 0, 0xc0, v38
	v_writelane_b32 v255, s36, 4
	v_ashrrev_i32_e32 v1, 31, v0
	v_add_nc_u32_e32 v14, s0, v10
	v_add_nc_u32_e32 v28, s1, v26
	v_ashrrev_i32_e32 v13, 31, v12
	v_ashrrev_i32_e32 v19, 31, v18
	v_lshlrev_b64 v[165:166], 2, v[0:1]
	v_add_nc_u32_e32 v16, s0, v14
	v_add_nc_u32_e32 v30, s1, v28
	s_lshl_b64 s[0:1], s[64:65], 3
	v_and_b32_e32 v0, 3, v222
	s_add_u32 s3, s30, s0
	s_addc_u32 s4, s31, s1
	s_abs_i32 s85, s14
	s_abs_i32 s87, s75
	v_cvt_f32_u32_e32 v65, s85
	v_cvt_f32_u32_e32 v68, s87
	s_abs_i32 s84, s77
	s_abs_i32 s86, s78
	s_mov_b32 s0, s14
	v_rcp_iflag_f32_e32 v65, v65
	v_lshlrev_b32_e32 v32, 2, v222
	v_rcp_iflag_f32_e32 v68, v68
	v_and_b32_e32 v33, 15, v222
	v_writelane_b32 v255, s0, 5
	v_lshlrev_b64 v[234:235], 2, v[12:13]
	v_lshlrev_b64 v[245:246], 2, v[18:19]
	v_ashrrev_i32_e32 v21, 31, v20
	v_ashrrev_i32_e32 v23, 31, v22
	v_writelane_b32 v255, s1, 6
	v_dual_mul_f32 v65, 0x4f7ffffe, v65 :: v_dual_and_b32 v34, 60, v32
	s_delay_alu instid0(TRANS32_DEP_1) | instskip(SKIP_2) | instid1(VALU_DEP_3)
	v_mul_f32_e32 v68, 0x4f7ffffe, v68
	s_sub_i32 s1, 0, s85
	v_add_nc_u32_e32 v242, 0, v32
	v_cvt_u32_f32_e32 v65, v65
	v_lshlrev_b32_e32 v39, 2, v34
	v_cvt_u32_f32_e32 v68, v68
	v_lshlrev_b64 v[247:248], 2, v[20:21]
	v_lshlrev_b64 v[249:250], 2, v[22:23]
	v_ashrrev_i32_e32 v25, 31, v24
	v_add3_u32 v236, 0, v36, v39
	v_lshlrev_b32_e32 v36, 2, v33
	v_add3_u32 v39, 0, 0x80, v38
	v_readfirstlane_b32 s7, v68
	v_lshlrev_b64 v[138:139], 2, v[24:25]
	v_ashrrev_i32_e32 v27, 31, v26
	v_add3_u32 v210, 0, v38, v36
	v_lshrrev_b32_e32 v38, 1, v204
	v_add3_u32 v252, v37, v36, 0x2200
	v_add3_u32 v212, v39, v36, 0x2200
	;; [unrolled: 1-line block ×3, first 2 shown]
	v_lshlrev_b64 v[140:141], 2, v[26:27]
	v_add_nc_u32_e32 v36, 2, v38
	v_add_nc_u32_e32 v37, 4, v38
	;; [unrolled: 1-line block ×5, first 2 shown]
	v_lshlrev_b32_e32 v40, 1, v36
	v_and_b32_e32 v41, 15, v36
	v_lshlrev_b32_e32 v42, 1, v37
	v_and_b32_e32 v43, 15, v37
	;; [unrolled: 2-line block ×3, first 2 shown]
	v_and_or_b32 v40, 0xe0, v40, v41
	v_and_b32_e32 v47, 15, v46
	v_and_or_b32 v41, 0xe0, v42, v43
	v_add_nc_u32_e32 v43, 10, v38
	v_and_or_b32 v42, 0xe0, v44, v45
	v_add_nc_u32_e32 v45, 12, v38
	v_lshlrev_b32_e32 v44, 1, v46
	v_lshlrev_b32_e32 v53, 1, v48
	;; [unrolled: 1-line block ×3, first 2 shown]
	v_and_b32_e32 v50, 15, v43
	v_lshlrev_b32_e32 v51, 1, v45
	v_and_b32_e32 v52, 15, v45
	v_and_b32_e32 v54, 15, v48
	v_and_or_b32 v44, 0xe0, v44, v47
	v_add_nc_u32_e32 v47, 18, v38
	v_and_or_b32 v49, 0xe0, v49, v50
	v_and_or_b32 v50, 0xe0, v51, v52
	v_and_or_b32 v51, 0xe0, v53, v54
	v_add_nc_u32_e32 v52, 20, v38
	v_add_nc_u32_e32 v54, 22, v38
	;; [unrolled: 1-line block ×3, first 2 shown]
	v_lshlrev_b32_e32 v53, 1, v47
	v_and_b32_e32 v55, 15, v47
	v_lshlrev_b32_e32 v57, 1, v52
	v_and_b32_e32 v58, 15, v52
	;; [unrolled: 2-line block ×4, first 2 shown]
	v_and_or_b32 v53, 0xe0, v53, v55
	v_and_or_b32 v55, 0xe0, v57, v58
	;; [unrolled: 1-line block ×3, first 2 shown]
	v_add_nc_u32_e32 v60, 28, v38
	v_and_or_b32 v58, 0xe0, v61, v62
	v_cvt_f32_u32_e32 v62, s84
	v_add_nc_u32_e32 v63, 26, v38
	v_lshrrev_b32_e32 v37, 2, v37
	v_lshlrev_b32_e32 v64, 1, v60
	v_and_b32_e32 v66, 15, v60
	v_rcp_iflag_f32_e32 v62, v62
	v_lshlrev_b32_e32 v59, 1, v63
	v_and_b32_e32 v61, 15, v63
	v_ashrrev_i32_e32 v29, 31, v28
	v_and_or_b32 v64, 0xe0, v64, v66
	v_cvt_f32_u32_e32 v66, s86
	v_ashrrev_i32_e32 v3, 31, v2
	v_and_or_b32 v59, 0xe0, v59, v61
	v_add_nc_u32_e32 v61, 30, v38
	v_add_nc_u32_e32 v38, 16, v38
	v_mul_f32_e32 v62, 0x4f7ffffe, v62
	v_rcp_iflag_f32_e32 v66, v66
	v_lshlrev_b64 v[142:143], 2, v[28:29]
	v_lshlrev_b32_e32 v67, 1, v61
	v_and_b32_e32 v69, 15, v61
	v_cvt_u32_f32_e32 v62, v62
	v_cmp_eq_u32_e64 s0, 0, v168
	v_ashrrev_i32_e32 v5, 31, v4
	v_ashrrev_i32_e32 v7, 31, v6
	v_and_or_b32 v67, 0xe0, v67, v69
	v_or_b32_e32 v69, v167, v222
	v_readfirstlane_b32 s5, v62
	v_mul_f32_e32 v62, 0x4f7ffffe, v66
	v_mul_lo_u32 v66, s1, v65
	v_mul_u32_u24_e32 v229, 0x110, v31
	v_lshlrev_b32_e32 v69, 3, v69
	v_ashrrev_i32_e32 v31, 31, v30
	v_cvt_u32_f32_e32 v62, v62
	v_cmp_eq_u32_e64 s1, 1, v168
	v_lshlrev_b64 v[169:170], 2, v[4:5]
	v_add_co_u32 v68, s3, s3, v69
	v_mul_hi_u32 v66, v65, v66
	v_add_co_ci_u32_e64 v69, null, s4, 0, s3
	v_readfirstlane_b32 s6, v62
	v_or_b32_e32 v62, v35, v33
	s_clause 0x1
	scratch_store_b32 off, v0, off offset:208
	scratch_store_b64 off, v[68:69], off offset:504
	v_bfe_u32 v68, v204, 1, 4
	v_add_nc_u32_e32 v226, v65, v66
	v_mul_u32_u24_e32 v66, 0x44, v204
	v_or_b32_e32 v65, v35, v222
	v_mad_u32_u24 v62, 0x44, v62, v244
	v_add_nc_u32_e32 v35, v35, v222
	v_add_nc_u32_e32 v69, 32, v222
	v_lshl_add_u32 v202, v66, 2, v242
	v_and_or_b32 v66, 0x60, v204, v68
	v_mul_u32_u24_e32 v227, 0x110, v65
	v_lshlrev_b32_e32 v65, 1, v38
	v_lshl_add_u32 v232, v62, 2, 0
	v_mul_u32_u24_e32 v228, 0x110, v35
	v_mul_u32_u24_e32 v62, 0x44, v66
	v_lshrrev_b32_e32 v0, 3, v204
	v_and_or_b32 v35, 0xe0, v65, v68
	v_mad_u32_u24 v65, 0x44, v66, v69
	s_sub_i32 s3, 0, s84
	v_lshl_add_u32 v62, v62, 2, v242
	s_clause 0x1
	scratch_store_b32 off, v167, off offset:552
	scratch_store_b32 off, v0, off offset:248
	v_lshrrev_b32_e32 v0, 2, v36
	s_clause 0x1
	scratch_store_b32 off, v70, off offset:576
	scratch_store_b32 off, v62, off offset:284
	v_lshl_add_u32 v62, v65, 2, 0
	s_clause 0x1
	scratch_store_b32 off, v168, off offset:556
	scratch_store_b32 off, v0, off offset:292
	v_and_b32_e32 v0, 3, v36
	s_clause 0x1
	scratch_store_b32 off, v37, off offset:524
	scratch_store_b32 off, v62, off offset:288
	s_mul_i32 s3, s3, s5
	s_sub_i32 s4, 0, s87
	scratch_store_b64 off, v[0:1], off offset:268 ; 8-byte Folded Spill
	v_lshrrev_b32_e32 v0, 2, v39
	s_mul_hi_u32 s3, s5, s3
	s_mul_i32 s4, s4, s7
	s_add_i32 s90, s5, s3
	s_sub_i32 s3, 0, s86
	scratch_store_b32 off, v0, off offset:548 ; 4-byte Folded Spill
	v_and_b32_e32 v0, 3, v39
	s_mul_i32 s3, s3, s6
	v_lshlrev_b64 v[144:145], 2, v[30:31]
	s_mul_hi_u32 s3, s6, s3
	v_lshlrev_b64 v[167:168], 2, v[2:3]
	scratch_store_b64 off, v[0:1], off offset:528 ; 8-byte Folded Spill
	v_lshrrev_b32_e32 v0, 2, v43
	s_add_i32 s92, s6, s3
	s_mul_hi_u32 s3, s7, s4
	v_lshlrev_b64 v[171:172], 2, v[6:7]
	s_add_i32 s3, s7, s3
	scratch_store_b32 off, v0, off offset:620 ; 4-byte Folded Spill
	v_and_b32_e32 v0, 3, v43
	v_writelane_b32 v255, s3, 7
	v_ashrrev_i32_e32 v9, 31, v8
	v_ashrrev_i32_e32 v11, 31, v10
	v_ashrrev_i32_e32 v15, 31, v14
	scratch_store_b64 off, v[0:1], off offset:600 ; 8-byte Folded Spill
	v_lshrrev_b32_e32 v0, 2, v48
	v_lshlrev_b64 v[173:174], 2, v[8:9]
	v_lshlrev_b64 v[175:176], 2, v[10:11]
	;; [unrolled: 1-line block ×3, first 2 shown]
	v_ashrrev_i32_e32 v17, 31, v16
	scratch_store_b32 off, v0, off offset:660 ; 4-byte Folded Spill
	v_and_b32_e32 v0, 3, v48
	v_mul_u32_u24_e32 v66, 0x110, v66
	v_mul_u32_u24_e32 v37, 0x44, v41
	v_lshlrev_b64 v[179:180], 2, v[16:17]
	v_mad_u32_u24 v68, 0x44, v40, v69
	scratch_store_b64 off, v[0:1], off offset:640 ; 8-byte Folded Spill
	v_lshrrev_b32_e32 v0, 2, v47
	v_lshl_add_u32 v37, v37, 2, v242
	v_mad_u32_u24 v62, 0x44, v42, v69
	s_lshl_b64 s[4:5], s[82:83], 1
	v_mul_lo_u32 v148, v221, s41
	scratch_store_b32 off, v0, off offset:700 ; 4-byte Folded Spill
	v_and_b32_e32 v0, 3, v47
	v_writelane_b32 v255, s4, 8
	v_cmp_gt_u32_e64 s2, 16, v222
	v_mul_u32_u24_e32 v203, 0x110, v33
	v_mad_u32_u24 v241, 0x110, v33, 0
	scratch_store_b64 off, v[0:1], off offset:680 ; 8-byte Folded Spill
	v_lshrrev_b32_e32 v0, 2, v54
	v_writelane_b32 v255, s5, 9
	v_lshlrev_b32_e32 v253, 4, v33
	v_lshlrev_b32_e32 v254, 2, v34
	;; [unrolled: 1-line block ×3, first 2 shown]
	scratch_store_b32 off, v0, off offset:740 ; 4-byte Folded Spill
	v_and_b32_e32 v0, 3, v54
	v_mul_u32_u24_e32 v251, 0x90, v204
	v_xor_b32_e32 v240, 1, v244
	v_add_nc_u32_e32 v150, 0x880, v236
	v_add_nc_u32_e32 v187, 0x1100, v236
	scratch_store_b64 off, v[0:1], off offset:720 ; 8-byte Folded Spill
	v_lshrrev_b32_e32 v0, 2, v63
	v_add_nc_u32_e32 v188, 0x1980, v236
	v_add_nc_u32_e32 v196, 0x2200, v236
	;; [unrolled: 1-line block ×4, first 2 shown]
	scratch_store_b32 off, v0, off offset:780 ; 4-byte Folded Spill
	v_and_b32_e32 v0, 3, v63
	v_add_nc_u32_e32 v208, 0x3b80, v236
	v_add_nc_u32_e32 v243, 0x4400, v209
	;; [unrolled: 1-line block ×4, first 2 shown]
	scratch_store_b64 off, v[0:1], off offset:760 ; 8-byte Folded Spill
	v_lshrrev_b32_e32 v0, 2, v61
	v_add_nc_u32_e32 v237, 0x80, v210
	v_add_nc_u32_e32 v239, 0xc0, v210
	v_writelane_b32 v255, s41, 10
	v_lshrrev_b32_e32 v181, 2, v220
	scratch_store_b32 off, v0, off offset:820 ; 4-byte Folded Spill
	v_and_b32_e32 v0, 3, v61
	v_add_nc_u32_e32 v182, 0x440, v202
	v_lshrrev_b32_e32 v183, 2, v75
	v_lshrrev_b32_e32 v184, 2, v74
	;; [unrolled: 1-line block ×3, first 2 shown]
	scratch_store_b64 off, v[0:1], off offset:800 ; 8-byte Folded Spill
	v_add_co_u32 v0, s3, s22, v32
	scratch_store_b32 off, v71, off offset:580 ; 4-byte Folded Spill
	v_lshrrev_b32_e32 v186, 2, v72
	v_lshrrev_b32_e32 v191, 2, v71
	scratch_store_b32 off, v0, off offset:368 ; 4-byte Folded Spill
	v_add_co_ci_u32_e64 v0, null, s23, 0, s3
	scratch_store_b32 off, v72, off offset:584 ; 4-byte Folded Spill
	v_lshrrev_b32_e32 v192, 2, v70
	v_mbcnt_lo_u32_b32 v193, -1, 0
	scratch_store_b32 off, v0, off offset:372 ; 4-byte Folded Spill
	v_add_co_u32 v0, vcc_lo, s20, v234
	scratch_store_b32 off, v73, off offset:588 ; 4-byte Folded Spill
	s_mul_i32 s54, s8, s9
	s_ashr_i32 s89, s77, 31
	scratch_store_b32 off, v0, off offset:376 ; 4-byte Folded Spill
	v_add_co_ci_u32_e32 v0, vcc_lo, s21, v235, vcc_lo
	scratch_store_b32 off, v74, off offset:592 ; 4-byte Folded Spill
	s_ashr_i32 s91, s78, 31
	s_ashr_i32 s93, s75, 31
	scratch_store_b32 off, v0, off offset:380 ; 4-byte Folded Spill
	v_add_co_u32 v0, vcc_lo, s20, v245
	scratch_store_b32 off, v75, off offset:596 ; 4-byte Folded Spill
	s_lshl_b64 s[68:69], s[10:11], 8
	s_lshl_b64 s[70:71], s[12:13], 8
	scratch_store_b32 off, v0, off offset:384 ; 4-byte Folded Spill
	v_add_co_ci_u32_e32 v0, vcc_lo, s21, v246, vcc_lo
	s_mov_b32 s36, s65
	s_mov_b32 s37, s65
	;; [unrolled: 1-line block ×3, first 2 shown]
	scratch_store_b32 off, v0, off offset:388 ; 4-byte Folded Spill
	v_add_co_u32 v0, vcc_lo, s20, v247
	s_mov_b32 s39, s65
	s_mov_b32 s40, s65
	s_mov_b32 s41, s65
	scratch_store_b32 off, v0, off offset:392 ; 4-byte Folded Spill
	v_add_co_ci_u32_e32 v0, vcc_lo, s21, v248, vcc_lo
	s_mov_b32 s42, s65
	s_mov_b32 s43, s65
	s_clause 0x1
	scratch_store_b32 off, v37, off offset:540
	scratch_store_b32 off, v0, off offset:396
	v_add_co_u32 v0, vcc_lo, s20, v249
	scratch_store_b32 off, v0, off offset:400 ; 4-byte Folded Spill
	v_add_co_ci_u32_e32 v0, vcc_lo, s21, v250, vcc_lo
	scratch_store_b32 off, v0, off offset:404 ; 4-byte Folded Spill
	v_add_co_u32 v0, vcc_lo, s20, v138
	scratch_store_b32 off, v0, off offset:408 ; 4-byte Folded Spill
	v_add_co_ci_u32_e32 v0, vcc_lo, s21, v139, vcc_lo
	scratch_store_b32 off, v0, off offset:412 ; 4-byte Folded Spill
	;; [unrolled: 4-line block ×13, first 2 shown]
	v_bfe_u32 v0, v204, 1, 2
	scratch_store_b32 off, v66, off offset:280 ; 4-byte Folded Spill
	v_mul_u32_u24_e32 v66, 0x44, v40
	v_mul_u32_u24_e32 v40, 0x110, v40
	s_clause 0x1
	scratch_store_b64 off, v[0:1], off offset:188
	scratch_store_b32 off, v40, off offset:512
	v_lshl_add_u32 v40, v66, 2, v242
	scratch_store_b32 off, v40, off offset:516 ; 4-byte Folded Spill
	v_lshl_add_u32 v40, v68, 2, 0
	scratch_store_b32 off, v40, off offset:520 ; 4-byte Folded Spill
	v_mad_u32_u24 v40, 0x44, v41, v69
	v_mul_u32_u24_e32 v41, 0x110, v41
	s_delay_alu instid0(VALU_DEP_2)
	v_lshl_add_u32 v37, v40, 2, 0
	scratch_store_b32 off, v41, off offset:536 ; 4-byte Folded Spill
	v_mul_u32_u24_e32 v41, 0x44, v42
	v_mad_u32_u24 v40, 0x44, v44, v69
	scratch_store_b32 off, v37, off offset:544 ; 4-byte Folded Spill
	v_mul_u32_u24_e32 v37, 0x110, v42
	v_mad_u32_u24 v42, 0x44, v49, v69
	scratch_store_b32 off, v37, off offset:560 ; 4-byte Folded Spill
	v_lshl_add_u32 v37, v41, 2, v242
	v_mul_u32_u24_e32 v41, 0x110, v44
	scratch_store_b32 off, v37, off offset:564 ; 4-byte Folded Spill
	v_lshl_add_u32 v37, v62, 2, 0
	scratch_store_b32 off, v37, off offset:568 ; 4-byte Folded Spill
	v_lshrrev_b32_e32 v37, 2, v46
	scratch_store_b32 off, v37, off offset:572 ; 4-byte Folded Spill
	v_mul_u32_u24_e32 v37, 0x44, v44
	s_delay_alu instid0(VALU_DEP_1)
	v_lshl_add_u32 v37, v37, 2, v242
	scratch_store_b32 off, v41, off offset:608 ; 4-byte Folded Spill
	v_mul_u32_u24_e32 v41, 0x44, v49
	scratch_store_b32 off, v37, off offset:612 ; 4-byte Folded Spill
	v_lshl_add_u32 v37, v40, 2, 0
	v_mad_u32_u24 v40, 0x44, v50, v69
	scratch_store_b32 off, v37, off offset:616 ; 4-byte Folded Spill
	v_mul_u32_u24_e32 v37, 0x110, v49
	scratch_store_b32 off, v37, off offset:624 ; 4-byte Folded Spill
	v_lshl_add_u32 v37, v41, 2, v242
	v_mul_u32_u24_e32 v41, 0x110, v50
	scratch_store_b32 off, v37, off offset:628 ; 4-byte Folded Spill
	v_lshl_add_u32 v37, v42, 2, 0
	v_mad_u32_u24 v42, 0x44, v51, v69
	scratch_store_b32 off, v37, off offset:632 ; 4-byte Folded Spill
	v_lshrrev_b32_e32 v37, 2, v45
	scratch_store_b32 off, v37, off offset:636 ; 4-byte Folded Spill
	v_mul_u32_u24_e32 v37, 0x44, v50
	s_delay_alu instid0(VALU_DEP_1)
	v_lshl_add_u32 v37, v37, 2, v242
	scratch_store_b32 off, v41, off offset:648 ; 4-byte Folded Spill
	v_mul_u32_u24_e32 v41, 0x44, v51
	scratch_store_b32 off, v37, off offset:652 ; 4-byte Folded Spill
	v_lshl_add_u32 v37, v40, 2, 0
	v_mad_u32_u24 v40, 0x44, v53, v69
	scratch_store_b32 off, v37, off offset:656 ; 4-byte Folded Spill
	v_mul_u32_u24_e32 v37, 0x110, v51
	scratch_store_b32 off, v37, off offset:664 ; 4-byte Folded Spill
	v_lshl_add_u32 v37, v41, 2, v242
	scratch_store_b32 off, v37, off offset:668 ; 4-byte Folded Spill
	v_lshl_add_u32 v37, v42, 2, 0
	scratch_store_b32 off, v37, off offset:672 ; 4-byte Folded Spill
	v_lshrrev_b32_e32 v37, 2, v38
	v_mad_u32_u24 v38, 0x44, v35, v69
	scratch_store_b32 off, v37, off offset:676 ; 4-byte Folded Spill
	v_mul_u32_u24_e32 v37, 0x44, v35
	v_mul_u32_u24_e32 v35, 0x110, v35
	s_delay_alu instid0(VALU_DEP_2) | instskip(SKIP_2) | instid1(VALU_DEP_1)
	v_lshl_add_u32 v37, v37, 2, v242
	scratch_store_b32 off, v35, off offset:688 ; 4-byte Folded Spill
	v_mul_u32_u24_e32 v35, 0x44, v53
	v_lshl_add_u32 v35, v35, 2, v242
	scratch_store_b32 off, v37, off offset:692 ; 4-byte Folded Spill
	v_lshl_add_u32 v37, v38, 2, 0
	v_mul_u32_u24_e32 v38, 0x110, v55
	scratch_store_b32 off, v35, off offset:708 ; 4-byte Folded Spill
	v_lshl_add_u32 v35, v40, 2, 0
	scratch_store_b32 off, v37, off offset:696 ; 4-byte Folded Spill
	v_mul_u32_u24_e32 v37, 0x110, v53
	v_mad_u32_u24 v40, 0x44, v57, v69
	scratch_store_b32 off, v35, off offset:712 ; 4-byte Folded Spill
	v_lshrrev_b32_e32 v35, 2, v52
	scratch_store_b32 off, v37, off offset:704 ; 4-byte Folded Spill
	v_mad_u32_u24 v37, 0x44, v55, v69
	scratch_store_b32 off, v35, off offset:716 ; 4-byte Folded Spill
	v_mul_u32_u24_e32 v35, 0x44, v55
	s_delay_alu instid0(VALU_DEP_1)
	v_lshl_add_u32 v35, v35, 2, v242
	scratch_store_b32 off, v38, off offset:728 ; 4-byte Folded Spill
	v_mul_u32_u24_e32 v38, 0x44, v57
	scratch_store_b32 off, v35, off offset:732 ; 4-byte Folded Spill
	v_lshl_add_u32 v35, v37, 2, 0
	v_lshrrev_b32_e32 v37, 2, v56
	s_clause 0x1
	scratch_store_b32 off, v35, off offset:736
	scratch_store_b32 off, v37, off offset:756
	v_mul_u32_u24_e32 v35, 0x110, v57
	v_mad_u32_u24 v37, 0x44, v58, v69
	s_delay_alu instid0(VALU_DEP_1)
	v_lshl_add_u32 v37, v37, 2, 0
	scratch_store_b32 off, v35, off offset:744 ; 4-byte Folded Spill
	v_lshl_add_u32 v35, v38, 2, v242
	v_mul_u32_u24_e32 v38, 0x110, v58
	scratch_store_b32 off, v37, off offset:776 ; 4-byte Folded Spill
	v_mul_u32_u24_e32 v37, 0x110, v59
	scratch_store_b32 off, v35, off offset:748 ; 4-byte Folded Spill
	v_lshl_add_u32 v35, v40, 2, 0
	s_clause 0x1
	scratch_store_b32 off, v37, off offset:784
	scratch_store_b32 off, v35, off offset:752
	v_mul_u32_u24_e32 v35, 0x44, v58
	s_delay_alu instid0(VALU_DEP_1) | instskip(SKIP_2) | instid1(VALU_DEP_1)
	v_lshl_add_u32 v35, v35, 2, v242
	scratch_store_b32 off, v38, off offset:768 ; 4-byte Folded Spill
	v_mul_u32_u24_e32 v38, 0x44, v59
	v_lshl_add_u32 v37, v38, 2, v242
	scratch_store_b32 off, v35, off offset:772 ; 4-byte Folded Spill
	v_mad_u32_u24 v35, 0x44, v59, v69
	v_lshrrev_b32_e32 v38, 2, v60
	s_delay_alu instid0(VALU_DEP_2)
	v_lshl_add_u32 v35, v35, 2, 0
	scratch_store_b32 off, v37, off offset:788 ; 4-byte Folded Spill
	v_mul_u32_u24_e32 v37, 0x44, v64
	scratch_store_b32 off, v35, off offset:792 ; 4-byte Folded Spill
	v_mad_u32_u24 v35, 0x44, v64, v69
	v_lshl_add_u32 v37, v37, 2, v242
	scratch_store_b32 off, v38, off offset:796 ; 4-byte Folded Spill
	v_mul_u32_u24_e32 v38, 0x110, v64
	v_lshl_add_u32 v35, v35, 2, 0
	scratch_store_b32 off, v38, off offset:808 ; 4-byte Folded Spill
	v_mul_u32_u24_e32 v38, 0x110, v67
	scratch_store_b32 off, v37, off offset:812 ; 4-byte Folded Spill
	v_mul_u32_u24_e32 v37, 0x44, v67
	scratch_store_b32 off, v38, off offset:824 ; 4-byte Folded Spill
	v_lshl_add_u32 v37, v37, 2, v242
	scratch_store_b32 off, v35, off offset:816 ; 4-byte Folded Spill
	v_mad_u32_u24 v35, 0x44, v67, v69
	s_delay_alu instid0(VALU_DEP_1)
	v_lshl_add_u32 v35, v35, 2, 0
	s_clause 0x1f
	scratch_store_b32 off, v37, off offset:828
	scratch_store_b32 off, v35, off offset:832
	scratch_store_b64 off, v[138:139], off offset:28
	scratch_store_b64 off, v[140:141], off offset:36
	;; [unrolled: 1-line block ×12, first 2 shown]
	scratch_store_b32 off, v150, off
	scratch_store_b32 off, v187, off offset:4
	scratch_store_b32 off, v188, off offset:8
	;; [unrolled: 1-line block ×17, first 2 shown]
	s_clause 0xe
	scratch_store_b32 off, v219, off offset:300
	scratch_store_b32 off, v221, off offset:304
	;; [unrolled: 1-line block ×10, first 2 shown]
	scratch_store_b64 off, v[234:235], off offset:332
	scratch_store_b64 off, v[245:246], off offset:340
	;; [unrolled: 1-line block ×4, first 2 shown]
	scratch_store_b32 off, v206, off offset:364
	s_branch .LBB24_12
.LBB24_10:                              ;   in Loop: Header=BB24_12 Depth=1
	s_or_b32 exec_lo, exec_lo, s7
	s_waitcnt_vscnt null, 0x0
	s_barrier
.LBB24_11:                              ;   in Loop: Header=BB24_12 Depth=1
	s_add_i32 s3, s58, s80
	s_mov_b32 s100, 0
	s_abs_i32 s4, s3
	s_waitcnt_vscnt null, 0x0
	buffer_gl0_inv
	s_mul_hi_u32 s5, s4, s79
	s_delay_alu instid0(SALU_CYCLE_1) | instskip(NEXT) | instid1(SALU_CYCLE_1)
	s_mul_i32 s5, s5, s81
	s_sub_i32 s4, s4, s5
	s_ashr_i32 s5, s3, 31
	s_sub_i32 s6, s4, s81
	s_cmp_ge_u32 s4, s81
	s_cselect_b32 s4, s6, s4
	s_delay_alu instid0(SALU_CYCLE_1) | instskip(SKIP_2) | instid1(SALU_CYCLE_1)
	s_sub_i32 s6, s4, s81
	s_cmp_ge_u32 s4, s81
	s_cselect_b32 s4, s6, s4
	s_xor_b32 s4, s4, s5
	s_delay_alu instid0(SALU_CYCLE_1) | instskip(NEXT) | instid1(SALU_CYCLE_1)
	s_sub_i32 s4, s5, s4
	s_add_i32 s58, s3, s4
	s_delay_alu instid0(SALU_CYCLE_1) | instskip(NEXT) | instid1(SALU_CYCLE_1)
	s_sub_i32 s4, s62, s58
	s_min_i32 s99, s80, s4
	s_cmp_gt_i32 s62, s58
	s_cselect_b32 s3, -1, 0
	s_cmp_le_i32 s80, s4
	s_cselect_b32 s4, -1, 0
	s_delay_alu instid0(SALU_CYCLE_1) | instskip(NEXT) | instid1(SALU_CYCLE_1)
	s_and_b32 s4, s4, s3
	s_and_b32 vcc_lo, exec_lo, s4
	s_cbranch_vccz .LBB24_269
.LBB24_12:                              ; =>This Loop Header: Depth=1
                                        ;     Child Loop BB24_181 Depth 2
                                        ;     Child Loop BB24_53 Depth 2
	s_abs_i32 s3, s58
	s_ashr_i32 s5, s58, 31
	s_mul_hi_u32 s4, s3, s90
	s_xor_b32 s5, s5, s89
	s_mul_i32 s6, s4, s84
	s_delay_alu instid0(SALU_CYCLE_1)
	s_sub_i32 s3, s3, s6
	s_add_i32 s6, s4, 1
	s_sub_i32 s7, s3, s84
	s_cmp_ge_u32 s3, s84
	s_cselect_b32 s4, s6, s4
	s_cselect_b32 s3, s7, s3
	s_add_i32 s6, s4, 1
	s_cmp_ge_u32 s3, s84
	s_cselect_b32 s3, s6, s4
	s_delay_alu instid0(SALU_CYCLE_1) | instskip(NEXT) | instid1(SALU_CYCLE_1)
	s_xor_b32 s3, s3, s5
	s_sub_i32 s3, s3, s5
	s_delay_alu instid0(SALU_CYCLE_1) | instskip(NEXT) | instid1(SALU_CYCLE_1)
	s_mul_i32 s4, s3, s77
	s_sub_i32 s5, s58, s4
	s_delay_alu instid0(SALU_CYCLE_1) | instskip(SKIP_4) | instid1(SALU_CYCLE_1)
	s_abs_i32 s4, s5
	s_ashr_i32 s7, s5, 31
	s_mul_hi_u32 s6, s4, s92
	s_xor_b32 s7, s7, s91
	s_mul_i32 s14, s6, s86
	s_sub_i32 s4, s4, s14
	s_add_i32 s14, s6, 1
	s_sub_i32 s15, s4, s86
	s_cmp_ge_u32 s4, s86
	s_cselect_b32 s6, s14, s6
	s_cselect_b32 s4, s15, s4
	s_add_i32 s14, s6, 1
	s_cmp_ge_u32 s4, s86
	s_cselect_b32 s4, s14, s6
	s_delay_alu instid0(SALU_CYCLE_1) | instskip(NEXT) | instid1(SALU_CYCLE_1)
	s_xor_b32 s4, s4, s7
	s_sub_i32 s4, s4, s7
	v_readlane_b32 s7, v255, 7
	s_mul_i32 s6, s4, s78
	s_delay_alu instid0(SALU_CYCLE_1) | instskip(NEXT) | instid1(SALU_CYCLE_1)
	s_sub_i32 s6, s5, s6
	s_abs_i32 s5, s6
	s_ashr_i32 s14, s6, 31
	s_mul_hi_u32 s7, s5, s7
	s_xor_b32 s14, s14, s93
	s_mul_i32 s15, s7, s87
	s_delay_alu instid0(SALU_CYCLE_1)
	s_sub_i32 s5, s5, s15
	s_add_i32 s15, s7, 1
	s_sub_i32 s46, s5, s87
	s_cmp_ge_u32 s5, s87
	s_cselect_b32 s7, s15, s7
	s_cselect_b32 s5, s46, s5
	s_add_i32 s15, s7, 1
	s_cmp_ge_u32 s5, s87
	v_readlane_b32 s46, v255, 0
	s_cselect_b32 s5, s15, s7
	s_delay_alu instid0(SALU_CYCLE_1) | instskip(NEXT) | instid1(SALU_CYCLE_1)
	s_xor_b32 s5, s5, s14
	s_sub_i32 s5, s5, s14
	s_delay_alu instid0(SALU_CYCLE_1) | instskip(NEXT) | instid1(SALU_CYCLE_1)
	s_mul_i32 s7, s5, s75
	s_sub_i32 s6, s6, s7
	s_delay_alu instid0(SALU_CYCLE_1) | instskip(SKIP_4) | instid1(SALU_CYCLE_1)
	s_abs_i32 s7, s6
	s_ashr_i32 s6, s6, 31
	s_mul_hi_u32 s14, s7, s79
	s_xor_b32 s6, s6, s46
	s_mul_i32 s15, s14, s81
	s_sub_i32 s7, s7, s15
	s_add_i32 s15, s14, 1
	s_sub_i32 s46, s7, s81
	s_cmp_ge_u32 s7, s81
	s_cselect_b32 s14, s15, s14
	s_cselect_b32 s7, s46, s7
	s_add_i32 s15, s14, 1
	s_cmp_ge_u32 s7, s81
	s_cselect_b32 s7, s15, s14
	s_and_not1_b32 vcc_lo, exec_lo, s88
	s_xor_b32 s7, s7, s6
	s_delay_alu instid0(SALU_CYCLE_1)
	s_sub_i32 s46, s7, s6
	s_cbranch_vccnz .LBB24_14
; %bb.13:                               ;   in Loop: Header=BB24_12 Depth=1
	s_mul_i32 s6, s3, s76
	s_delay_alu instid0(SALU_CYCLE_1) | instskip(NEXT) | instid1(SALU_CYCLE_1)
	s_add_i32 s6, s46, s6
	s_ashr_i32 s7, s6, 31
	s_delay_alu instid0(SALU_CYCLE_1) | instskip(NEXT) | instid1(SALU_CYCLE_1)
	s_lshl_b64 s[6:7], s[6:7], 2
	s_add_u32 s6, s26, s6
	s_addc_u32 s7, s27, s7
	global_load_b32 v0, v238, s[6:7]
	s_waitcnt vmcnt(0)
	v_readfirstlane_b32 s6, v0
	s_delay_alu instid0(VALU_DEP_1) | instskip(NEXT) | instid1(SALU_CYCLE_1)
	s_ashr_i32 s7, s6, 31
	s_lshr_b32 s7, s7, 26
	s_delay_alu instid0(SALU_CYCLE_1) | instskip(NEXT) | instid1(SALU_CYCLE_1)
	s_add_i32 s6, s6, s7
	s_ashr_i32 s6, s6, 6
	s_delay_alu instid0(SALU_CYCLE_1)
	s_min_i32 s99, s99, s6
.LBB24_14:                              ;   in Loop: Header=BB24_12 Depth=1
	s_mul_i32 s6, s4, s33
	s_lshl_b32 s94, s5, 2
	s_mul_i32 s5, s3, s57
	s_add_i32 s6, s94, s6
	s_ashr_i32 s7, s5, 31
	s_mul_i32 s14, s6, s56
	s_add_u32 s5, s16, s5
	s_addc_u32 s7, s17, s7
	s_ashr_i32 s15, s14, 31
	v_readlane_b32 s48, v255, 1
	s_add_u32 s14, s5, s14
	v_readlane_b32 s49, v255, 2
	s_addc_u32 s15, s7, s15
	s_mul_i32 s5, s3, s45
	s_mul_hi_u32 s7, s3, s44
	s_ashr_i32 s55, s3, 31
	s_add_i32 s5, s7, s5
	s_mul_i32 s7, s55, s44
	s_mul_i32 s102, s3, s44
	s_add_i32 s101, s5, s7
	s_mul_i32 s103, s4, s49
	s_add_u32 s5, s18, s102
	s_addc_u32 s7, s19, s101
	s_ashr_i32 s104, s103, 31
	s_add_u32 s97, s5, s103
	s_addc_u32 s98, s7, s104
	s_abs_i32 s5, s3
	s_mul_i32 s7, s3, s51
	v_mul_hi_u32 v0, s5, v226
	s_mul_hi_u32 s60, s3, s50
	v_or_b32_e32 v147, s94, v221
	s_delay_alu instid0(VALU_DEP_2) | instskip(NEXT) | instid1(VALU_DEP_1)
	v_mul_lo_u32 v0, v0, s85
	v_sub_nc_u32_e32 v0, s5, v0
	s_mul_i32 s5, s54, s3
	s_delay_alu instid0(SALU_CYCLE_1) | instskip(NEXT) | instid1(VALU_DEP_1)
	s_add_i32 s5, s6, s5
	v_subrev_nc_u32_e32 v1, s85, v0
	v_cmp_le_u32_e32 vcc_lo, s85, v0
	s_lshl_b32 s64, s5, 6
	s_delay_alu instid0(SALU_CYCLE_1)
	s_lshl_b64 s[66:67], s[64:65], 3
	s_mul_i32 s64, s4, s47
	v_cndmask_b32_e32 v0, v0, v1, vcc_lo
	s_add_u32 s83, s28, s66
	s_addc_u32 s67, s29, s67
	s_add_i32 s5, s60, s7
	s_delay_alu instid0(VALU_DEP_1) | instskip(SKIP_3) | instid1(SALU_CYCLE_1)
	v_subrev_nc_u32_e32 v1, s85, v0
	v_cmp_le_u32_e32 vcc_lo, s85, v0
	s_mul_i32 vcc_hi, s3, s50
	s_mul_i32 s3, s55, s50
	s_add_i32 s60, s5, s3
	v_cndmask_b32_e32 v0, v0, v1, vcc_lo
	s_add_u32 s3, s20, vcc_hi
	s_addc_u32 s4, s21, s60
	s_ashr_i32 s63, s64, 31
	s_add_u32 s95, s3, s64
	v_xor_b32_e32 v0, s55, v0
	s_addc_u32 s96, s4, s63
	s_ashr_i32 s7, s6, 31
	s_delay_alu instid0(SALU_CYCLE_1) | instskip(NEXT) | instid1(VALU_DEP_1)
	s_lshl_b64 s[4:5], s[6:7], 2
	v_subrev_nc_u32_e32 v0, s55, v0
	s_add_u32 s3, s24, s4
	s_addc_u32 s4, s25, s5
	s_and_b32 s5, s61, exec_lo
	s_cselect_b32 s73, 0, s4
	v_ashrrev_i32_e32 v1, 31, v0
	v_mul_lo_u32 v2, v0, s53
	v_mul_hi_u32 v3, v0, s52
	v_mul_lo_u32 v155, v0, s52
	s_cselect_b32 s72, 0, s3
	v_mul_lo_u32 v1, v1, s52
	s_cmp_lg_u32 s100, 0
	s_delay_alu instid0(VALU_DEP_3) | instskip(NEXT) | instid1(VALU_DEP_3)
	v_add_nc_u32_e32 v0, v3, v2
	v_add_co_u32 v152, vcc_lo, s22, v155
	s_delay_alu instid0(VALU_DEP_2) | instskip(NEXT) | instid1(VALU_DEP_1)
	v_add_nc_u32_e32 v156, v0, v1
	v_add_co_ci_u32_e32 v151, vcc_lo, s23, v156, vcc_lo
	v_cmp_gt_i32_e32 vcc_lo, s33, v147
	s_cbranch_scc0 .LBB24_49
; %bb.15:                               ;   in Loop: Header=BB24_12 Depth=1
	s_lshl_b32 s66, s46, 3
	s_xor_b32 s4, vcc_lo, -1
	v_add_nc_u32_e32 v0, s66, v233
	s_delay_alu instid0(VALU_DEP_1) | instskip(NEXT) | instid1(VALU_DEP_1)
	v_cmp_le_i32_e64 s3, s8, v0
	s_or_b32 s3, s3, s4
	s_delay_alu instid0(SALU_CYCLE_1) | instskip(NEXT) | instid1(SALU_CYCLE_1)
	s_and_saveexec_b32 s5, s3
	s_xor_b32 s3, exec_lo, s5
	s_cbranch_execz .LBB24_17
; %bb.16:                               ;   in Loop: Header=BB24_12 Depth=1
	ds_store_2addr_b32 v202, v238, v238 offset1:32
                                        ; implicit-def: $vgpr0
.LBB24_17:                              ;   in Loop: Header=BB24_12 Depth=1
	s_and_not1_saveexec_b32 s3, s3
	s_cbranch_execz .LBB24_19
; %bb.18:                               ;   in Loop: Header=BB24_12 Depth=1
	v_mul_lo_u32 v0, v0, s59
	s_delay_alu instid0(VALU_DEP_1) | instskip(NEXT) | instid1(VALU_DEP_1)
	v_add3_u32 v0, v0, v148, v222
	v_ashrrev_i32_e32 v1, 31, v0
	s_delay_alu instid0(VALU_DEP_1) | instskip(NEXT) | instid1(VALU_DEP_1)
	v_lshlrev_b64 v[0:1], 3, v[0:1]
	v_add_co_u32 v0, vcc_lo, s14, v0
	s_delay_alu instid0(VALU_DEP_2)
	v_add_co_ci_u32_e32 v1, vcc_lo, s15, v1, vcc_lo
	s_clause 0x1
	global_load_b64 v[2:3], v[0:1], off
	global_load_b64 v[0:1], v[0:1], off offset:256
	s_waitcnt vmcnt(1)
	v_cvt_f16_f32_e32 v2, v2
	v_cvt_f16_f32_e32 v3, v3
	s_waitcnt vmcnt(0)
	v_cvt_f16_f32_e32 v0, v0
	v_cvt_f16_f32_e32 v1, v1
	s_delay_alu instid0(VALU_DEP_3) | instskip(NEXT) | instid1(VALU_DEP_2)
	v_pack_b32_f16 v2, v2, v3
	v_pack_b32_f16 v0, v0, v1
	s_delay_alu instid0(VALU_DEP_2) | instskip(NEXT) | instid1(VALU_DEP_2)
	v_pk_mul_f16 v1, v219, v2
	v_pk_mul_f16 v0, v219, v0
	ds_store_2addr_b32 v202, v1, v0 offset1:32
.LBB24_19:                              ;   in Loop: Header=BB24_12 Depth=1
	s_or_b32 exec_lo, exec_lo, s3
	v_add_nc_u32_e32 v0, s66, v181
	s_delay_alu instid0(VALU_DEP_1) | instskip(SKIP_1) | instid1(SALU_CYCLE_1)
	v_cmp_le_i32_e32 vcc_lo, s8, v0
	s_or_b32 s3, vcc_lo, s4
	s_and_saveexec_b32 s5, s3
	s_delay_alu instid0(SALU_CYCLE_1)
	s_xor_b32 s3, exec_lo, s5
	s_cbranch_execz .LBB24_21
; %bb.20:                               ;   in Loop: Header=BB24_12 Depth=1
	ds_store_2addr_b32 v182, v238, v238 offset1:32
                                        ; implicit-def: $vgpr0
.LBB24_21:                              ;   in Loop: Header=BB24_12 Depth=1
	s_and_not1_saveexec_b32 s3, s3
	s_cbranch_execz .LBB24_23
; %bb.22:                               ;   in Loop: Header=BB24_12 Depth=1
	v_mul_lo_u32 v0, v0, s59
	s_delay_alu instid0(VALU_DEP_1) | instskip(NEXT) | instid1(VALU_DEP_1)
	v_add3_u32 v0, v0, v148, v222
	v_ashrrev_i32_e32 v1, 31, v0
	s_delay_alu instid0(VALU_DEP_1) | instskip(NEXT) | instid1(VALU_DEP_1)
	v_lshlrev_b64 v[0:1], 3, v[0:1]
	v_add_co_u32 v0, vcc_lo, s14, v0
	s_delay_alu instid0(VALU_DEP_2)
	v_add_co_ci_u32_e32 v1, vcc_lo, s15, v1, vcc_lo
	s_clause 0x1
	global_load_b64 v[2:3], v[0:1], off
	global_load_b64 v[0:1], v[0:1], off offset:256
	s_waitcnt vmcnt(1)
	v_cvt_f16_f32_e32 v2, v2
	v_cvt_f16_f32_e32 v3, v3
	s_waitcnt vmcnt(0)
	v_cvt_f16_f32_e32 v0, v0
	v_cvt_f16_f32_e32 v1, v1
	s_delay_alu instid0(VALU_DEP_3) | instskip(NEXT) | instid1(VALU_DEP_2)
	v_pack_b32_f16 v2, v2, v3
	v_pack_b32_f16 v0, v0, v1
	s_delay_alu instid0(VALU_DEP_2) | instskip(NEXT) | instid1(VALU_DEP_2)
	v_pk_mul_f16 v1, v219, v2
	v_pk_mul_f16 v0, v219, v0
	ds_store_2addr_b32 v182, v1, v0 offset1:32
.LBB24_23:                              ;   in Loop: Header=BB24_12 Depth=1
	s_or_b32 exec_lo, exec_lo, s3
	v_add_nc_u32_e32 v0, s66, v183
	s_delay_alu instid0(VALU_DEP_1) | instskip(SKIP_1) | instid1(SALU_CYCLE_1)
	v_cmp_le_i32_e32 vcc_lo, s8, v0
	s_or_b32 s3, vcc_lo, s4
	s_and_saveexec_b32 s5, s3
	s_delay_alu instid0(SALU_CYCLE_1)
	s_xor_b32 s3, exec_lo, s5
	s_cbranch_execz .LBB24_25
; %bb.24:                               ;   in Loop: Header=BB24_12 Depth=1
	v_add_nc_u32_e32 v0, 0x400, v182
	ds_store_2addr_b32 v0, v238, v238 offset0:16 offset1:48
                                        ; implicit-def: $vgpr0
.LBB24_25:                              ;   in Loop: Header=BB24_12 Depth=1
	s_and_not1_saveexec_b32 s3, s3
	s_cbranch_execz .LBB24_27
; %bb.26:                               ;   in Loop: Header=BB24_12 Depth=1
	v_mul_lo_u32 v0, v0, s59
	s_delay_alu instid0(VALU_DEP_1) | instskip(NEXT) | instid1(VALU_DEP_1)
	v_add3_u32 v0, v0, v148, v222
	v_ashrrev_i32_e32 v1, 31, v0
	s_delay_alu instid0(VALU_DEP_1) | instskip(NEXT) | instid1(VALU_DEP_1)
	v_lshlrev_b64 v[0:1], 3, v[0:1]
	v_add_co_u32 v0, vcc_lo, s14, v0
	s_delay_alu instid0(VALU_DEP_2)
	v_add_co_ci_u32_e32 v1, vcc_lo, s15, v1, vcc_lo
	s_clause 0x1
	global_load_b64 v[2:3], v[0:1], off
	global_load_b64 v[0:1], v[0:1], off offset:256
	s_waitcnt vmcnt(1)
	v_cvt_f16_f32_e32 v2, v2
	v_cvt_f16_f32_e32 v3, v3
	s_waitcnt vmcnt(0)
	v_cvt_f16_f32_e32 v0, v0
	v_cvt_f16_f32_e32 v1, v1
	s_delay_alu instid0(VALU_DEP_3) | instskip(NEXT) | instid1(VALU_DEP_2)
	v_pack_b32_f16 v2, v2, v3
	v_pack_b32_f16 v0, v0, v1
	s_delay_alu instid0(VALU_DEP_2) | instskip(SKIP_1) | instid1(VALU_DEP_3)
	v_pk_mul_f16 v1, v219, v2
	v_add_nc_u32_e32 v2, 0x400, v182
	v_pk_mul_f16 v0, v219, v0
	ds_store_2addr_b32 v2, v1, v0 offset0:16 offset1:48
.LBB24_27:                              ;   in Loop: Header=BB24_12 Depth=1
	s_or_b32 exec_lo, exec_lo, s3
	v_add_nc_u32_e32 v0, s66, v184
	s_delay_alu instid0(VALU_DEP_1) | instskip(SKIP_1) | instid1(SALU_CYCLE_1)
	v_cmp_le_i32_e32 vcc_lo, s8, v0
	s_or_b32 s3, vcc_lo, s4
	s_and_saveexec_b32 s5, s3
	s_delay_alu instid0(SALU_CYCLE_1)
	s_xor_b32 s3, exec_lo, s5
	s_cbranch_execz .LBB24_29
; %bb.28:                               ;   in Loop: Header=BB24_12 Depth=1
	v_add_nc_u32_e32 v0, 0x800, v182
	ds_store_2addr_b32 v0, v238, v238 offset0:32 offset1:64
                                        ; implicit-def: $vgpr0
.LBB24_29:                              ;   in Loop: Header=BB24_12 Depth=1
	s_and_not1_saveexec_b32 s3, s3
	s_cbranch_execz .LBB24_31
; %bb.30:                               ;   in Loop: Header=BB24_12 Depth=1
	v_mul_lo_u32 v0, v0, s59
	s_delay_alu instid0(VALU_DEP_1) | instskip(NEXT) | instid1(VALU_DEP_1)
	v_add3_u32 v0, v0, v148, v222
	v_ashrrev_i32_e32 v1, 31, v0
	s_delay_alu instid0(VALU_DEP_1) | instskip(NEXT) | instid1(VALU_DEP_1)
	v_lshlrev_b64 v[0:1], 3, v[0:1]
	v_add_co_u32 v0, vcc_lo, s14, v0
	s_delay_alu instid0(VALU_DEP_2)
	v_add_co_ci_u32_e32 v1, vcc_lo, s15, v1, vcc_lo
	s_clause 0x1
	global_load_b64 v[2:3], v[0:1], off
	global_load_b64 v[0:1], v[0:1], off offset:256
	s_waitcnt vmcnt(1)
	v_cvt_f16_f32_e32 v2, v2
	v_cvt_f16_f32_e32 v3, v3
	s_waitcnt vmcnt(0)
	v_cvt_f16_f32_e32 v0, v0
	v_cvt_f16_f32_e32 v1, v1
	s_delay_alu instid0(VALU_DEP_3) | instskip(NEXT) | instid1(VALU_DEP_2)
	v_pack_b32_f16 v2, v2, v3
	v_pack_b32_f16 v0, v0, v1
	s_delay_alu instid0(VALU_DEP_2) | instskip(SKIP_1) | instid1(VALU_DEP_3)
	v_pk_mul_f16 v1, v219, v2
	v_add_nc_u32_e32 v2, 0x800, v182
	v_pk_mul_f16 v0, v219, v0
	ds_store_2addr_b32 v2, v1, v0 offset0:32 offset1:64
.LBB24_31:                              ;   in Loop: Header=BB24_12 Depth=1
	;; [unrolled: 44-line block ×6, first 2 shown]
	s_or_b32 exec_lo, exec_lo, s3
	v_add_nc_u32_e32 v0, v218, v203
	s_waitcnt lgkmcnt(0)
	s_waitcnt_vscnt null, 0x0
	s_barrier
	buffer_gl0_inv
	v_add_nc_u32_e32 v97, s66, v204
	ds_load_b128 v[56:59], v0
	ds_load_b128 v[60:63], v0 offset:16
	ds_load_b128 v[40:43], v0 offset:32
	;; [unrolled: 1-line block ×15, first 2 shown]
	v_add_nc_u32_e32 v96, s66, v220
	s_add_i32 s55, s99, -1
	s_waitcnt lgkmcnt(0)
	v_mul_hi_u32 v99, s34, v97
	s_cmp_gt_i32 s55, s100
	v_mul_hi_u32 v98, s34, v96
	s_barrier
	buffer_gl0_inv
	s_cbranch_scc1 .LBB24_50
; %bb.48:                               ;   in Loop: Header=BB24_12 Depth=1
	v_add_nc_u32_e32 v0, v97, v99
	v_dual_mov_b32 v146, 32 :: v_dual_add_nc_u32 v1, v96, v98
	v_xor_b32_e32 v112, 16, v193
	s_mov_b32 s3, 0
	s_delay_alu instid0(VALU_DEP_3) | instskip(NEXT) | instid1(VALU_DEP_3)
	v_lshrrev_b32_e32 v0, s35, v0
	v_lshrrev_b32_e32 v1, s35, v1
	s_mov_b32 s4, 0xfeffffff
	s_delay_alu instid0(VALU_DEP_2) | instskip(NEXT) | instid1(VALU_DEP_2)
	v_mul_lo_u32 v0, v0, s8
	v_mul_lo_u32 v1, v1, s8
	s_delay_alu instid0(VALU_DEP_2) | instskip(NEXT) | instid1(VALU_DEP_2)
	v_sub_nc_u32_e32 v0, v97, v0
	v_sub_nc_u32_e32 v1, v96, v1
	s_delay_alu instid0(VALU_DEP_2) | instskip(NEXT) | instid1(VALU_DEP_2)
	v_mad_i64_i32 v[159:160], null, v0, s82, 0
	v_mad_i64_i32 v[157:158], null, v1, s82, 0
	s_branch .LBB24_51
.LBB24_49:                              ;   in Loop: Header=BB24_12 Depth=1
	s_cbranch_execz .LBB24_11
	s_branch .LBB24_144
.LBB24_50:                              ;   in Loop: Header=BB24_12 Depth=1
	s_mov_b32 s3, -1
                                        ; implicit-def: $sgpr4
                                        ; implicit-def: $vgpr159_vgpr160
                                        ; implicit-def: $vgpr157_vgpr158
                                        ; implicit-def: $vgpr112
                                        ; implicit-def: $vgpr146
.LBB24_51:                              ;   in Loop: Header=BB24_12 Depth=1
	s_delay_alu instid0(SALU_CYCLE_1) | instskip(SKIP_2) | instid1(VALU_DEP_3)
	v_cndmask_b32_e64 v0, 0, 1, s3
	v_dual_mov_b32 v31, s3 :: v_dual_mov_b32 v190, s3
	v_dual_mov_b32 v113, s4 :: v_dual_mov_b32 v30, s3
	v_cmp_ne_u32_e32 vcc_lo, 1, v0
	v_dual_mov_b32 v29, s3 :: v_dual_mov_b32 v28, s3
	v_dual_mov_b32 v27, s3 :: v_dual_mov_b32 v26, s3
	;; [unrolled: 1-line block ×15, first 2 shown]
	s_cbranch_vccnz .LBB24_55
; %bb.52:                               ;   in Loop: Header=BB24_12 Depth=1
	v_dual_mov_b32 v189, v206 :: v_dual_add_nc_u32 v0, v97, v99
	v_dual_mov_b32 v146, 32 :: v_dual_add_nc_u32 v1, v96, v98
	s_mov_b64 s[4:5], s[34:35]
	v_xor_b32_e32 v112, 16, v193
	s_delay_alu instid0(VALU_DEP_3) | instskip(NEXT) | instid1(VALU_DEP_3)
	v_lshrrev_b32_e32 v0, s5, v0
	v_lshrrev_b32_e32 v1, s5, v1
	v_dual_mov_b32 v231, v193 :: v_dual_lshlrev_b32 v2, 1, v206
	s_delay_alu instid0(VALU_DEP_4) | instskip(NEXT) | instid1(VALU_DEP_4)
	v_cmp_gt_i32_e32 vcc_lo, 32, v112
	v_mul_lo_u32 v3, v0, s8
	s_delay_alu instid0(VALU_DEP_4)
	v_mul_lo_u32 v1, v1, s8
	v_mov_b32_e32 v113, 0xfeffffff
	scratch_store_b32 off, v147, off offset:124 ; 4-byte Folded Spill
	v_cndmask_b32_e32 v4, v193, v112, vcc_lo
	v_mov_b32_e32 v0, 0
	v_add_co_u32 v147, vcc_lo, v152, v2
	v_sub_nc_u32_e32 v3, v97, v3
	s_delay_alu instid0(VALU_DEP_4) | instskip(SKIP_2) | instid1(VALU_DEP_4)
	v_lshlrev_b32_e32 v225, 2, v4
	v_sub_nc_u32_e32 v1, v96, v1
	v_dual_mov_b32 v190, 0 :: v_dual_mov_b32 v213, v152
	v_mad_i64_i32 v[159:160], null, v3, s82, 0
	s_delay_alu instid0(VALU_DEP_3)
	v_mad_i64_i32 v[157:158], null, v1, s82, 0
	v_dual_mov_b32 v224, v151 :: v_dual_mov_b32 v1, v0
	v_add_co_ci_u32_e32 v223, vcc_lo, 0, v151, vcc_lo
	v_mov_b32_e32 v2, v0
	v_mov_b32_e32 v3, v0
	;; [unrolled: 1-line block ×30, first 2 shown]
	s_mov_b64 s[48:49], s[52:53]
	s_mov_b64 s[52:53], s[50:51]
	;; [unrolled: 1-line block ×3, first 2 shown]
	s_mov_b32 s56, s93
	s_mov_b32 s93, s92
	;; [unrolled: 1-line block ×12, first 2 shown]
	s_lshl_b32 s74, s100, 6
.LBB24_53:                              ;   Parent Loop BB24_12 Depth=1
                                        ; =>  This Inner Loop Header: Depth=2
	s_delay_alu instid0(SALU_CYCLE_1)
	s_ashr_i32 s75, s74, 31
	v_lshlrev_b64 v[96:97], 1, v[159:160]
	s_lshl_b64 s[4:5], s[74:75], 1
	v_lshlrev_b64 v[98:99], 1, v[157:158]
	v_add_co_u32 v100, vcc_lo, v147, s4
	v_add_co_ci_u32_e32 v101, vcc_lo, s5, v223, vcc_lo
	s_mul_hi_i32 s5, s74, s12
	s_delay_alu instid0(VALU_DEP_2) | instskip(NEXT) | instid1(VALU_DEP_2)
	v_add_co_u32 v96, vcc_lo, v100, v96
	v_add_co_ci_u32_e32 v97, vcc_lo, v101, v97, vcc_lo
	v_add_co_u32 v98, vcc_lo, v100, v98
	v_add_co_ci_u32_e32 v99, vcc_lo, v101, v99, vcc_lo
	s_mul_i32 s4, s74, s12
	s_clause 0x1
	global_load_b32 v96, v[96:97], off
	global_load_b32 v97, v[98:99], off
	v_dual_mov_b32 v121, s43 :: v_dual_add_nc_u32 v98, v242, v251
	s_lshl_b64 s[4:5], s[4:5], 2
	v_mov_b32_e32 v119, s41
	s_add_u32 s3, s97, s4
	s_delay_alu instid0(VALU_DEP_2)
	v_add_nc_u32_e32 v98, 0x4400, v98
	s_addc_u32 s4, s98, s5
	v_dual_mov_b32 v117, s39 :: v_dual_add_nc_u32 v122, v241, v229
	v_dual_mov_b32 v120, s42 :: v_dual_mov_b32 v115, s37
	v_mov_b32_e32 v118, s40
	v_mov_b32_e32 v116, s38
	;; [unrolled: 1-line block ×3, first 2 shown]
	s_mul_hi_i32 s5, s74, s10
	s_waitcnt vmcnt(0)
	ds_store_2addr_b32 v98, v96, v97 offset1:144
	v_add_co_u32 v96, vcc_lo, s3, v165
	v_add_co_ci_u32_e32 v97, vcc_lo, s4, v166, vcc_lo
	s_delay_alu instid0(VALU_DEP_2) | instskip(NEXT) | instid1(VALU_DEP_2)
	v_add_co_u32 v96, vcc_lo, v96, v254
	v_add_co_ci_u32_e32 v97, vcc_lo, 0, v97, vcc_lo
	v_add_co_u32 v98, vcc_lo, s3, v167
	v_add_co_ci_u32_e32 v99, vcc_lo, s4, v168, vcc_lo
	s_delay_alu instid0(VALU_DEP_2) | instskip(NEXT) | instid1(VALU_DEP_2)
	v_add_co_u32 v100, vcc_lo, v98, v254
	v_add_co_ci_u32_e32 v101, vcc_lo, 0, v99, vcc_lo
	s_clause 0x1
	global_load_b128 v[96:99], v[96:97], off
	global_load_b128 v[100:103], v[100:101], off
	s_waitcnt vmcnt(1)
	ds_store_b128 v236, v[96:99]
	s_waitcnt vmcnt(0)
	ds_store_b128 v150, v[100:103]
	v_add_co_u32 v96, vcc_lo, s3, v169
	v_add_co_ci_u32_e32 v97, vcc_lo, s4, v170, vcc_lo
	s_delay_alu instid0(VALU_DEP_2) | instskip(NEXT) | instid1(VALU_DEP_2)
	v_add_co_u32 v96, vcc_lo, v96, v254
	v_add_co_ci_u32_e32 v97, vcc_lo, 0, v97, vcc_lo
	v_add_co_u32 v98, vcc_lo, s3, v171
	v_add_co_ci_u32_e32 v99, vcc_lo, s4, v172, vcc_lo
	s_delay_alu instid0(VALU_DEP_2) | instskip(NEXT) | instid1(VALU_DEP_2)
	v_add_co_u32 v100, vcc_lo, v98, v254
	v_add_co_ci_u32_e32 v101, vcc_lo, 0, v99, vcc_lo
	s_clause 0x1
	global_load_b128 v[96:99], v[96:97], off
	global_load_b128 v[100:103], v[100:101], off
	s_waitcnt vmcnt(1)
	ds_store_b128 v187, v[96:99]
	s_waitcnt vmcnt(0)
	ds_store_b128 v188, v[100:103]
	;; [unrolled: 17-line block ×3, first 2 shown]
	v_add_co_u32 v96, vcc_lo, s3, v177
	v_add_co_ci_u32_e32 v97, vcc_lo, s4, v178, vcc_lo
	s_delay_alu instid0(VALU_DEP_2) | instskip(NEXT) | instid1(VALU_DEP_2)
	v_add_co_u32 v96, vcc_lo, v96, v254
	v_add_co_ci_u32_e32 v97, vcc_lo, 0, v97, vcc_lo
	v_add_co_u32 v98, vcc_lo, s3, v179
	v_add_co_ci_u32_e32 v99, vcc_lo, s4, v180, vcc_lo
	s_mul_i32 s4, s74, s10
	s_delay_alu instid0(VALU_DEP_2) | instskip(NEXT) | instid1(VALU_DEP_2)
	v_add_co_u32 v100, vcc_lo, v98, v254
	v_add_co_ci_u32_e32 v101, vcc_lo, 0, v99, vcc_lo
	s_clause 0x1
	global_load_b128 v[96:99], v[96:97], off
	global_load_b128 v[100:103], v[100:101], off
	s_lshl_b64 s[4:5], s[4:5], 2
	s_waitcnt vmcnt(1)
	ds_store_b128 v207, v[96:99]
	s_waitcnt vmcnt(0)
	ds_store_b128 v208, v[100:103]
	s_waitcnt lgkmcnt(0)
	s_waitcnt_vscnt null, 0x0
	s_barrier
	buffer_gl0_inv
	ds_load_b128 v[96:99], v122
	ds_load_b128 v[100:103], v122 offset:16
	ds_load_b128 v[104:107], v122 offset:8704
	;; [unrolled: 1-line block ×3, first 2 shown]
	s_add_u32 s3, s95, s4
	s_addc_u32 s4, s96, s5
	v_cmp_eq_u32_e64 s5, 0, v244
	s_add_i32 s100, s100, 1
	s_add_i32 s74, s74, 64
	s_cmp_lt_i32 s100, s55
	s_waitcnt lgkmcnt(2)
	v_wmma_f32_16x16x16_f16 v[161:168], v[96:103], v[56:63], v[114:121]
	ds_load_b128 v[96:99], v122 offset:32
	ds_load_b128 v[100:103], v122 offset:48
	s_waitcnt lgkmcnt(2)
	v_wmma_f32_16x16x16_f16 v[169:176], v[104:111], v[56:63], v[114:121]
	s_waitcnt lgkmcnt(0)
	v_wmma_f32_16x16x16_f16 v[161:168], v[96:103], v[40:47], v[161:168]
	ds_load_b128 v[96:99], v122 offset:8736
	ds_load_b128 v[100:103], v122 offset:8752
	s_waitcnt lgkmcnt(0)
	v_wmma_f32_16x16x16_f16 v[169:176], v[96:103], v[40:47], v[169:176]
	ds_load_b128 v[96:99], v122 offset:64
	ds_load_b128 v[100:103], v122 offset:80
	;; [unrolled: 4-line block ×13, first 2 shown]
	s_waitcnt lgkmcnt(0)
	s_barrier
	buffer_gl0_inv
	v_wmma_f32_16x16x16_f16 v[169:176], v[96:103], v[88:95], v[169:176]
	ds_load_u16 v96, v209 offset:17408
	ds_load_u16 v97, v209 offset:17412
	;; [unrolled: 1-line block ×8, first 2 shown]
	s_waitcnt lgkmcnt(7)
	v_cvt_f32_f16_e32 v96, v96
	s_waitcnt lgkmcnt(6)
	v_cvt_f32_f16_e32 v97, v97
	;; [unrolled: 2-line block ×6, first 2 shown]
	v_add_f32_e32 v109, v162, v97
	s_waitcnt lgkmcnt(0)
	v_cvt_f32_f16_e32 v103, v103
	v_add_f32_e32 v108, v161, v96
	v_dual_add_f32 v110, v163, v98 :: v_dual_add_f32 v111, v164, v99
	v_dual_add_f32 v114, v165, v100 :: v_dual_add_f32 v115, v166, v101
	ds_load_u16 v96, v243 offset:64
	ds_load_u16 v97, v243 offset:68
	;; [unrolled: 1-line block ×8, first 2 shown]
	v_cvt_f32_f16_e32 v102, v102
	v_add_f32_e32 v103, v168, v103
	s_waitcnt lgkmcnt(7)
	v_cvt_f32_f16_e32 v96, v96
	s_waitcnt lgkmcnt(6)
	v_cvt_f32_f16_e32 v97, v97
	;; [unrolled: 2-line block ×6, first 2 shown]
	v_add_f32_e32 v192, v169, v96
	v_add_co_u32 v96, vcc_lo, s3, v234
	v_add_f32_e32 v193, v170, v97
	s_delay_alu instid0(VALU_DEP_4) | instskip(SKIP_1) | instid1(VALU_DEP_4)
	v_add_f32_e32 v153, v174, v101
	v_add_co_ci_u32_e32 v97, vcc_lo, s4, v235, vcc_lo
	v_add_co_u32 v96, vcc_lo, v96, v254
	v_add_f32_e32 v191, v171, v98
	s_delay_alu instid0(VALU_DEP_3) | instskip(SKIP_4) | instid1(VALU_DEP_4)
	v_add_co_ci_u32_e32 v97, vcc_lo, 0, v97, vcc_lo
	v_add_co_u32 v98, vcc_lo, s3, v245
	v_add_f32_e32 v154, v172, v99
	v_add_co_ci_u32_e32 v99, vcc_lo, s4, v246, vcc_lo
	v_dual_add_f32 v102, v167, v102 :: v_dual_add_f32 v151, v173, v100
	v_add_co_u32 v100, vcc_lo, v98, v254
	s_waitcnt lgkmcnt(1)
	v_cvt_f32_f16_e32 v104, v104
	s_waitcnt lgkmcnt(0)
	v_cvt_f32_f16_e32 v105, v105
	v_add_co_ci_u32_e32 v101, vcc_lo, 0, v99, vcc_lo
	s_delay_alu instid0(VALU_DEP_3) | instskip(NEXT) | instid1(VALU_DEP_3)
	v_add_f32_e32 v152, v175, v104
	v_add_f32_e32 v148, v176, v105
	s_clause 0x1
	global_load_b128 v[96:99], v[96:97], off
	global_load_b128 v[104:107], v[100:101], off
	s_waitcnt vmcnt(1)
	ds_store_b128 v236, v[96:99]
	s_waitcnt vmcnt(0)
	ds_store_b128 v150, v[104:107]
	v_add_co_u32 v96, vcc_lo, s3, v247
	v_add_co_ci_u32_e32 v97, vcc_lo, s4, v248, vcc_lo
	s_delay_alu instid0(VALU_DEP_2) | instskip(NEXT) | instid1(VALU_DEP_2)
	v_add_co_u32 v96, vcc_lo, v96, v254
	v_add_co_ci_u32_e32 v97, vcc_lo, 0, v97, vcc_lo
	v_add_co_u32 v98, vcc_lo, s3, v249
	v_add_co_ci_u32_e32 v99, vcc_lo, s4, v250, vcc_lo
	s_delay_alu instid0(VALU_DEP_2) | instskip(NEXT) | instid1(VALU_DEP_2)
	v_add_co_u32 v100, vcc_lo, v98, v254
	v_add_co_ci_u32_e32 v101, vcc_lo, 0, v99, vcc_lo
	s_clause 0x1
	global_load_b128 v[96:99], v[96:97], off
	global_load_b128 v[104:107], v[100:101], off
	s_waitcnt vmcnt(1)
	ds_store_b128 v187, v[96:99]
	s_waitcnt vmcnt(0)
	ds_store_b128 v188, v[104:107]
	v_add_co_u32 v96, vcc_lo, s3, v138
	v_add_co_ci_u32_e32 v97, vcc_lo, s4, v139, vcc_lo
	s_delay_alu instid0(VALU_DEP_2) | instskip(NEXT) | instid1(VALU_DEP_2)
	v_add_co_u32 v96, vcc_lo, v96, v254
	v_add_co_ci_u32_e32 v97, vcc_lo, 0, v97, vcc_lo
	v_add_co_u32 v98, vcc_lo, s3, v140
	v_add_co_ci_u32_e32 v99, vcc_lo, s4, v141, vcc_lo
	s_delay_alu instid0(VALU_DEP_2) | instskip(NEXT) | instid1(VALU_DEP_2)
	v_add_co_u32 v100, vcc_lo, v98, v254
	v_add_co_ci_u32_e32 v101, vcc_lo, 0, v99, vcc_lo
	s_clause 0x1
	global_load_b128 v[96:99], v[96:97], off
	global_load_b128 v[104:107], v[100:101], off
	s_waitcnt vmcnt(1)
	ds_store_b128 v196, v[96:99]
	s_waitcnt vmcnt(0)
	ds_store_b128 v205, v[104:107]
	v_add_co_u32 v96, vcc_lo, s3, v142
	v_add_co_ci_u32_e32 v97, vcc_lo, s4, v143, vcc_lo
	s_delay_alu instid0(VALU_DEP_2) | instskip(NEXT) | instid1(VALU_DEP_2)
	v_add_co_u32 v96, vcc_lo, v96, v254
	v_add_co_ci_u32_e32 v97, vcc_lo, 0, v97, vcc_lo
	v_add_co_u32 v98, vcc_lo, s3, v144
	v_add_co_ci_u32_e32 v99, vcc_lo, s4, v145, vcc_lo
	v_cmp_eq_u32_e64 s4, 1, v244
	s_delay_alu instid0(VALU_DEP_3) | instskip(NEXT) | instid1(VALU_DEP_3)
	v_add_co_u32 v100, vcc_lo, v98, v254
	v_add_co_ci_u32_e32 v101, vcc_lo, 0, v99, vcc_lo
	s_clause 0x1
	global_load_b128 v[96:99], v[96:97], off
	global_load_b128 v[104:107], v[100:101], off
	s_waitcnt vmcnt(1)
	ds_store_b128 v207, v[96:99]
	s_waitcnt vmcnt(0)
	ds_store_b128 v208, v[104:107]
	v_mov_b32_e32 v104, v113
	v_dual_add_f32 v96, 0x40051340, v108 :: v_dual_add_f32 v97, 0x40051340, v109
	v_add_f32_e32 v98, 0x40051340, v111
	s_waitcnt lgkmcnt(0)
	s_barrier
	buffer_gl0_inv
	v_max3_f32 v96, v104, v96, v97
	v_add_f32_e32 v97, 0x40051340, v110
	ds_load_2addr_b32 v[161:162], v210 offset1:16
	ds_load_2addr_b32 v[163:164], v210 offset0:68 offset1:84
	ds_load_2addr_b32 v[165:166], v210 offset0:136 offset1:152
	;; [unrolled: 1-line block ×3, first 2 shown]
	v_max3_f32 v96, v96, v97, v98
	v_dual_add_f32 v97, 0x40051340, v114 :: v_dual_add_f32 v98, 0x40051340, v115
	s_delay_alu instid0(VALU_DEP_1) | instskip(SKIP_1) | instid1(VALU_DEP_1)
	v_max3_f32 v96, v96, v97, v98
	v_dual_add_f32 v97, 0x40051340, v102 :: v_dual_add_f32 v98, 0x40051340, v103
	v_max3_f32 v96, v96, v97, v98
	v_dual_add_f32 v97, 0x40051340, v192 :: v_dual_add_f32 v98, 0x40051340, v193
	s_waitcnt lgkmcnt(2)
	v_perm_b32 v116, v163, v161, 0x5040100
	s_waitcnt lgkmcnt(0)
	v_perm_b32 v117, v167, v165, 0x5040100
	v_max3_f32 v96, v96, v97, v98
	v_dual_add_f32 v97, 0x40051340, v191 :: v_dual_add_f32 v98, 0x40051340, v154
	s_delay_alu instid0(VALU_DEP_1) | instskip(SKIP_1) | instid1(VALU_DEP_1)
	v_max3_f32 v96, v96, v97, v98
	v_dual_add_f32 v97, 0x40051340, v151 :: v_dual_add_f32 v98, 0x40051340, v153
	v_max3_f32 v96, v96, v97, v98
	v_add_f32_e32 v97, 0x40051340, v152
	v_add_f32_e32 v98, 0x40051340, v148
	s_delay_alu instid0(VALU_DEP_1) | instskip(SKIP_3) | instid1(VALU_DEP_1)
	v_max3_f32 v96, v96, v97, v98
	ds_bpermute_b32 v97, v225, v96
	s_waitcnt lgkmcnt(0)
	v_max_f32_e32 v97, v97, v97
	v_max_f32_e32 v113, v96, v97
	s_delay_alu instid0(VALU_DEP_1) | instskip(SKIP_2) | instid1(VALU_DEP_3)
	v_sub_f32_e32 v96, v109, v113
	v_sub_f32_e32 v104, v104, v113
	v_sub_f32_e32 v103, v103, v113
	v_mul_f32_e32 v97, 0x3fb8aa3b, v96
	s_delay_alu instid0(VALU_DEP_1) | instskip(SKIP_1) | instid1(VALU_DEP_1)
	v_fma_f32 v98, 0x3fb8aa3b, v96, -v97
	v_rndne_f32_e32 v99, v97
	v_dual_fmac_f32 v98, 0x32a5705f, v96 :: v_dual_sub_f32 v97, v97, v99
	v_cvt_i32_f32_e32 v99, v99
	s_delay_alu instid0(VALU_DEP_2) | instskip(NEXT) | instid1(VALU_DEP_1)
	v_dual_add_f32 v97, v97, v98 :: v_dual_sub_f32 v98, v108, v113
	v_mul_f32_e32 v100, 0x3fb8aa3b, v98
	v_cmp_ngt_f32_e64 s3, 0xc2ce8ed0, v98
	s_delay_alu instid0(VALU_DEP_2) | instskip(SKIP_1) | instid1(VALU_DEP_1)
	v_fma_f32 v101, 0x3fb8aa3b, v98, -v100
	v_rndne_f32_e32 v105, v100
	v_dual_fmac_f32 v101, 0x32a5705f, v98 :: v_dual_sub_f32 v100, v100, v105
	v_exp_f32_e32 v97, v97
	v_cmp_ngt_f32_e32 vcc_lo, 0xc2ce8ed0, v96
	s_delay_alu instid0(VALU_DEP_2) | instskip(NEXT) | instid1(VALU_DEP_1)
	v_add_f32_e32 v100, v100, v101
	v_exp_f32_e32 v100, v100
	s_waitcnt_depctr 0xfff
	v_ldexp_f32 v97, v97, v99
	v_cvt_i32_f32_e32 v99, v105
	s_delay_alu instid0(VALU_DEP_2) | instskip(SKIP_1) | instid1(VALU_DEP_3)
	v_cndmask_b32_e32 v97, 0, v97, vcc_lo
	v_cmp_nlt_f32_e32 vcc_lo, 0x42b17218, v96
	v_ldexp_f32 v99, v100, v99
	s_delay_alu instid0(VALU_DEP_3) | instskip(SKIP_2) | instid1(VALU_DEP_4)
	v_cndmask_b32_e32 v195, 0x7f800000, v97, vcc_lo
	v_cmp_eq_u32_e32 vcc_lo, 1, v240
	v_sub_f32_e32 v102, v102, v113
	v_cndmask_b32_e64 v96, 0, v99, s3
	v_cmp_nlt_f32_e64 s3, 0x42b17218, v98
	ds_bpermute_b32 v98, v225, v195
	v_cndmask_b32_e64 v194, 0x7f800000, v96, s3
	v_cmp_eq_u32_e64 s3, 0, v240
	ds_bpermute_b32 v96, v225, v194
	s_waitcnt lgkmcnt(0)
	v_cndmask_b32_e32 v97, v194, v96, vcc_lo
	v_cndmask_b32_e64 v96, v194, v96, s3
	s_delay_alu instid0(VALU_DEP_2) | instskip(NEXT) | instid1(VALU_DEP_2)
	v_cndmask_b32_e64 v100, v97, v195, s4
	v_cndmask_b32_e64 v99, v96, v195, s5
	v_cvt_f16_f32_e32 v96, v96
	v_cvt_f16_f32_e32 v97, v97
	s_delay_alu instid0(VALU_DEP_3) | instskip(SKIP_1) | instid1(VALU_DEP_3)
	v_cndmask_b32_e64 v99, v99, v98, s3
	v_cndmask_b32_e32 v98, v100, v98, vcc_lo
	v_pack_b32_f16 v96, v96, v97
	s_delay_alu instid0(VALU_DEP_3) | instskip(NEXT) | instid1(VALU_DEP_3)
	v_cvt_f16_f32_e32 v100, v99
	v_cvt_f16_f32_e32 v101, v98
	s_delay_alu instid0(VALU_DEP_1) | instskip(SKIP_1) | instid1(VALU_DEP_1)
	v_pack_b32_f16 v97, v100, v101
	v_sub_f32_e32 v100, v110, v113
	v_mul_f32_e32 v101, 0x3fb8aa3b, v100
	v_cmp_ngt_f32_e64 s6, 0xc2ce8ed0, v100
	s_delay_alu instid0(VALU_DEP_2) | instskip(SKIP_1) | instid1(VALU_DEP_2)
	v_fma_f32 v105, 0x3fb8aa3b, v100, -v101
	v_rndne_f32_e32 v106, v101
	v_fmac_f32_e32 v105, 0x32a5705f, v100
	s_delay_alu instid0(VALU_DEP_2) | instskip(NEXT) | instid1(VALU_DEP_1)
	v_sub_f32_e32 v101, v101, v106
	v_add_f32_e32 v101, v101, v105
	v_cvt_i32_f32_e32 v105, v106
	s_delay_alu instid0(VALU_DEP_2) | instskip(SKIP_2) | instid1(VALU_DEP_1)
	v_exp_f32_e32 v101, v101
	s_waitcnt_depctr 0xfff
	v_ldexp_f32 v101, v101, v105
	v_cndmask_b32_e64 v101, 0, v101, s6
	v_cmp_nlt_f32_e64 s6, 0x42b17218, v100
	s_delay_alu instid0(VALU_DEP_1) | instskip(SKIP_4) | instid1(VALU_DEP_2)
	v_cndmask_b32_e64 v197, 0x7f800000, v101, s6
	ds_bpermute_b32 v100, v225, v197
	v_cndmask_b32_e64 v99, v99, v197, s5
	v_cndmask_b32_e64 v98, v98, v197, s4
	s_waitcnt lgkmcnt(0)
	v_cndmask_b32_e64 v99, v99, v100, s3
	s_delay_alu instid0(VALU_DEP_2) | instskip(NEXT) | instid1(VALU_DEP_2)
	v_cndmask_b32_e32 v100, v98, v100, vcc_lo
	v_cvt_f16_f32_e32 v98, v99
	s_delay_alu instid0(VALU_DEP_2) | instskip(NEXT) | instid1(VALU_DEP_1)
	v_cvt_f16_f32_e32 v101, v100
	v_pack_b32_f16 v98, v98, v101
	v_sub_f32_e32 v101, v111, v113
	v_add_nc_u32_e32 v111, 0x1000, v210
	s_delay_alu instid0(VALU_DEP_2) | instskip(SKIP_1) | instid1(VALU_DEP_2)
	v_mul_f32_e32 v105, 0x3fb8aa3b, v101
	v_cmp_ngt_f32_e64 s6, 0xc2ce8ed0, v101
	v_fma_f32 v106, 0x3fb8aa3b, v101, -v105
	v_rndne_f32_e32 v107, v105
	s_delay_alu instid0(VALU_DEP_1) | instskip(NEXT) | instid1(VALU_DEP_1)
	v_dual_fmac_f32 v106, 0x32a5705f, v101 :: v_dual_sub_f32 v105, v105, v107
	v_add_f32_e32 v105, v105, v106
	v_cvt_i32_f32_e32 v106, v107
	s_delay_alu instid0(VALU_DEP_2) | instskip(SKIP_2) | instid1(VALU_DEP_1)
	v_exp_f32_e32 v105, v105
	s_waitcnt_depctr 0xfff
	v_ldexp_f32 v105, v105, v106
	v_cndmask_b32_e64 v105, 0, v105, s6
	v_cmp_nlt_f32_e64 s6, 0x42b17218, v101
	s_delay_alu instid0(VALU_DEP_1) | instskip(SKIP_4) | instid1(VALU_DEP_2)
	v_cndmask_b32_e64 v198, 0x7f800000, v105, s6
	ds_bpermute_b32 v101, v225, v198
	v_cndmask_b32_e64 v99, v99, v198, s5
	v_cndmask_b32_e64 v100, v100, v198, s4
	s_waitcnt lgkmcnt(0)
	v_cndmask_b32_e64 v105, v99, v101, s3
	s_delay_alu instid0(VALU_DEP_2) | instskip(NEXT) | instid1(VALU_DEP_2)
	v_cndmask_b32_e32 v100, v100, v101, vcc_lo
	v_cvt_f16_f32_e32 v99, v105
	s_delay_alu instid0(VALU_DEP_2) | instskip(NEXT) | instid1(VALU_DEP_1)
	v_cvt_f16_f32_e32 v101, v100
	v_pack_b32_f16 v99, v99, v101
	v_dual_sub_f32 v101, v114, v113 :: v_dual_add_nc_u32 v114, 0x800, v210
	s_delay_alu instid0(VALU_DEP_1) | instskip(SKIP_1) | instid1(VALU_DEP_2)
	v_mul_f32_e32 v106, 0x3fb8aa3b, v101
	v_cmp_ngt_f32_e64 s6, 0xc2ce8ed0, v101
	v_fma_f32 v107, 0x3fb8aa3b, v101, -v106
	v_rndne_f32_e32 v108, v106
	s_delay_alu instid0(VALU_DEP_1) | instskip(NEXT) | instid1(VALU_DEP_1)
	v_dual_fmac_f32 v107, 0x32a5705f, v101 :: v_dual_sub_f32 v106, v106, v108
	v_add_f32_e32 v106, v106, v107
	v_cvt_i32_f32_e32 v107, v108
	s_delay_alu instid0(VALU_DEP_2) | instskip(SKIP_2) | instid1(VALU_DEP_1)
	v_exp_f32_e32 v106, v106
	s_waitcnt_depctr 0xfff
	v_ldexp_f32 v106, v106, v107
	v_cndmask_b32_e64 v106, 0, v106, s6
	v_cmp_nlt_f32_e64 s6, 0x42b17218, v101
	s_delay_alu instid0(VALU_DEP_1) | instskip(NEXT) | instid1(VALU_DEP_1)
	v_cndmask_b32_e64 v199, 0x7f800000, v106, s6
	v_cndmask_b32_e64 v101, v105, v199, s5
	ds_bpermute_b32 v105, v225, v199
	v_cndmask_b32_e64 v100, v100, v199, s4
	s_waitcnt lgkmcnt(0)
	v_cndmask_b32_e64 v101, v101, v105, s3
	s_delay_alu instid0(VALU_DEP_2) | instskip(NEXT) | instid1(VALU_DEP_2)
	v_cndmask_b32_e32 v105, v100, v105, vcc_lo
	v_cvt_f16_f32_e32 v100, v101
	s_delay_alu instid0(VALU_DEP_2) | instskip(NEXT) | instid1(VALU_DEP_1)
	v_cvt_f16_f32_e32 v106, v105
	v_pack_b32_f16 v100, v100, v106
	v_dual_sub_f32 v106, v115, v113 :: v_dual_add_nc_u32 v115, 0xc00, v210
	s_delay_alu instid0(VALU_DEP_1) | instskip(SKIP_1) | instid1(VALU_DEP_2)
	v_mul_f32_e32 v107, 0x3fb8aa3b, v106
	v_cmp_ngt_f32_e64 s6, 0xc2ce8ed0, v106
	v_fma_f32 v108, 0x3fb8aa3b, v106, -v107
	v_rndne_f32_e32 v109, v107
	s_delay_alu instid0(VALU_DEP_1) | instskip(NEXT) | instid1(VALU_DEP_1)
	v_dual_fmac_f32 v108, 0x32a5705f, v106 :: v_dual_sub_f32 v107, v107, v109
	v_add_f32_e32 v107, v107, v108
	v_cvt_i32_f32_e32 v108, v109
	s_delay_alu instid0(VALU_DEP_2) | instskip(SKIP_2) | instid1(VALU_DEP_1)
	v_exp_f32_e32 v107, v107
	s_waitcnt_depctr 0xfff
	v_ldexp_f32 v107, v107, v108
	v_cndmask_b32_e64 v107, 0, v107, s6
	v_cmp_nlt_f32_e64 s6, 0x42b17218, v106
	s_delay_alu instid0(VALU_DEP_1)
	v_cndmask_b32_e64 v196, 0x7f800000, v107, s6
	v_cmp_ngt_f32_e64 s6, 0xc2ce8ed0, v102
	ds_bpermute_b32 v106, v225, v196
	v_cndmask_b32_e64 v101, v101, v196, s5
	v_cndmask_b32_e64 v105, v105, v196, s4
	s_waitcnt lgkmcnt(0)
	s_delay_alu instid0(VALU_DEP_2) | instskip(NEXT) | instid1(VALU_DEP_2)
	v_cndmask_b32_e64 v107, v101, v106, s3
	v_cndmask_b32_e32 v105, v105, v106, vcc_lo
	s_delay_alu instid0(VALU_DEP_2) | instskip(NEXT) | instid1(VALU_DEP_2)
	v_cvt_f16_f32_e32 v101, v107
	v_cvt_f16_f32_e32 v106, v105
	s_delay_alu instid0(VALU_DEP_1) | instskip(SKIP_1) | instid1(VALU_DEP_1)
	v_pack_b32_f16 v101, v101, v106
	v_mul_f32_e32 v106, 0x3fb8aa3b, v102
	v_fma_f32 v108, 0x3fb8aa3b, v102, -v106
	v_rndne_f32_e32 v109, v106
	s_delay_alu instid0(VALU_DEP_2) | instskip(NEXT) | instid1(VALU_DEP_2)
	v_fmac_f32_e32 v108, 0x32a5705f, v102
	v_sub_f32_e32 v106, v106, v109
	s_delay_alu instid0(VALU_DEP_1) | instskip(SKIP_1) | instid1(VALU_DEP_2)
	v_add_f32_e32 v106, v106, v108
	v_cvt_i32_f32_e32 v108, v109
	v_exp_f32_e32 v106, v106
	s_waitcnt_depctr 0xfff
	v_ldexp_f32 v106, v106, v108
	s_delay_alu instid0(VALU_DEP_1) | instskip(SKIP_1) | instid1(VALU_DEP_1)
	v_cndmask_b32_e64 v106, 0, v106, s6
	v_cmp_nlt_f32_e64 s6, 0x42b17218, v102
	v_cndmask_b32_e64 v200, 0x7f800000, v106, s6
	ds_bpermute_b32 v106, v225, v200
	v_cndmask_b32_e64 v102, v107, v200, s5
	v_cndmask_b32_e64 v105, v105, v200, s4
	s_waitcnt lgkmcnt(0)
	s_delay_alu instid0(VALU_DEP_2) | instskip(NEXT) | instid1(VALU_DEP_2)
	v_cndmask_b32_e64 v107, v102, v106, s3
	v_cndmask_b32_e32 v105, v105, v106, vcc_lo
	s_delay_alu instid0(VALU_DEP_2) | instskip(NEXT) | instid1(VALU_DEP_2)
	v_cvt_f16_f32_e32 v102, v107
	v_cvt_f16_f32_e32 v106, v105
	s_delay_alu instid0(VALU_DEP_1) | instskip(SKIP_1) | instid1(VALU_DEP_1)
	v_pack_b32_f16 v102, v102, v106
	v_mul_f32_e32 v106, 0x3fb8aa3b, v103
	v_fma_f32 v108, 0x3fb8aa3b, v103, -v106
	v_rndne_f32_e32 v109, v106
	s_delay_alu instid0(VALU_DEP_2) | instskip(NEXT) | instid1(VALU_DEP_2)
	v_fmac_f32_e32 v108, 0x32a5705f, v103
	v_sub_f32_e32 v106, v106, v109
	s_delay_alu instid0(VALU_DEP_1) | instskip(SKIP_2) | instid1(VALU_DEP_3)
	v_add_f32_e32 v106, v106, v108
	v_cvt_i32_f32_e32 v108, v109
	v_cmp_ngt_f32_e64 s6, 0xc2ce8ed0, v103
	v_exp_f32_e32 v106, v106
	s_waitcnt_depctr 0xfff
	v_ldexp_f32 v106, v106, v108
	s_delay_alu instid0(VALU_DEP_1) | instskip(SKIP_1) | instid1(VALU_DEP_1)
	v_cndmask_b32_e64 v106, 0, v106, s6
	v_cmp_nlt_f32_e64 s6, 0x42b17218, v103
	v_cndmask_b32_e64 v201, 0x7f800000, v106, s6
	ds_bpermute_b32 v106, v225, v201
	v_cndmask_b32_e64 v103, v107, v201, s5
	v_cndmask_b32_e64 v105, v105, v201, s4
	s_waitcnt lgkmcnt(0)
	s_delay_alu instid0(VALU_DEP_2) | instskip(NEXT) | instid1(VALU_DEP_2)
	v_cndmask_b32_e64 v103, v103, v106, s3
	v_cndmask_b32_e32 v105, v105, v106, vcc_lo
	s_delay_alu instid0(VALU_DEP_2) | instskip(NEXT) | instid1(VALU_DEP_2)
	v_cvt_f16_f32_e32 v103, v103
	v_cvt_f16_f32_e32 v105, v105
	s_delay_alu instid0(VALU_DEP_1) | instskip(SKIP_1) | instid1(VALU_DEP_1)
	v_pack_b32_f16 v103, v103, v105
	v_mul_f32_e32 v105, 0x3fb8aa3b, v104
	v_fma_f32 v106, 0x3fb8aa3b, v104, -v105
	v_rndne_f32_e32 v107, v105
	s_delay_alu instid0(VALU_DEP_1) | instskip(NEXT) | instid1(VALU_DEP_1)
	v_dual_fmac_f32 v106, 0x32a5705f, v104 :: v_dual_sub_f32 v105, v105, v107
	v_add_f32_e32 v105, v105, v106
	v_cvt_i32_f32_e32 v106, v107
	v_cmp_ngt_f32_e64 s6, 0xc2ce8ed0, v104
	v_add_nc_u32_e32 v107, 0x400, v210
	s_delay_alu instid0(VALU_DEP_4)
	v_exp_f32_e32 v105, v105
	ds_load_2addr_b32 v[185:186], v107 offset0:16 offset1:84
	ds_load_2addr_b32 v[169:170], v107 offset0:132 offset1:152
	;; [unrolled: 1-line block ×10, first 2 shown]
	v_ldexp_f32 v105, v105, v106
	s_delay_alu instid0(VALU_DEP_1) | instskip(SKIP_1) | instid1(VALU_DEP_1)
	v_cndmask_b32_e64 v105, 0, v105, s6
	v_cmp_nlt_f32_e64 s6, 0x42b17218, v104
	v_cndmask_b32_e64 v105, 0x7f800000, v105, s6
	v_cmp_le_f32_e64 s6, 0xc1a00000, v104
	s_waitcnt lgkmcnt(9)
	v_perm_b32 v118, v186, v185, 0x5040100
	s_waitcnt lgkmcnt(7)
	v_perm_b32 v119, v172, v170, 0x5040100
	;; [unrolled: 2-line block ×4, first 2 shown]
	v_cndmask_b32_e64 v202, 0, v105, s6
	s_waitcnt lgkmcnt(2)
	v_perm_b32 v122, v188, v187, 0x5040100
	s_waitcnt lgkmcnt(0)
	v_perm_b32 v123, v178, v176, 0x5040100
	v_perm_b32 v104, v164, v162, 0x5040100
	;; [unrolled: 1-line block ×3, first 2 shown]
	v_cvt_f16_f32_e64 v203, v202
	v_perm_b32 v109, v184, v182, 0x5040100
	s_delay_alu instid0(VALU_DEP_2)
	v_pk_mul_f16 v24, v203, v24 op_sel_hi:[0,1]
	v_pk_mul_f16 v25, v203, v25 op_sel_hi:[0,1]
	v_pk_mul_f16 v26, v203, v26 op_sel_hi:[0,1]
	v_pk_mul_f16 v27, v203, v27 op_sel_hi:[0,1]
	v_pk_mul_f16 v28, v203, v28 op_sel_hi:[0,1]
	v_pk_mul_f16 v29, v203, v29 op_sel_hi:[0,1]
	v_pk_mul_f16 v30, v203, v30 op_sel_hi:[0,1]
	v_pk_mul_f16 v31, v203, v31 op_sel_hi:[0,1]
	v_pk_mul_f16 v16, v203, v16 op_sel_hi:[0,1]
	v_pk_mul_f16 v17, v203, v17 op_sel_hi:[0,1]
	v_pk_mul_f16 v18, v203, v18 op_sel_hi:[0,1]
	v_pk_mul_f16 v19, v203, v19 op_sel_hi:[0,1]
	v_wmma_f16_16x16x16_f16 v[24:31], v[116:123], v[96:103], v[24:31]
	ds_load_b32 v204, v149 offset:2176
	ds_load_b32 v206, v149 offset:3264
	;; [unrolled: 1-line block ×4, first 2 shown]
	ds_load_2addr_b32 v[116:117], v107 offset0:100 offset1:116
	ds_load_2addr_b32 v[118:119], v107 offset0:168 offset1:184
	;; [unrolled: 1-line block ×10, first 2 shown]
	ds_load_b32 v140, v237 offset:1088
	ds_load_b32 v141, v237 offset:2176
	;; [unrolled: 1-line block ×5, first 2 shown]
	ds_load_2addr_b32 v[136:137], v114 offset0:132 offset1:148
	ds_load_2addr_b32 v[138:139], v114 offset0:200 offset1:216
	;; [unrolled: 1-line block ×3, first 2 shown]
	v_pk_mul_f16 v20, v203, v20 op_sel_hi:[0,1]
	v_pk_mul_f16 v21, v203, v21 op_sel_hi:[0,1]
	;; [unrolled: 1-line block ×20, first 2 shown]
	ds_load_b32 v150, v239 offset:1088
	ds_load_b32 v203, v239 offset:2176
	;; [unrolled: 1-line block ×8, first 2 shown]
	s_waitcnt lgkmcnt(25)
	v_perm_b32 v106, v116, v207, 0x5040100
	s_waitcnt lgkmcnt(23)
	v_perm_b32 v107, v120, v118, 0x5040100
	v_perm_b32 v108, v180, v204, 0x5040100
	s_waitcnt lgkmcnt(22)
	v_perm_b32 v110, v122, v206, 0x5040100
	s_waitcnt lgkmcnt(20)
	v_perm_b32 v111, v124, v126, 0x5040100
	s_delay_alu instid0(VALU_DEP_1)
	v_wmma_f16_16x16x16_f16 v[16:23], v[104:111], v[96:103], v[16:23]
	s_waitcnt lgkmcnt(18)
	v_perm_b32 v104, v130, v128, 0x5040100
	s_waitcnt lgkmcnt(16)
	v_perm_b32 v105, v134, v132, 0x5040100
	;; [unrolled: 2-line block ×3, first 2 shown]
	v_perm_b32 v107, v121, v119, 0x5040100
	s_waitcnt lgkmcnt(10)
	v_perm_b32 v108, v136, v141, 0x5040100
	s_waitcnt lgkmcnt(8)
	v_perm_b32 v109, v114, v138, 0x5040100
	v_perm_b32 v110, v123, v143, 0x5040100
	;; [unrolled: 1-line block ×3, first 2 shown]
	s_delay_alu instid0(VALU_DEP_1)
	v_wmma_f16_16x16x16_f16 v[8:15], v[104:111], v[96:103], v[8:15]
	v_perm_b32 v104, v131, v129, 0x5040100
	v_perm_b32 v105, v135, v133, 0x5040100
	s_waitcnt lgkmcnt(7)
	v_perm_b32 v106, v169, v150, 0x5040100
	v_perm_b32 v107, v173, v171, 0x5040100
	s_waitcnt lgkmcnt(6)
	;; [unrolled: 3-line block ×3, first 2 shown]
	v_perm_b32 v110, v175, v205, 0x5040100
	s_waitcnt lgkmcnt(2)
	v_perm_b32 v111, v215, v177, 0x5040100
	s_delay_alu instid0(VALU_DEP_1)
	v_wmma_f16_16x16x16_f16 v[0:7], v[104:111], v[96:103], v[0:7]
	v_perm_b32 v106, v186, v185, 0x7060302
	v_perm_b32 v110, v188, v187, 0x7060302
	;; [unrolled: 1-line block ×8, first 2 shown]
	s_delay_alu instid0(VALU_DEP_1)
	v_wmma_f16_16x16x16_f16 v[24:31], v[104:111], v[96:103], v[24:31] op_sel:[0,0,1]
	v_perm_b32 v104, v164, v162, 0x7060302
	v_perm_b32 v105, v168, v166, 0x7060302
	;; [unrolled: 1-line block ×8, first 2 shown]
	scratch_load_b32 v207, off, off offset:20 ; 4-byte Folded Reload
	v_wmma_f16_16x16x16_f16 v[16:23], v[104:111], v[96:103], v[16:23] op_sel:[0,0,1]
	v_perm_b32 v107, v121, v119, 0x7060302
	v_perm_b32 v111, v125, v127, 0x7060302
	;; [unrolled: 1-line block ×8, first 2 shown]
	s_delay_alu instid0(VALU_DEP_1)
	v_wmma_f16_16x16x16_f16 v[8:15], v[104:111], v[96:103], v[8:15] op_sel:[0,0,1]
	v_perm_b32 v104, v131, v129, 0x7060302
	v_perm_b32 v105, v135, v133, 0x7060302
	;; [unrolled: 1-line block ×7, first 2 shown]
	scratch_load_b32 v205, off, off offset:16 ; 4-byte Folded Reload
	v_perm_b32 v111, v215, v177, 0x7060302
	s_delay_alu instid0(VALU_DEP_1) | instskip(SKIP_1) | instid1(VALU_DEP_1)
	v_wmma_f16_16x16x16_f16 v[0:7], v[104:111], v[96:103], v[0:7] op_sel:[0,0,1]
	v_dual_sub_f32 v96, v193, v113 :: v_dual_add_nc_u32 v109, 0x2c00, v210
	v_mul_f32_e32 v97, 0x3fb8aa3b, v96
	v_cmp_ngt_f32_e64 s6, 0xc2ce8ed0, v96
	s_delay_alu instid0(VALU_DEP_2) | instskip(SKIP_1) | instid1(VALU_DEP_1)
	v_fma_f32 v98, 0x3fb8aa3b, v96, -v97
	v_rndne_f32_e32 v99, v97
	v_dual_fmac_f32 v98, 0x32a5705f, v96 :: v_dual_sub_f32 v97, v97, v99
	v_cvt_i32_f32_e32 v99, v99
	s_delay_alu instid0(VALU_DEP_2) | instskip(NEXT) | instid1(VALU_DEP_1)
	v_dual_add_f32 v97, v97, v98 :: v_dual_sub_f32 v98, v192, v113
	v_exp_f32_e32 v97, v97
	s_delay_alu instid0(VALU_DEP_1) | instskip(SKIP_1) | instid1(VALU_DEP_2)
	v_mul_f32_e32 v100, 0x3fb8aa3b, v98
	v_cmp_ngt_f32_e64 s7, 0xc2ce8ed0, v98
	v_fma_f32 v101, 0x3fb8aa3b, v98, -v100
	v_rndne_f32_e32 v102, v100
	s_waitcnt_depctr 0xfff
	v_ldexp_f32 v97, v97, v99
	v_fmac_f32_e32 v101, 0x32a5705f, v98
	v_sub_f32_e32 v100, v100, v102
	v_cvt_i32_f32_e32 v99, v102
	s_delay_alu instid0(VALU_DEP_4) | instskip(SKIP_1) | instid1(VALU_DEP_4)
	v_cndmask_b32_e64 v97, 0, v97, s6
	v_cmp_nlt_f32_e64 s6, 0x42b17218, v96
	v_add_f32_e32 v100, v100, v101
	s_delay_alu instid0(VALU_DEP_2) | instskip(NEXT) | instid1(VALU_DEP_2)
	v_cndmask_b32_e64 v150, 0x7f800000, v97, s6
	v_exp_f32_e32 v100, v100
	s_waitcnt_depctr 0xfff
	v_ldexp_f32 v99, v100, v99
	s_delay_alu instid0(VALU_DEP_1)
	v_cndmask_b32_e64 v96, 0, v99, s7
	v_cmp_nlt_f32_e64 s7, 0x42b17218, v98
	ds_bpermute_b32 v98, v225, v150
	v_cndmask_b32_e64 v143, 0x7f800000, v96, s7
	ds_bpermute_b32 v96, v225, v143
	s_waitcnt lgkmcnt(0)
	v_cndmask_b32_e64 v97, v143, v96, s3
	v_cndmask_b32_e32 v96, v143, v96, vcc_lo
	s_delay_alu instid0(VALU_DEP_2) | instskip(NEXT) | instid1(VALU_DEP_2)
	v_cndmask_b32_e64 v99, v97, v150, s5
	v_cndmask_b32_e64 v100, v96, v150, s4
	v_cvt_f16_f32_e32 v97, v97
	v_cvt_f16_f32_e32 v96, v96
	s_delay_alu instid0(VALU_DEP_4) | instskip(NEXT) | instid1(VALU_DEP_4)
	v_cndmask_b32_e64 v99, v99, v98, s3
	v_cndmask_b32_e32 v98, v100, v98, vcc_lo
	s_delay_alu instid0(VALU_DEP_3) | instskip(NEXT) | instid1(VALU_DEP_3)
	v_pack_b32_f16 v96, v97, v96
	v_cvt_f16_f32_e32 v100, v99
	s_delay_alu instid0(VALU_DEP_3) | instskip(NEXT) | instid1(VALU_DEP_1)
	v_cvt_f16_f32_e32 v101, v98
	v_pack_b32_f16 v97, v100, v101
	v_sub_f32_e32 v100, v191, v113
	s_delay_alu instid0(VALU_DEP_1) | instskip(SKIP_1) | instid1(VALU_DEP_2)
	v_mul_f32_e32 v101, 0x3fb8aa3b, v100
	v_cmp_ngt_f32_e64 s6, 0xc2ce8ed0, v100
	v_fma_f32 v102, 0x3fb8aa3b, v100, -v101
	v_rndne_f32_e32 v103, v101
	s_delay_alu instid0(VALU_DEP_1) | instskip(NEXT) | instid1(VALU_DEP_1)
	v_dual_fmac_f32 v102, 0x32a5705f, v100 :: v_dual_sub_f32 v101, v101, v103
	v_add_f32_e32 v101, v101, v102
	v_cvt_i32_f32_e32 v102, v103
	s_delay_alu instid0(VALU_DEP_2) | instskip(SKIP_2) | instid1(VALU_DEP_1)
	v_exp_f32_e32 v101, v101
	s_waitcnt_depctr 0xfff
	v_ldexp_f32 v101, v101, v102
	v_cndmask_b32_e64 v101, 0, v101, s6
	v_cmp_nlt_f32_e64 s6, 0x42b17218, v100
	s_delay_alu instid0(VALU_DEP_1) | instskip(SKIP_4) | instid1(VALU_DEP_2)
	v_cndmask_b32_e64 v177, 0x7f800000, v101, s6
	ds_bpermute_b32 v100, v225, v177
	v_cndmask_b32_e64 v99, v99, v177, s5
	v_cndmask_b32_e64 v98, v98, v177, s4
	s_waitcnt lgkmcnt(0)
	v_cndmask_b32_e64 v99, v99, v100, s3
	s_delay_alu instid0(VALU_DEP_2) | instskip(NEXT) | instid1(VALU_DEP_2)
	v_cndmask_b32_e32 v100, v98, v100, vcc_lo
	v_cvt_f16_f32_e32 v98, v99
	s_delay_alu instid0(VALU_DEP_2) | instskip(NEXT) | instid1(VALU_DEP_1)
	v_cvt_f16_f32_e32 v101, v100
	v_pack_b32_f16 v98, v98, v101
	v_sub_f32_e32 v101, v154, v113
	s_delay_alu instid0(VALU_DEP_1) | instskip(SKIP_1) | instid1(VALU_DEP_2)
	v_mul_f32_e32 v102, 0x3fb8aa3b, v101
	v_cmp_ngt_f32_e64 s6, 0xc2ce8ed0, v101
	v_fma_f32 v103, 0x3fb8aa3b, v101, -v102
	v_rndne_f32_e32 v104, v102
	s_delay_alu instid0(VALU_DEP_1) | instskip(NEXT) | instid1(VALU_DEP_1)
	v_dual_fmac_f32 v103, 0x32a5705f, v101 :: v_dual_sub_f32 v102, v102, v104
	v_add_f32_e32 v102, v102, v103
	v_cvt_i32_f32_e32 v103, v104
	s_delay_alu instid0(VALU_DEP_2) | instskip(SKIP_2) | instid1(VALU_DEP_1)
	v_exp_f32_e32 v102, v102
	s_waitcnt_depctr 0xfff
	v_ldexp_f32 v102, v102, v103
	v_cndmask_b32_e64 v102, 0, v102, s6
	v_cmp_nlt_f32_e64 s6, 0x42b17218, v101
	s_delay_alu instid0(VALU_DEP_1) | instskip(SKIP_4) | instid1(VALU_DEP_2)
	v_cndmask_b32_e64 v178, 0x7f800000, v102, s6
	ds_bpermute_b32 v101, v225, v178
	v_cndmask_b32_e64 v99, v99, v178, s5
	v_cndmask_b32_e64 v100, v100, v178, s4
	s_waitcnt lgkmcnt(0)
	v_cndmask_b32_e64 v102, v99, v101, s3
	s_delay_alu instid0(VALU_DEP_2) | instskip(NEXT) | instid1(VALU_DEP_2)
	v_cndmask_b32_e32 v100, v100, v101, vcc_lo
	v_cvt_f16_f32_e32 v99, v102
	s_delay_alu instid0(VALU_DEP_2) | instskip(NEXT) | instid1(VALU_DEP_1)
	v_cvt_f16_f32_e32 v101, v100
	v_pack_b32_f16 v99, v99, v101
	v_sub_f32_e32 v101, v151, v113
	s_delay_alu instid0(VALU_DEP_1) | instskip(SKIP_1) | instid1(VALU_DEP_2)
	v_mul_f32_e32 v103, 0x3fb8aa3b, v101
	v_cmp_ngt_f32_e64 s6, 0xc2ce8ed0, v101
	v_fma_f32 v104, 0x3fb8aa3b, v101, -v103
	v_rndne_f32_e32 v105, v103
	s_delay_alu instid0(VALU_DEP_2) | instskip(NEXT) | instid1(VALU_DEP_2)
	v_fmac_f32_e32 v104, 0x32a5705f, v101
	v_sub_f32_e32 v103, v103, v105
	s_delay_alu instid0(VALU_DEP_1) | instskip(SKIP_1) | instid1(VALU_DEP_2)
	v_add_f32_e32 v103, v103, v104
	v_cvt_i32_f32_e32 v104, v105
	v_exp_f32_e32 v103, v103
	s_waitcnt_depctr 0xfff
	v_ldexp_f32 v103, v103, v104
	s_delay_alu instid0(VALU_DEP_1) | instskip(SKIP_1) | instid1(VALU_DEP_1)
	v_cndmask_b32_e64 v103, 0, v103, s6
	v_cmp_nlt_f32_e64 s6, 0x42b17218, v101
	v_cndmask_b32_e64 v179, 0x7f800000, v103, s6
	s_delay_alu instid0(VALU_DEP_1) | instskip(SKIP_4) | instid1(VALU_DEP_2)
	v_cndmask_b32_e64 v101, v102, v179, s5
	ds_bpermute_b32 v102, v225, v179
	v_cndmask_b32_e64 v100, v100, v179, s4
	s_waitcnt lgkmcnt(0)
	v_cndmask_b32_e64 v101, v101, v102, s3
	v_cndmask_b32_e32 v102, v100, v102, vcc_lo
	s_delay_alu instid0(VALU_DEP_2) | instskip(NEXT) | instid1(VALU_DEP_2)
	v_cvt_f16_f32_e32 v100, v101
	v_cvt_f16_f32_e32 v103, v102
	s_delay_alu instid0(VALU_DEP_1) | instskip(SKIP_1) | instid1(VALU_DEP_1)
	v_pack_b32_f16 v100, v100, v103
	v_sub_f32_e32 v103, v153, v113
	v_mul_f32_e32 v104, 0x3fb8aa3b, v103
	v_cmp_ngt_f32_e64 s6, 0xc2ce8ed0, v103
	s_delay_alu instid0(VALU_DEP_2) | instskip(SKIP_1) | instid1(VALU_DEP_1)
	v_fma_f32 v105, 0x3fb8aa3b, v103, -v104
	v_rndne_f32_e32 v106, v104
	v_dual_fmac_f32 v105, 0x32a5705f, v103 :: v_dual_sub_f32 v104, v104, v106
	s_delay_alu instid0(VALU_DEP_1) | instskip(SKIP_1) | instid1(VALU_DEP_2)
	v_add_f32_e32 v104, v104, v105
	v_cvt_i32_f32_e32 v105, v106
	v_exp_f32_e32 v104, v104
	s_waitcnt_depctr 0xfff
	v_ldexp_f32 v104, v104, v105
	s_delay_alu instid0(VALU_DEP_1) | instskip(SKIP_1) | instid1(VALU_DEP_1)
	v_cndmask_b32_e64 v104, 0, v104, s6
	v_cmp_nlt_f32_e64 s6, 0x42b17218, v103
	v_cndmask_b32_e64 v180, 0x7f800000, v104, s6
	ds_bpermute_b32 v103, v225, v180
	v_cndmask_b32_e64 v101, v101, v180, s5
	v_cndmask_b32_e64 v102, v102, v180, s4
	s_waitcnt lgkmcnt(0)
	s_delay_alu instid0(VALU_DEP_2) | instskip(NEXT) | instid1(VALU_DEP_2)
	v_cndmask_b32_e64 v104, v101, v103, s3
	v_cndmask_b32_e32 v102, v102, v103, vcc_lo
	s_delay_alu instid0(VALU_DEP_2) | instskip(NEXT) | instid1(VALU_DEP_2)
	v_cvt_f16_f32_e32 v101, v104
	v_cvt_f16_f32_e32 v103, v102
	s_delay_alu instid0(VALU_DEP_1) | instskip(SKIP_1) | instid1(VALU_DEP_1)
	v_pack_b32_f16 v101, v101, v103
	v_sub_f32_e32 v103, v152, v113
	v_mul_f32_e32 v105, 0x3fb8aa3b, v103
	v_cmp_ngt_f32_e64 s6, 0xc2ce8ed0, v103
	s_delay_alu instid0(VALU_DEP_2) | instskip(SKIP_1) | instid1(VALU_DEP_2)
	v_fma_f32 v106, 0x3fb8aa3b, v103, -v105
	v_rndne_f32_e32 v107, v105
	v_fmac_f32_e32 v106, 0x32a5705f, v103
	s_delay_alu instid0(VALU_DEP_2) | instskip(NEXT) | instid1(VALU_DEP_1)
	v_sub_f32_e32 v105, v105, v107
	v_add_f32_e32 v105, v105, v106
	v_cvt_i32_f32_e32 v106, v107
	s_delay_alu instid0(VALU_DEP_2) | instskip(SKIP_2) | instid1(VALU_DEP_1)
	v_exp_f32_e32 v105, v105
	s_waitcnt_depctr 0xfff
	v_ldexp_f32 v105, v105, v106
	v_cndmask_b32_e64 v105, 0, v105, s6
	v_cmp_nlt_f32_e64 s6, 0x42b17218, v103
	s_delay_alu instid0(VALU_DEP_1) | instskip(NEXT) | instid1(VALU_DEP_1)
	v_cndmask_b32_e64 v181, 0x7f800000, v105, s6
	v_cndmask_b32_e64 v103, v104, v181, s5
	ds_bpermute_b32 v104, v225, v181
	v_cndmask_b32_e64 v102, v102, v181, s4
	s_waitcnt lgkmcnt(0)
	v_cndmask_b32_e64 v103, v103, v104, s3
	s_delay_alu instid0(VALU_DEP_2) | instskip(NEXT) | instid1(VALU_DEP_2)
	v_cndmask_b32_e32 v104, v102, v104, vcc_lo
	v_cvt_f16_f32_e32 v102, v103
	s_delay_alu instid0(VALU_DEP_2) | instskip(NEXT) | instid1(VALU_DEP_1)
	v_cvt_f16_f32_e32 v105, v104
	v_pack_b32_f16 v102, v102, v105
	v_sub_f32_e32 v105, v148, v113
	s_delay_alu instid0(VALU_DEP_1) | instskip(SKIP_1) | instid1(VALU_DEP_2)
	v_mul_f32_e32 v106, 0x3fb8aa3b, v105
	v_cmp_ngt_f32_e64 s6, 0xc2ce8ed0, v105
	v_fma_f32 v107, 0x3fb8aa3b, v105, -v106
	v_rndne_f32_e32 v108, v106
	s_delay_alu instid0(VALU_DEP_1) | instskip(NEXT) | instid1(VALU_DEP_1)
	v_dual_fmac_f32 v107, 0x32a5705f, v105 :: v_dual_sub_f32 v106, v106, v108
	v_add_f32_e32 v106, v106, v107
	v_cvt_i32_f32_e32 v107, v108
	s_delay_alu instid0(VALU_DEP_2) | instskip(SKIP_2) | instid1(VALU_DEP_1)
	v_exp_f32_e32 v106, v106
	s_waitcnt_depctr 0xfff
	v_ldexp_f32 v106, v106, v107
	v_cndmask_b32_e64 v106, 0, v106, s6
	v_cmp_nlt_f32_e64 s6, 0x42b17218, v105
	s_delay_alu instid0(VALU_DEP_1) | instskip(SKIP_4) | instid1(VALU_DEP_2)
	v_cndmask_b32_e64 v148, 0x7f800000, v106, s6
	ds_bpermute_b32 v105, v225, v148
	v_cndmask_b32_e64 v103, v103, v148, s5
	v_cndmask_b32_e64 v104, v104, v148, s4
	s_waitcnt lgkmcnt(0)
	v_cndmask_b32_e64 v103, v103, v105, s3
	s_delay_alu instid0(VALU_DEP_2) | instskip(NEXT) | instid1(VALU_DEP_2)
	v_dual_cndmask_b32 v104, v104, v105 :: v_dual_add_nc_u32 v105, 0x2800, v210
	v_cvt_f16_f32_e32 v103, v103
	s_delay_alu instid0(VALU_DEP_2) | instskip(NEXT) | instid1(VALU_DEP_1)
	v_cvt_f16_f32_e32 v104, v104
	v_pack_b32_f16 v103, v103, v104
	v_add_nc_u32_e32 v104, 0x2600, v210
	ds_load_b32 v182, v230 offset:1088
	ds_load_2addr_b32 v[114:115], v104 offset0:84 offset1:152
	ds_load_2addr_b32 v[116:117], v105 offset0:92 offset1:228
	v_add_nc_u32_e32 v104, 0x2e00, v210
	v_add_nc_u32_e32 v105, 0x2400, v210
	ds_load_2addr_b32 v[124:125], v109 offset0:40 offset1:108
	ds_load_2addr_b32 v[118:119], v104 offset0:116 offset1:184
	v_add_nc_u32_e32 v104, 0x2000, v210
	ds_load_2addr_b32 v[122:123], v105 offset0:8 offset1:76
	ds_load_2addr_b32 v[120:121], v104 offset0:128 offset1:196
	s_waitcnt lgkmcnt(5)
	v_perm_b32 v106, v114, v182, 0x5040100
	s_waitcnt lgkmcnt(4)
	v_perm_b32 v107, v116, v115, 0x5040100
	v_perm_b32 v108, v117, v216, 0x5040100
	s_waitcnt lgkmcnt(3)
	v_perm_b32 v109, v125, v124, 0x5040100
	s_waitcnt lgkmcnt(2)
	v_perm_b32 v110, v118, v142, 0x5040100
	v_perm_b32 v111, v217, v119, 0x5040100
	s_waitcnt lgkmcnt(1)
	v_perm_b32 v105, v123, v122, 0x5040100
	s_waitcnt lgkmcnt(0)
	v_perm_b32 v104, v121, v120, 0x5040100
	s_delay_alu instid0(VALU_DEP_1)
	v_wmma_f16_16x16x16_f16 v[24:31], v[104:111], v[96:103], v[24:31]
	v_add_nc_u32_e32 v104, 0x2600, v149
	v_add_nc_u32_e32 v105, 0x2800, v149
	ds_load_2addr_b32 v[126:127], v104 offset0:84 offset1:152
	ds_load_b32 v183, v252 offset:1088
	ds_load_2addr_b32 v[128:129], v105 offset0:92 offset1:228
	ds_load_b32 v184, v252 offset:2176
	ds_load_b32 v185, v149 offset:12784
	v_add_nc_u32_e32 v104, 0x2e00, v149
	v_add_nc_u32_e32 v105, 0x2400, v149
	;; [unrolled: 1-line block ×3, first 2 shown]
	ds_load_2addr_b32 v[130:131], v104 offset0:116 offset1:184
	v_add_nc_u32_e32 v104, 0x2000, v149
	ds_load_2addr_b32 v[134:135], v105 offset0:8 offset1:76
	ds_load_2addr_b32 v[136:137], v109 offset0:40 offset1:108
	;; [unrolled: 1-line block ×3, first 2 shown]
	s_waitcnt lgkmcnt(7)
	v_perm_b32 v106, v126, v183, 0x5040100
	s_waitcnt lgkmcnt(6)
	v_perm_b32 v107, v128, v127, 0x5040100
	;; [unrolled: 2-line block ×4, first 2 shown]
	v_perm_b32 v111, v185, v131, 0x5040100
	s_waitcnt lgkmcnt(2)
	v_perm_b32 v105, v135, v134, 0x5040100
	s_waitcnt lgkmcnt(1)
	;; [unrolled: 2-line block ×3, first 2 shown]
	v_perm_b32 v104, v133, v132, 0x5040100
	s_delay_alu instid0(VALU_DEP_1)
	v_wmma_f16_16x16x16_f16 v[16:23], v[104:111], v[96:103], v[16:23]
	v_add_nc_u32_e32 v104, 0x2600, v237
	v_add_nc_u32_e32 v105, 0x2800, v237
	ds_load_2addr_b32 v[138:139], v104 offset0:84 offset1:152
	ds_load_b32 v186, v212 offset:1088
	ds_load_2addr_b32 v[140:141], v105 offset0:92 offset1:228
	ds_load_b32 v187, v212 offset:2176
	v_add_nc_u32_e32 v104, 0x2e00, v237
	v_add_nc_u32_e32 v105, 0x2400, v237
	;; [unrolled: 1-line block ×3, first 2 shown]
	ds_load_2addr_b32 v[151:152], v104 offset0:116 offset1:184
	v_add_nc_u32_e32 v104, 0x2000, v237
	ds_load_2addr_b32 v[161:162], v105 offset0:8 offset1:76
	ds_load_2addr_b32 v[163:164], v109 offset0:40 offset1:108
	;; [unrolled: 1-line block ×3, first 2 shown]
	s_waitcnt lgkmcnt(6)
	v_perm_b32 v106, v138, v186, 0x5040100
	s_waitcnt lgkmcnt(5)
	v_perm_b32 v107, v140, v139, 0x5040100
	;; [unrolled: 2-line block ×4, first 2 shown]
	v_perm_b32 v111, v144, v152, 0x5040100
	s_waitcnt lgkmcnt(2)
	v_perm_b32 v105, v162, v161, 0x5040100
	s_waitcnt lgkmcnt(1)
	v_perm_b32 v109, v164, v163, 0x5040100
	s_waitcnt lgkmcnt(0)
	v_perm_b32 v104, v154, v153, 0x5040100
	s_delay_alu instid0(VALU_DEP_1)
	v_wmma_f16_16x16x16_f16 v[8:15], v[104:111], v[96:103], v[8:15]
	v_add_nc_u32_e32 v104, 0x2000, v239
	v_add_nc_u32_e32 v107, 0x2800, v239
	;; [unrolled: 1-line block ×6, first 2 shown]
	ds_load_2addr_b32 v[165:166], v104 offset0:128 offset1:196
	ds_load_2addr_b32 v[167:168], v105 offset0:8 offset1:76
	ds_load_b32 v188, v211 offset:1088
	ds_load_2addr_b32 v[169:170], v106 offset0:84 offset1:152
	ds_load_2addr_b32 v[171:172], v107 offset0:92 offset1:228
	ds_load_b32 v191, v211 offset:2176
	ds_load_b32 v192, v211 offset:3264
	ds_load_2addr_b32 v[173:174], v109 offset0:40 offset1:108
	ds_load_2addr_b32 v[175:176], v110 offset0:116 offset1:184
	s_waitcnt lgkmcnt(8)
	v_perm_b32 v104, v166, v165, 0x5040100
	s_waitcnt lgkmcnt(7)
	v_perm_b32 v105, v168, v167, 0x5040100
	s_waitcnt lgkmcnt(5)
	v_perm_b32 v106, v169, v188, 0x5040100
	s_waitcnt lgkmcnt(4)
	v_perm_b32 v107, v171, v170, 0x5040100
	s_waitcnt lgkmcnt(3)
	v_perm_b32 v108, v172, v191, 0x5040100
	s_waitcnt lgkmcnt(1)
	v_perm_b32 v109, v174, v173, 0x5040100
	s_waitcnt lgkmcnt(0)
	v_perm_b32 v110, v175, v192, 0x5040100
	v_perm_b32 v111, v208, v176, 0x5040100
	s_delay_alu instid0(VALU_DEP_1)
	v_wmma_f16_16x16x16_f16 v[0:7], v[104:111], v[96:103], v[0:7]
	v_perm_b32 v106, v114, v182, 0x7060302
	v_perm_b32 v107, v116, v115, 0x7060302
	;; [unrolled: 1-line block ×8, first 2 shown]
	s_delay_alu instid0(VALU_DEP_1)
	v_wmma_f16_16x16x16_f16 v[24:31], v[104:111], v[96:103], v[24:31] op_sel:[0,0,1]
	v_perm_b32 v106, v126, v183, 0x7060302
	v_perm_b32 v107, v128, v127, 0x7060302
	;; [unrolled: 1-line block ×8, first 2 shown]
	s_delay_alu instid0(VALU_DEP_1)
	v_wmma_f16_16x16x16_f16 v[16:23], v[104:111], v[96:103], v[16:23] op_sel:[0,0,1]
	v_perm_b32 v106, v138, v186, 0x7060302
	v_perm_b32 v107, v140, v139, 0x7060302
	;; [unrolled: 1-line block ×8, first 2 shown]
	s_clause 0x3
	scratch_load_b64 v[138:139], off, off offset:28
	scratch_load_b32 v187, off, off offset:4
	scratch_load_b64 v[140:141], off, off offset:36
	scratch_load_b64 v[144:145], off, off offset:52
	v_wmma_f16_16x16x16_f16 v[8:15], v[104:111], v[96:103], v[8:15] op_sel:[0,0,1]
	v_perm_b32 v106, v169, v188, 0x7060302
	v_perm_b32 v107, v171, v170, 0x7060302
	scratch_load_b64 v[169:170], off, off offset:76 ; 8-byte Folded Reload
	v_perm_b32 v108, v172, v191, 0x7060302
	scratch_load_b64 v[171:172], off, off offset:84 ; 8-byte Folded Reload
	v_perm_b32 v110, v175, v192, 0x7060302
	v_perm_b32 v111, v208, v176, 0x7060302
	;; [unrolled: 1-line block ×5, first 2 shown]
	s_clause 0x5
	scratch_load_b32 v188, off, off offset:8
	scratch_load_b32 v208, off, off offset:24
	scratch_load_b64 v[175:176], off, off offset:100
	scratch_load_b64 v[165:166], off, off offset:60
	;; [unrolled: 1-line block ×4, first 2 shown]
	v_wmma_f16_16x16x16_f16 v[0:7], v[104:111], v[96:103], v[0:7] op_sel:[0,0,1]
	v_add_f32_e32 v96, v194, v195
	s_delay_alu instid0(VALU_DEP_1) | instskip(NEXT) | instid1(VALU_DEP_1)
	v_dual_mov_b32 v97, v190 :: v_dual_add_f32 v96, v197, v96
	v_add_f32_e32 v96, v198, v96
	s_delay_alu instid0(VALU_DEP_1) | instskip(NEXT) | instid1(VALU_DEP_1)
	v_add_f32_e32 v96, v199, v96
	v_add_f32_e32 v96, v196, v96
	scratch_load_b32 v196, off, off offset:12 ; 4-byte Folded Reload
	v_add_f32_e32 v96, v200, v96
	s_delay_alu instid0(VALU_DEP_1) | instskip(NEXT) | instid1(VALU_DEP_1)
	v_add_f32_e32 v96, v201, v96
	v_add_f32_e32 v96, v143, v96
	scratch_load_b64 v[142:143], off, off offset:44 ; 8-byte Folded Reload
	v_add_f32_e32 v96, v150, v96
	scratch_load_b32 v150, off, off         ; 4-byte Folded Reload
	v_add_f32_e32 v96, v177, v96
	s_delay_alu instid0(VALU_DEP_1) | instskip(SKIP_2) | instid1(VALU_DEP_1)
	v_add_f32_e32 v96, v178, v96
	scratch_load_b64 v[177:178], off, off offset:108 ; 8-byte Folded Reload
	v_add_f32_e32 v96, v179, v96
	v_add_f32_e32 v96, v180, v96
	scratch_load_b64 v[179:180], off, off offset:116 ; 8-byte Folded Reload
	s_waitcnt vmcnt(0)
	s_barrier
	buffer_gl0_inv
	v_add_f32_e32 v96, v181, v96
	s_delay_alu instid0(VALU_DEP_1) | instskip(NEXT) | instid1(VALU_DEP_1)
	v_add_f32_e32 v190, v148, v96
	v_fmac_f32_e32 v190, v97, v202
	s_cbranch_scc1 .LBB24_53
; %bb.54:                               ;   in Loop: Header=BB24_12 Depth=1
	s_clause 0xc
	scratch_load_b32 v148, off, off offset:212
	scratch_load_b32 v181, off, off offset:216
	;; [unrolled: 1-line block ×13, first 2 shown]
	v_dual_mov_b32 v193, v231 :: v_dual_mov_b32 v206, v189
	v_dual_mov_b32 v151, v224 :: v_dual_mov_b32 v152, v213
	s_mov_b32 s75, s78
	s_mov_b32 s78, s77
	s_mov_b32 s77, s76
	s_mov_b32 s76, s54
	s_mov_b32 s54, s61
	s_mov_b32 s61, s88
	s_mov_b32 s88, s89
	s_mov_b32 s89, s90
	s_mov_b32 s90, s91
	s_mov_b32 s91, s92
	s_mov_b32 s92, s93
	s_mov_b32 s93, s56
	s_mov_b64 s[56:57], s[50:51]
	s_mov_b64 s[50:51], s[52:53]
	;; [unrolled: 1-line block ×3, first 2 shown]
.LBB24_55:                              ;   in Loop: Header=BB24_12 Depth=1
	s_lshl_b32 s4, s100, 6
	v_dual_mov_b32 v121, s43 :: v_dual_lshlrev_b32 v96, 1, v206
	s_ashr_i32 s5, s4, 31
	v_dual_mov_b32 v115, s37 :: v_dual_add_nc_u32 v122, v241, v229
	s_lshl_b64 s[6:7], s[4:5], 1
	v_mov_b32_e32 v120, s42
	v_add_co_u32 v97, vcc_lo, v152, s6
	v_add_co_ci_u32_e32 v98, vcc_lo, s7, v151, vcc_lo
	s_mul_hi_i32 s7, s12, s4
	s_delay_alu instid0(VALU_DEP_2) | instskip(SKIP_1) | instid1(VALU_DEP_3)
	v_add_co_u32 v100, vcc_lo, v97, v96
	v_lshlrev_b64 v[96:97], 1, v[159:160]
	v_add_co_ci_u32_e32 v101, vcc_lo, 0, v98, vcc_lo
	v_lshlrev_b64 v[98:99], 1, v[157:158]
	s_mul_i32 s6, s12, s4
	v_mov_b32_e32 v118, s40
	s_delay_alu instid0(VALU_DEP_4) | instskip(SKIP_1) | instid1(VALU_DEP_4)
	v_add_co_u32 v96, vcc_lo, v100, v96
	v_add_co_ci_u32_e32 v97, vcc_lo, v101, v97, vcc_lo
	v_add_co_u32 v98, vcc_lo, v100, v98
	v_add_co_ci_u32_e32 v99, vcc_lo, v101, v99, vcc_lo
	s_clause 0x1
	global_load_b32 v96, v[96:97], off
	global_load_b32 v97, v[98:99], off
	v_dual_mov_b32 v119, s41 :: v_dual_add_nc_u32 v98, v242, v251
	s_lshl_b64 s[6:7], s[6:7], 2
	v_mov_b32_e32 v117, s39
	s_add_u32 s3, s97, s6
	s_delay_alu instid0(VALU_DEP_2)
	v_add_nc_u32_e32 v98, 0x4400, v98
	s_addc_u32 s5, s98, s7
	v_mov_b32_e32 v116, s38
	v_mov_b32_e32 v114, s36
	s_waitcnt vmcnt(0)
	ds_store_2addr_b32 v98, v96, v97 offset1:144
	v_add_co_u32 v96, vcc_lo, s3, v165
	v_add_co_ci_u32_e32 v97, vcc_lo, s5, v166, vcc_lo
	s_delay_alu instid0(VALU_DEP_2) | instskip(NEXT) | instid1(VALU_DEP_2)
	v_add_co_u32 v96, vcc_lo, v96, v254
	v_add_co_ci_u32_e32 v97, vcc_lo, 0, v97, vcc_lo
	v_add_co_u32 v98, vcc_lo, s3, v167
	v_add_co_ci_u32_e32 v99, vcc_lo, s5, v168, vcc_lo
	s_delay_alu instid0(VALU_DEP_2) | instskip(NEXT) | instid1(VALU_DEP_2)
	v_add_co_u32 v100, vcc_lo, v98, v254
	v_add_co_ci_u32_e32 v101, vcc_lo, 0, v99, vcc_lo
	s_clause 0x1
	global_load_b128 v[96:99], v[96:97], off
	global_load_b128 v[100:103], v[100:101], off
	s_waitcnt vmcnt(1)
	ds_store_b128 v236, v[96:99]
	s_waitcnt vmcnt(0)
	ds_store_b128 v150, v[100:103]
	v_add_co_u32 v96, vcc_lo, s3, v169
	v_add_co_ci_u32_e32 v97, vcc_lo, s5, v170, vcc_lo
	s_delay_alu instid0(VALU_DEP_2) | instskip(NEXT) | instid1(VALU_DEP_2)
	v_add_co_u32 v96, vcc_lo, v96, v254
	v_add_co_ci_u32_e32 v97, vcc_lo, 0, v97, vcc_lo
	v_add_co_u32 v98, vcc_lo, s3, v171
	v_add_co_ci_u32_e32 v99, vcc_lo, s5, v172, vcc_lo
	s_delay_alu instid0(VALU_DEP_2) | instskip(NEXT) | instid1(VALU_DEP_2)
	v_add_co_u32 v100, vcc_lo, v98, v254
	v_add_co_ci_u32_e32 v101, vcc_lo, 0, v99, vcc_lo
	s_clause 0x1
	global_load_b128 v[96:99], v[96:97], off
	global_load_b128 v[100:103], v[100:101], off
	s_waitcnt vmcnt(1)
	ds_store_b128 v187, v[96:99]
	s_waitcnt vmcnt(0)
	ds_store_b128 v188, v[100:103]
	;; [unrolled: 17-line block ×3, first 2 shown]
	v_add_co_u32 v96, vcc_lo, s3, v177
	v_add_co_ci_u32_e32 v97, vcc_lo, s5, v178, vcc_lo
	s_delay_alu instid0(VALU_DEP_2) | instskip(NEXT) | instid1(VALU_DEP_2)
	v_add_co_u32 v96, vcc_lo, v96, v254
	v_add_co_ci_u32_e32 v97, vcc_lo, 0, v97, vcc_lo
	v_add_co_u32 v98, vcc_lo, s3, v179
	v_add_co_ci_u32_e32 v99, vcc_lo, s5, v180, vcc_lo
	s_mul_hi_i32 s5, s10, s4
	s_delay_alu instid0(VALU_DEP_2) | instskip(NEXT) | instid1(VALU_DEP_2)
	v_add_co_u32 v100, vcc_lo, v98, v254
	v_add_co_ci_u32_e32 v101, vcc_lo, 0, v99, vcc_lo
	s_clause 0x1
	global_load_b128 v[96:99], v[96:97], off
	global_load_b128 v[100:103], v[100:101], off
	v_cmp_lt_i32_e32 vcc_lo, v112, v146
	s_mul_i32 s4, s10, s4
	s_waitcnt vmcnt(1)
	ds_store_b128 v207, v[96:99]
	s_waitcnt vmcnt(0)
	ds_store_b128 v208, v[100:103]
	s_waitcnt lgkmcnt(0)
	s_barrier
	buffer_gl0_inv
	ds_load_b128 v[96:99], v122
	ds_load_b128 v[100:103], v122 offset:16
	ds_load_b128 v[104:107], v122 offset:8704
	;; [unrolled: 1-line block ×3, first 2 shown]
	s_lshl_b64 s[4:5], s[4:5], 2
	s_delay_alu instid0(SALU_CYCLE_1)
	s_add_u32 s3, s95, s4
	s_addc_u32 s4, s96, s5
	v_cmp_eq_u32_e64 s5, 1, v244
	s_cmp_lg_u64 s[72:73], 0
	s_waitcnt lgkmcnt(2)
	v_wmma_f32_16x16x16_f16 v[157:164], v[96:103], v[56:63], v[114:121]
	s_waitcnt lgkmcnt(0)
	v_wmma_f32_16x16x16_f16 v[96:103], v[104:111], v[56:63], v[114:121]
	ds_load_b128 v[56:59], v122 offset:32
	ds_load_b128 v[60:63], v122 offset:48
	s_waitcnt lgkmcnt(0)
	v_wmma_f32_16x16x16_f16 v[157:164], v[56:63], v[40:47], v[157:164]
	ds_load_b128 v[56:59], v122 offset:8736
	ds_load_b128 v[60:63], v122 offset:8752
	;; [unrolled: 4-line block ×13, first 2 shown]
	v_add_nc_u32_e32 v87, 0x800, v210
	s_waitcnt lgkmcnt(0)
	v_wmma_f32_16x16x16_f16 v[157:164], v[32:39], v[88:95], v[157:164]
	ds_load_b128 v[32:35], v122 offset:8928
	ds_load_b128 v[36:39], v122 offset:8944
	s_waitcnt lgkmcnt(0)
	s_barrier
	buffer_gl0_inv
	v_wmma_f32_16x16x16_f16 v[96:103], v[32:39], v[88:95], v[96:103]
	ds_load_u16 v32, v209 offset:17408
	ds_load_u16 v33, v209 offset:17412
	;; [unrolled: 1-line block ×16, first 2 shown]
	v_add_nc_u32_e32 v88, 0xc00, v210
	s_waitcnt lgkmcnt(15)
	v_cvt_f32_f16_e32 v32, v32
	s_waitcnt lgkmcnt(14)
	v_cvt_f32_f16_e32 v33, v33
	;; [unrolled: 2-line block ×6, first 2 shown]
	v_add_f32_e32 v33, v158, v33
	s_waitcnt lgkmcnt(5)
	v_cvt_f32_f16_e32 v42, v42
	v_add_f32_e32 v32, v157, v32
	v_cvt_f32_f16_e32 v36, v36
	v_cvt_f32_f16_e32 v37, v37
	v_dual_add_f32 v34, v159, v34 :: v_dual_add_f32 v77, v97, v41
	v_add_f32_e32 v35, v160, v35
	s_waitcnt lgkmcnt(4)
	v_cvt_f32_f16_e32 v43, v43
	v_dual_add_f32 v76, v96, v40 :: v_dual_add_f32 v41, 0x40051340, v33
	v_dual_add_f32 v75, v98, v42 :: v_dual_add_f32 v40, 0x40051340, v32
	v_cvt_f32_f16_e32 v38, v38
	v_cvt_f32_f16_e32 v39, v39
	v_add_f32_e32 v37, v162, v37
	s_waitcnt lgkmcnt(2)
	v_cvt_f32_f16_e32 v45, v45
	s_waitcnt lgkmcnt(1)
	v_cvt_f32_f16_e32 v46, v46
	v_add_f32_e32 v36, v161, v36
	v_add_f32_e32 v74, v99, v43
	v_max3_f32 v40, v113, v40, v41
	v_dual_add_f32 v41, 0x40051340, v34 :: v_dual_add_f32 v42, 0x40051340, v35
	v_add_f32_e32 v39, v164, v39
	v_cvt_f32_f16_e32 v44, v44
	v_add_f32_e32 v38, v163, v38
	s_waitcnt lgkmcnt(0)
	v_cvt_f32_f16_e32 v47, v47
	v_dual_add_f32 v71, v102, v46 :: v_dual_add_f32 v72, v101, v45
	v_max3_f32 v40, v40, v41, v42
	v_dual_add_f32 v41, 0x40051340, v36 :: v_dual_add_f32 v42, 0x40051340, v37
	s_delay_alu instid0(VALU_DEP_4) | instskip(NEXT) | instid1(VALU_DEP_2)
	v_dual_add_f32 v73, v100, v44 :: v_dual_add_f32 v70, v103, v47
	v_max3_f32 v40, v40, v41, v42
	v_dual_add_f32 v41, 0x40051340, v38 :: v_dual_add_f32 v42, 0x40051340, v39
	s_delay_alu instid0(VALU_DEP_1) | instskip(SKIP_1) | instid1(VALU_DEP_1)
	v_max3_f32 v40, v40, v41, v42
	v_dual_add_f32 v41, 0x40051340, v76 :: v_dual_add_f32 v42, 0x40051340, v77
	v_max3_f32 v40, v40, v41, v42
	v_dual_add_f32 v41, 0x40051340, v75 :: v_dual_add_f32 v42, 0x40051340, v74
	s_delay_alu instid0(VALU_DEP_1) | instskip(SKIP_1) | instid1(VALU_DEP_1)
	v_max3_f32 v40, v40, v41, v42
	;; [unrolled: 5-line block ×3, first 2 shown]
	v_cndmask_b32_e32 v41, v193, v112, vcc_lo
	v_lshlrev_b32_e32 v68, 2, v41
	ds_bpermute_b32 v41, v68, v40
	s_waitcnt lgkmcnt(0)
	v_max_f32_e32 v41, v41, v41
	s_delay_alu instid0(VALU_DEP_1) | instskip(NEXT) | instid1(VALU_DEP_1)
	v_max_f32_e32 v69, v40, v41
	v_sub_f32_e32 v32, v32, v69
	v_sub_f32_e32 v40, v113, v69
	;; [unrolled: 1-line block ×6, first 2 shown]
	v_mul_f32_e32 v41, 0x3fb8aa3b, v40
	v_cmp_ngt_f32_e32 vcc_lo, 0xc2ce8ed0, v40
	v_sub_f32_e32 v34, v34, v69
	v_sub_f32_e32 v38, v38, v69
	s_delay_alu instid0(VALU_DEP_4) | instskip(SKIP_1) | instid1(VALU_DEP_4)
	v_fma_f32 v42, 0x3fb8aa3b, v40, -v41
	v_rndne_f32_e32 v43, v41
	v_cmp_ngt_f32_e64 s6, 0xc2ce8ed0, v34
	s_delay_alu instid0(VALU_DEP_2) | instskip(NEXT) | instid1(VALU_DEP_1)
	v_dual_fmac_f32 v42, 0x32a5705f, v40 :: v_dual_sub_f32 v41, v41, v43
	v_add_f32_e32 v41, v41, v42
	v_cvt_i32_f32_e32 v42, v43
	s_delay_alu instid0(VALU_DEP_2) | instskip(SKIP_2) | instid1(VALU_DEP_1)
	v_exp_f32_e32 v41, v41
	s_waitcnt_depctr 0xfff
	v_ldexp_f32 v41, v41, v42
	v_cndmask_b32_e32 v41, 0, v41, vcc_lo
	v_cmp_nlt_f32_e32 vcc_lo, 0x42b17218, v40
	s_delay_alu instid0(VALU_DEP_2) | instskip(SKIP_1) | instid1(VALU_DEP_2)
	v_cndmask_b32_e32 v41, 0x7f800000, v41, vcc_lo
	v_cmp_le_f32_e32 vcc_lo, 0xc1a00000, v40
	v_cndmask_b32_e32 v78, 0, v41, vcc_lo
	s_delay_alu instid0(VALU_DEP_1) | instskip(NEXT) | instid1(VALU_DEP_1)
	v_cvt_f16_f32_e32 v40, v78
	v_pk_mul_f16 v24, v40, v24 op_sel_hi:[0,1]
	v_pk_mul_f16 v25, v40, v25 op_sel_hi:[0,1]
	;; [unrolled: 1-line block ×32, first 2 shown]
	v_add_co_u32 v40, vcc_lo, s3, v234
	v_add_co_ci_u32_e32 v41, vcc_lo, s4, v235, vcc_lo
	s_delay_alu instid0(VALU_DEP_2) | instskip(NEXT) | instid1(VALU_DEP_2)
	v_add_co_u32 v40, vcc_lo, v40, v254
	v_add_co_ci_u32_e32 v41, vcc_lo, 0, v41, vcc_lo
	v_add_co_u32 v42, vcc_lo, s3, v245
	v_add_co_ci_u32_e32 v43, vcc_lo, s4, v246, vcc_lo
	s_delay_alu instid0(VALU_DEP_2) | instskip(NEXT) | instid1(VALU_DEP_2)
	v_add_co_u32 v44, vcc_lo, v42, v254
	v_add_co_ci_u32_e32 v45, vcc_lo, 0, v43, vcc_lo
	s_clause 0x1
	global_load_b128 v[40:43], v[40:41], off
	global_load_b128 v[44:47], v[44:45], off
	s_waitcnt vmcnt(1)
	ds_store_b128 v236, v[40:43]
	s_waitcnt vmcnt(0)
	ds_store_b128 v150, v[44:47]
	v_add_co_u32 v40, vcc_lo, s3, v247
	v_add_co_ci_u32_e32 v41, vcc_lo, s4, v248, vcc_lo
	s_delay_alu instid0(VALU_DEP_2) | instskip(NEXT) | instid1(VALU_DEP_2)
	v_add_co_u32 v40, vcc_lo, v40, v254
	v_add_co_ci_u32_e32 v41, vcc_lo, 0, v41, vcc_lo
	v_add_co_u32 v42, vcc_lo, s3, v249
	v_add_co_ci_u32_e32 v43, vcc_lo, s4, v250, vcc_lo
	s_delay_alu instid0(VALU_DEP_2) | instskip(NEXT) | instid1(VALU_DEP_2)
	v_add_co_u32 v44, vcc_lo, v42, v254
	v_add_co_ci_u32_e32 v45, vcc_lo, 0, v43, vcc_lo
	s_clause 0x1
	global_load_b128 v[40:43], v[40:41], off
	global_load_b128 v[44:47], v[44:45], off
	s_waitcnt vmcnt(1)
	ds_store_b128 v187, v[40:43]
	s_waitcnt vmcnt(0)
	ds_store_b128 v188, v[44:47]
	;; [unrolled: 17-line block ×3, first 2 shown]
	v_add_co_u32 v40, vcc_lo, s3, v142
	v_add_co_ci_u32_e32 v41, vcc_lo, s4, v143, vcc_lo
	s_delay_alu instid0(VALU_DEP_2) | instskip(NEXT) | instid1(VALU_DEP_2)
	v_add_co_u32 v40, vcc_lo, v40, v254
	v_add_co_ci_u32_e32 v41, vcc_lo, 0, v41, vcc_lo
	v_add_co_u32 v42, vcc_lo, s3, v144
	v_add_co_ci_u32_e32 v43, vcc_lo, s4, v145, vcc_lo
	v_cmp_eq_u32_e64 s4, 0, v244
	s_delay_alu instid0(VALU_DEP_3) | instskip(NEXT) | instid1(VALU_DEP_3)
	v_add_co_u32 v44, vcc_lo, v42, v254
	v_add_co_ci_u32_e32 v45, vcc_lo, 0, v43, vcc_lo
	s_clause 0x1
	global_load_b128 v[40:43], v[40:41], off
	global_load_b128 v[44:47], v[44:45], off
	s_waitcnt vmcnt(1)
	ds_store_b128 v207, v[40:43]
	s_waitcnt vmcnt(0)
	ds_store_b128 v208, v[44:47]
	v_mul_f32_e32 v40, 0x3fb8aa3b, v33
	v_cmp_ngt_f32_e32 vcc_lo, 0xc2ce8ed0, v33
	s_waitcnt lgkmcnt(0)
	s_barrier
	buffer_gl0_inv
	v_fma_f32 v41, 0x3fb8aa3b, v33, -v40
	v_rndne_f32_e32 v42, v40
	s_delay_alu instid0(VALU_DEP_1) | instskip(SKIP_1) | instid1(VALU_DEP_2)
	v_dual_fmac_f32 v41, 0x32a5705f, v33 :: v_dual_sub_f32 v40, v40, v42
	v_cvt_i32_f32_e32 v42, v42
	v_dual_add_f32 v40, v40, v41 :: v_dual_mul_f32 v41, 0x3fb8aa3b, v32
	s_delay_alu instid0(VALU_DEP_1) | instskip(SKIP_1) | instid1(VALU_DEP_2)
	v_fma_f32 v43, 0x3fb8aa3b, v32, -v41
	v_rndne_f32_e32 v44, v41
	v_fmac_f32_e32 v43, 0x32a5705f, v32
	s_delay_alu instid0(VALU_DEP_2) | instskip(SKIP_1) | instid1(VALU_DEP_1)
	v_sub_f32_e32 v41, v41, v44
	v_exp_f32_e32 v40, v40
	v_add_f32_e32 v41, v41, v43
	v_cmp_ngt_f32_e64 s3, 0xc2ce8ed0, v32
	s_delay_alu instid0(VALU_DEP_2) | instskip(SKIP_3) | instid1(VALU_DEP_2)
	v_exp_f32_e32 v41, v41
	s_waitcnt_depctr 0xfff
	v_ldexp_f32 v40, v40, v42
	v_cvt_i32_f32_e32 v42, v44
	v_cndmask_b32_e32 v40, 0, v40, vcc_lo
	v_cmp_nlt_f32_e32 vcc_lo, 0x42b17218, v33
	s_delay_alu instid0(VALU_DEP_3) | instskip(NEXT) | instid1(VALU_DEP_3)
	v_ldexp_f32 v41, v41, v42
	v_cndmask_b32_e32 v80, 0x7f800000, v40, vcc_lo
	v_cmp_eq_u32_e32 vcc_lo, 1, v240
	v_sub_f32_e32 v39, v39, v69
	s_delay_alu instid0(VALU_DEP_4)
	v_cndmask_b32_e64 v33, 0, v41, s3
	v_cmp_nlt_f32_e64 s3, 0x42b17218, v32
	ds_bpermute_b32 v40, v68, v80
	v_add_nc_u32_e32 v89, 0x400, v210
	v_cndmask_b32_e64 v79, 0x7f800000, v33, s3
	v_cmp_eq_u32_e64 s3, 0, v240
	ds_bpermute_b32 v32, v68, v79
	s_waitcnt lgkmcnt(0)
	v_cndmask_b32_e64 v33, v79, v32, s3
	v_cndmask_b32_e32 v32, v79, v32, vcc_lo
	s_delay_alu instid0(VALU_DEP_2) | instskip(NEXT) | instid1(VALU_DEP_2)
	v_cndmask_b32_e64 v41, v33, v80, s4
	v_cndmask_b32_e64 v42, v32, v80, s5
	v_cvt_f16_f32_e32 v33, v33
	v_cvt_f16_f32_e32 v32, v32
	s_delay_alu instid0(VALU_DEP_4) | instskip(NEXT) | instid1(VALU_DEP_4)
	v_cndmask_b32_e64 v41, v41, v40, s3
	v_cndmask_b32_e32 v40, v42, v40, vcc_lo
	s_delay_alu instid0(VALU_DEP_3) | instskip(NEXT) | instid1(VALU_DEP_3)
	v_pack_b32_f16 v32, v33, v32
	v_cvt_f16_f32_e32 v42, v41
	s_delay_alu instid0(VALU_DEP_3) | instskip(NEXT) | instid1(VALU_DEP_1)
	v_cvt_f16_f32_e32 v43, v40
	v_pack_b32_f16 v33, v42, v43
	v_mul_f32_e32 v42, 0x3fb8aa3b, v34
	s_delay_alu instid0(VALU_DEP_1) | instskip(SKIP_1) | instid1(VALU_DEP_1)
	v_fma_f32 v43, 0x3fb8aa3b, v34, -v42
	v_rndne_f32_e32 v44, v42
	v_dual_fmac_f32 v43, 0x32a5705f, v34 :: v_dual_sub_f32 v42, v42, v44
	s_delay_alu instid0(VALU_DEP_1) | instskip(SKIP_1) | instid1(VALU_DEP_2)
	v_add_f32_e32 v42, v42, v43
	v_cvt_i32_f32_e32 v43, v44
	v_exp_f32_e32 v42, v42
	s_waitcnt_depctr 0xfff
	v_ldexp_f32 v42, v42, v43
	s_delay_alu instid0(VALU_DEP_1) | instskip(SKIP_1) | instid1(VALU_DEP_1)
	v_cndmask_b32_e64 v42, 0, v42, s6
	v_cmp_nlt_f32_e64 s6, 0x42b17218, v34
	v_cndmask_b32_e64 v81, 0x7f800000, v42, s6
	v_cmp_ngt_f32_e64 s6, 0xc2ce8ed0, v35
	s_delay_alu instid0(VALU_DEP_2) | instskip(SKIP_4) | instid1(VALU_DEP_2)
	v_cndmask_b32_e64 v34, v41, v81, s4
	ds_bpermute_b32 v41, v68, v81
	v_cndmask_b32_e64 v40, v40, v81, s5
	s_waitcnt lgkmcnt(0)
	v_cndmask_b32_e64 v42, v34, v41, s3
	v_cndmask_b32_e32 v40, v40, v41, vcc_lo
	s_delay_alu instid0(VALU_DEP_2) | instskip(NEXT) | instid1(VALU_DEP_2)
	v_cvt_f16_f32_e32 v34, v42
	v_cvt_f16_f32_e32 v41, v40
	s_delay_alu instid0(VALU_DEP_1) | instskip(SKIP_1) | instid1(VALU_DEP_1)
	v_pack_b32_f16 v34, v34, v41
	v_mul_f32_e32 v41, 0x3fb8aa3b, v35
	v_fma_f32 v43, 0x3fb8aa3b, v35, -v41
	v_rndne_f32_e32 v44, v41
	s_delay_alu instid0(VALU_DEP_2) | instskip(NEXT) | instid1(VALU_DEP_2)
	v_fmac_f32_e32 v43, 0x32a5705f, v35
	v_sub_f32_e32 v41, v41, v44
	s_delay_alu instid0(VALU_DEP_1) | instskip(SKIP_1) | instid1(VALU_DEP_2)
	v_add_f32_e32 v41, v41, v43
	v_cvt_i32_f32_e32 v43, v44
	v_exp_f32_e32 v41, v41
	s_waitcnt_depctr 0xfff
	v_ldexp_f32 v41, v41, v43
	s_delay_alu instid0(VALU_DEP_1) | instskip(SKIP_1) | instid1(VALU_DEP_1)
	v_cndmask_b32_e64 v41, 0, v41, s6
	v_cmp_nlt_f32_e64 s6, 0x42b17218, v35
	v_cndmask_b32_e64 v82, 0x7f800000, v41, s6
	ds_bpermute_b32 v41, v68, v82
	v_cndmask_b32_e64 v35, v42, v82, s4
	v_cndmask_b32_e64 v40, v40, v82, s5
	s_waitcnt lgkmcnt(0)
	s_delay_alu instid0(VALU_DEP_2) | instskip(NEXT) | instid1(VALU_DEP_2)
	v_cndmask_b32_e64 v42, v35, v41, s3
	v_cndmask_b32_e32 v40, v40, v41, vcc_lo
	s_delay_alu instid0(VALU_DEP_2) | instskip(NEXT) | instid1(VALU_DEP_2)
	v_cvt_f16_f32_e32 v35, v42
	v_cvt_f16_f32_e32 v41, v40
	s_delay_alu instid0(VALU_DEP_1) | instskip(SKIP_1) | instid1(VALU_DEP_1)
	v_pack_b32_f16 v35, v35, v41
	v_mul_f32_e32 v41, 0x3fb8aa3b, v36
	v_fma_f32 v43, 0x3fb8aa3b, v36, -v41
	v_rndne_f32_e32 v44, v41
	s_delay_alu instid0(VALU_DEP_1) | instskip(NEXT) | instid1(VALU_DEP_3)
	v_sub_f32_e32 v41, v41, v44
	v_fmac_f32_e32 v43, 0x32a5705f, v36
	v_cmp_ngt_f32_e64 s6, 0xc2ce8ed0, v36
	s_delay_alu instid0(VALU_DEP_2) | instskip(SKIP_1) | instid1(VALU_DEP_2)
	v_add_f32_e32 v41, v41, v43
	v_cvt_i32_f32_e32 v43, v44
	v_exp_f32_e32 v41, v41
	s_waitcnt_depctr 0xfff
	v_ldexp_f32 v41, v41, v43
	s_delay_alu instid0(VALU_DEP_1) | instskip(SKIP_1) | instid1(VALU_DEP_1)
	v_cndmask_b32_e64 v41, 0, v41, s6
	v_cmp_nlt_f32_e64 s6, 0x42b17218, v36
	v_cndmask_b32_e64 v83, 0x7f800000, v41, s6
	v_cmp_ngt_f32_e64 s6, 0xc2ce8ed0, v37
	ds_bpermute_b32 v41, v68, v83
	v_cndmask_b32_e64 v36, v42, v83, s4
	v_cndmask_b32_e64 v40, v40, v83, s5
	s_waitcnt lgkmcnt(0)
	s_delay_alu instid0(VALU_DEP_2) | instskip(NEXT) | instid1(VALU_DEP_2)
	v_cndmask_b32_e64 v42, v36, v41, s3
	v_cndmask_b32_e32 v40, v40, v41, vcc_lo
	s_delay_alu instid0(VALU_DEP_2) | instskip(NEXT) | instid1(VALU_DEP_2)
	v_cvt_f16_f32_e32 v36, v42
	v_cvt_f16_f32_e32 v41, v40
	s_delay_alu instid0(VALU_DEP_1) | instskip(SKIP_1) | instid1(VALU_DEP_1)
	v_pack_b32_f16 v36, v36, v41
	v_mul_f32_e32 v41, 0x3fb8aa3b, v37
	v_fma_f32 v43, 0x3fb8aa3b, v37, -v41
	v_rndne_f32_e32 v44, v41
	s_delay_alu instid0(VALU_DEP_2) | instskip(NEXT) | instid1(VALU_DEP_2)
	v_fmac_f32_e32 v43, 0x32a5705f, v37
	v_sub_f32_e32 v41, v41, v44
	s_delay_alu instid0(VALU_DEP_1) | instskip(SKIP_1) | instid1(VALU_DEP_2)
	v_add_f32_e32 v41, v41, v43
	v_cvt_i32_f32_e32 v43, v44
	v_exp_f32_e32 v41, v41
	s_waitcnt_depctr 0xfff
	v_ldexp_f32 v41, v41, v43
	s_delay_alu instid0(VALU_DEP_1) | instskip(SKIP_1) | instid1(VALU_DEP_1)
	v_cndmask_b32_e64 v41, 0, v41, s6
	v_cmp_nlt_f32_e64 s6, 0x42b17218, v37
	v_cndmask_b32_e64 v84, 0x7f800000, v41, s6
	v_cmp_ngt_f32_e64 s6, 0xc2ce8ed0, v38
	ds_bpermute_b32 v41, v68, v84
	v_cndmask_b32_e64 v37, v42, v84, s4
	v_cndmask_b32_e64 v40, v40, v84, s5
	s_waitcnt lgkmcnt(0)
	s_delay_alu instid0(VALU_DEP_2) | instskip(NEXT) | instid1(VALU_DEP_2)
	v_cndmask_b32_e64 v42, v37, v41, s3
	v_cndmask_b32_e32 v40, v40, v41, vcc_lo
	s_delay_alu instid0(VALU_DEP_2) | instskip(NEXT) | instid1(VALU_DEP_2)
	v_cvt_f16_f32_e32 v37, v42
	v_cvt_f16_f32_e32 v41, v40
	s_delay_alu instid0(VALU_DEP_1) | instskip(SKIP_1) | instid1(VALU_DEP_1)
	v_pack_b32_f16 v37, v37, v41
	v_mul_f32_e32 v41, 0x3fb8aa3b, v38
	v_fma_f32 v43, 0x3fb8aa3b, v38, -v41
	v_rndne_f32_e32 v44, v41
	s_delay_alu instid0(VALU_DEP_2) | instskip(NEXT) | instid1(VALU_DEP_2)
	v_fmac_f32_e32 v43, 0x32a5705f, v38
	v_sub_f32_e32 v41, v41, v44
	s_delay_alu instid0(VALU_DEP_1) | instskip(SKIP_1) | instid1(VALU_DEP_2)
	;; [unrolled: 29-line block ×3, first 2 shown]
	v_add_f32_e32 v41, v41, v43
	v_cvt_i32_f32_e32 v43, v44
	v_exp_f32_e32 v41, v41
	s_waitcnt_depctr 0xfff
	v_ldexp_f32 v41, v41, v43
	s_delay_alu instid0(VALU_DEP_1) | instskip(SKIP_1) | instid1(VALU_DEP_1)
	v_cndmask_b32_e64 v41, 0, v41, s6
	v_cmp_nlt_f32_e64 s6, 0x42b17218, v39
	v_cndmask_b32_e64 v86, 0x7f800000, v41, s6
	ds_bpermute_b32 v41, v68, v86
	v_cndmask_b32_e64 v39, v42, v86, s4
	v_cndmask_b32_e64 v40, v40, v86, s5
	s_waitcnt lgkmcnt(0)
	s_delay_alu instid0(VALU_DEP_2) | instskip(NEXT) | instid1(VALU_DEP_2)
	v_cndmask_b32_e64 v39, v39, v41, s3
	v_cndmask_b32_e32 v40, v40, v41, vcc_lo
	s_delay_alu instid0(VALU_DEP_2) | instskip(NEXT) | instid1(VALU_DEP_2)
	v_cvt_f16_f32_e32 v39, v39
	v_cvt_f16_f32_e32 v40, v40
	s_delay_alu instid0(VALU_DEP_1)
	v_pack_b32_f16 v39, v39, v40
	ds_load_2addr_b32 v[40:41], v210 offset1:16
	ds_load_2addr_b32 v[42:43], v210 offset0:68 offset1:84
	ds_load_2addr_b32 v[44:45], v210 offset0:136 offset1:152
	;; [unrolled: 1-line block ×13, first 2 shown]
	s_waitcnt lgkmcnt(12)
	v_perm_b32 v90, v42, v40, 0x5040100
	s_waitcnt lgkmcnt(10)
	v_perm_b32 v91, v46, v44, 0x5040100
	;; [unrolled: 2-line block ×8, first 2 shown]
	v_perm_b32 v98, v61, v59, 0x5040100
	s_delay_alu instid0(VALU_DEP_2)
	v_wmma_f16_16x16x16_f16 v[24:31], v[90:97], v[32:39], v[24:31]
	ds_load_b32 v90, v149 offset:2176
	ds_load_b32 v91, v149 offset:3264
	;; [unrolled: 1-line block ×4, first 2 shown]
	ds_load_2addr_b32 v[101:102], v89 offset0:100 offset1:116
	ds_load_2addr_b32 v[103:104], v89 offset0:168 offset1:184
	;; [unrolled: 1-line block ×3, first 2 shown]
	v_add_nc_u32_e32 v89, 0x1000, v210
	ds_load_2addr_b32 v[107:108], v88 offset0:132 offset1:148
	ds_load_2addr_b32 v[109:110], v89 offset0:12 offset1:28
	;; [unrolled: 1-line block ×7, first 2 shown]
	ds_load_b32 v89, v237 offset:1088
	ds_load_b32 v126, v237 offset:2176
	;; [unrolled: 1-line block ×5, first 2 shown]
	ds_load_2addr_b32 v[121:122], v87 offset0:132 offset1:148
	ds_load_2addr_b32 v[123:124], v87 offset0:200 offset1:216
	;; [unrolled: 1-line block ×3, first 2 shown]
	ds_load_b32 v130, v239 offset:1088
	ds_load_b32 v131, v239 offset:2176
	;; [unrolled: 1-line block ×8, first 2 shown]
	v_perm_b32 v93, v43, v41, 0x5040100
	v_perm_b32 v94, v47, v45, 0x5040100
	s_waitcnt lgkmcnt(29)
	v_perm_b32 v97, v55, v90, 0x5040100
	s_waitcnt lgkmcnt(25)
	;; [unrolled: 2-line block ×5, first 2 shown]
	v_perm_b32 v100, v109, v111, 0x5040100
	s_delay_alu instid0(VALU_DEP_1)
	v_wmma_f16_16x16x16_f16 v[16:23], v[93:100], v[32:39], v[16:23]
	s_waitcnt lgkmcnt(18)
	v_perm_b32 v93, v115, v113, 0x5040100
	s_waitcnt lgkmcnt(16)
	v_perm_b32 v94, v119, v117, 0x5040100
	s_waitcnt lgkmcnt(15)
	v_perm_b32 v95, v102, v89, 0x5040100
	v_perm_b32 v96, v106, v104, 0x5040100
	s_waitcnt lgkmcnt(10)
	v_perm_b32 v97, v121, v126, 0x5040100
	s_waitcnt lgkmcnt(8)
	v_perm_b32 v98, v87, v123, 0x5040100
	v_perm_b32 v99, v108, v127, 0x5040100
	;; [unrolled: 1-line block ×3, first 2 shown]
	s_delay_alu instid0(VALU_DEP_1)
	v_wmma_f16_16x16x16_f16 v[8:15], v[93:100], v[32:39], v[8:15]
	v_perm_b32 v93, v116, v114, 0x5040100
	v_perm_b32 v94, v120, v118, 0x5040100
	s_waitcnt lgkmcnt(7)
	v_perm_b32 v95, v48, v130, 0x5040100
	v_perm_b32 v96, v52, v50, 0x5040100
	s_waitcnt lgkmcnt(6)
	;; [unrolled: 3-line block ×3, first 2 shown]
	v_perm_b32 v99, v62, v132, 0x5040100
	s_waitcnt lgkmcnt(2)
	v_perm_b32 v100, v135, v64, 0x5040100
	s_delay_alu instid0(VALU_DEP_1)
	v_wmma_f16_16x16x16_f16 v[0:7], v[93:100], v[32:39], v[0:7]
	v_perm_b32 v93, v42, v40, 0x7060302
	v_perm_b32 v94, v46, v44, 0x7060302
	;; [unrolled: 1-line block ×14, first 2 shown]
	v_wmma_f16_16x16x16_f16 v[16:23], v[40:47], v[32:39], v[16:23] op_sel:[0,0,1]
	v_perm_b32 v43, v106, v104, 0x7060302
	v_perm_b32 v47, v110, v112, 0x7060302
	;; [unrolled: 1-line block ×10, first 2 shown]
	s_delay_alu instid0(VALU_DEP_3)
	v_wmma_f16_16x16x16_f16 v[8:15], v[40:47], v[32:39], v[8:15] op_sel:[0,0,1]
	v_perm_b32 v40, v116, v114, 0x7060302
	v_perm_b32 v41, v120, v118, 0x7060302
	;; [unrolled: 1-line block ×8, first 2 shown]
	v_wmma_f16_16x16x16_f16 v[24:31], v[93:100], v[32:39], v[24:31] op_sel:[0,0,1]
	s_delay_alu instid0(VALU_DEP_2) | instskip(SKIP_2) | instid1(VALU_DEP_2)
	v_wmma_f16_16x16x16_f16 v[0:7], v[40:47], v[32:39], v[0:7] op_sel:[0,0,1]
	v_dual_sub_f32 v32, v77, v69 :: v_dual_add_nc_u32 v45, 0x2c00, v210
	v_add_nc_u32_e32 v46, 0x2e00, v210
	v_mul_f32_e32 v33, 0x3fb8aa3b, v32
	v_cmp_ngt_f32_e64 s6, 0xc2ce8ed0, v32
	s_delay_alu instid0(VALU_DEP_2) | instskip(SKIP_1) | instid1(VALU_DEP_1)
	v_fma_f32 v34, 0x3fb8aa3b, v32, -v33
	v_rndne_f32_e32 v35, v33
	v_dual_fmac_f32 v34, 0x32a5705f, v32 :: v_dual_sub_f32 v33, v33, v35
	v_cvt_i32_f32_e32 v35, v35
	s_delay_alu instid0(VALU_DEP_2) | instskip(NEXT) | instid1(VALU_DEP_1)
	v_dual_add_f32 v33, v33, v34 :: v_dual_sub_f32 v34, v76, v69
	v_exp_f32_e32 v33, v33
	s_delay_alu instid0(VALU_DEP_1) | instskip(SKIP_1) | instid1(VALU_DEP_2)
	v_mul_f32_e32 v36, 0x3fb8aa3b, v34
	v_cmp_ngt_f32_e64 s7, 0xc2ce8ed0, v34
	v_fma_f32 v37, 0x3fb8aa3b, v34, -v36
	v_rndne_f32_e32 v38, v36
	s_waitcnt_depctr 0xfff
	v_ldexp_f32 v33, v33, v35
	v_fmac_f32_e32 v37, 0x32a5705f, v34
	v_sub_f32_e32 v36, v36, v38
	s_delay_alu instid0(VALU_DEP_3) | instskip(SKIP_1) | instid1(VALU_DEP_3)
	v_cndmask_b32_e64 v33, 0, v33, s6
	v_cmp_nlt_f32_e64 s6, 0x42b17218, v32
	v_add_f32_e32 v36, v36, v37
	s_delay_alu instid0(VALU_DEP_2) | instskip(NEXT) | instid1(VALU_DEP_2)
	v_cndmask_b32_e64 v108, 0x7f800000, v33, s6
	v_exp_f32_e32 v35, v36
	v_cvt_i32_f32_e32 v36, v38
	s_waitcnt_depctr 0xfff
	v_ldexp_f32 v35, v35, v36
	s_delay_alu instid0(VALU_DEP_1)
	v_cndmask_b32_e64 v32, 0, v35, s7
	v_cmp_nlt_f32_e64 s7, 0x42b17218, v34
	ds_bpermute_b32 v34, v68, v108
	v_cndmask_b32_e64 v107, 0x7f800000, v32, s7
	ds_bpermute_b32 v32, v68, v107
	s_waitcnt lgkmcnt(0)
	v_cndmask_b32_e64 v33, v107, v32, s3
	v_cndmask_b32_e32 v32, v107, v32, vcc_lo
	s_delay_alu instid0(VALU_DEP_2) | instskip(NEXT) | instid1(VALU_DEP_2)
	v_cndmask_b32_e64 v35, v33, v108, s4
	v_cndmask_b32_e64 v36, v32, v108, s5
	v_cvt_f16_f32_e32 v33, v33
	v_cvt_f16_f32_e32 v32, v32
	s_delay_alu instid0(VALU_DEP_4) | instskip(NEXT) | instid1(VALU_DEP_4)
	v_cndmask_b32_e64 v35, v35, v34, s3
	v_cndmask_b32_e32 v34, v36, v34, vcc_lo
	s_delay_alu instid0(VALU_DEP_3) | instskip(NEXT) | instid1(VALU_DEP_3)
	v_pack_b32_f16 v32, v33, v32
	v_cvt_f16_f32_e32 v36, v35
	s_delay_alu instid0(VALU_DEP_3) | instskip(NEXT) | instid1(VALU_DEP_1)
	v_cvt_f16_f32_e32 v37, v34
	v_pack_b32_f16 v33, v36, v37
	v_sub_f32_e32 v36, v75, v69
	s_delay_alu instid0(VALU_DEP_1) | instskip(SKIP_1) | instid1(VALU_DEP_2)
	v_mul_f32_e32 v37, 0x3fb8aa3b, v36
	v_cmp_ngt_f32_e64 s6, 0xc2ce8ed0, v36
	v_fma_f32 v38, 0x3fb8aa3b, v36, -v37
	v_rndne_f32_e32 v39, v37
	s_delay_alu instid0(VALU_DEP_1) | instskip(NEXT) | instid1(VALU_DEP_1)
	v_dual_fmac_f32 v38, 0x32a5705f, v36 :: v_dual_sub_f32 v37, v37, v39
	v_add_f32_e32 v37, v37, v38
	v_cvt_i32_f32_e32 v38, v39
	s_delay_alu instid0(VALU_DEP_2) | instskip(SKIP_2) | instid1(VALU_DEP_1)
	v_exp_f32_e32 v37, v37
	s_waitcnt_depctr 0xfff
	v_ldexp_f32 v37, v37, v38
	v_cndmask_b32_e64 v37, 0, v37, s6
	v_cmp_nlt_f32_e64 s6, 0x42b17218, v36
	s_delay_alu instid0(VALU_DEP_1) | instskip(SKIP_4) | instid1(VALU_DEP_2)
	v_cndmask_b32_e64 v109, 0x7f800000, v37, s6
	ds_bpermute_b32 v36, v68, v109
	v_cndmask_b32_e64 v35, v35, v109, s4
	v_cndmask_b32_e64 v34, v34, v109, s5
	s_waitcnt lgkmcnt(0)
	v_cndmask_b32_e64 v35, v35, v36, s3
	s_delay_alu instid0(VALU_DEP_2) | instskip(NEXT) | instid1(VALU_DEP_2)
	v_cndmask_b32_e32 v36, v34, v36, vcc_lo
	v_cvt_f16_f32_e32 v34, v35
	s_delay_alu instid0(VALU_DEP_2) | instskip(NEXT) | instid1(VALU_DEP_1)
	v_cvt_f16_f32_e32 v37, v36
	v_pack_b32_f16 v34, v34, v37
	v_sub_f32_e32 v37, v74, v69
	s_delay_alu instid0(VALU_DEP_1) | instskip(SKIP_1) | instid1(VALU_DEP_2)
	v_mul_f32_e32 v38, 0x3fb8aa3b, v37
	v_cmp_ngt_f32_e64 s6, 0xc2ce8ed0, v37
	v_fma_f32 v39, 0x3fb8aa3b, v37, -v38
	v_rndne_f32_e32 v40, v38
	s_delay_alu instid0(VALU_DEP_1) | instskip(NEXT) | instid1(VALU_DEP_1)
	v_dual_fmac_f32 v39, 0x32a5705f, v37 :: v_dual_sub_f32 v38, v38, v40
	v_add_f32_e32 v38, v38, v39
	v_cvt_i32_f32_e32 v39, v40
	s_delay_alu instid0(VALU_DEP_2) | instskip(SKIP_2) | instid1(VALU_DEP_1)
	v_exp_f32_e32 v38, v38
	s_waitcnt_depctr 0xfff
	v_ldexp_f32 v38, v38, v39
	v_cndmask_b32_e64 v38, 0, v38, s6
	v_cmp_nlt_f32_e64 s6, 0x42b17218, v37
	s_delay_alu instid0(VALU_DEP_1) | instskip(SKIP_4) | instid1(VALU_DEP_2)
	v_cndmask_b32_e64 v110, 0x7f800000, v38, s6
	ds_bpermute_b32 v37, v68, v110
	v_cndmask_b32_e64 v35, v35, v110, s4
	v_cndmask_b32_e64 v36, v36, v110, s5
	s_waitcnt lgkmcnt(0)
	v_cndmask_b32_e64 v38, v35, v37, s3
	s_delay_alu instid0(VALU_DEP_2) | instskip(NEXT) | instid1(VALU_DEP_2)
	v_cndmask_b32_e32 v36, v36, v37, vcc_lo
	v_cvt_f16_f32_e32 v35, v38
	s_delay_alu instid0(VALU_DEP_2) | instskip(NEXT) | instid1(VALU_DEP_1)
	v_cvt_f16_f32_e32 v37, v36
	v_pack_b32_f16 v35, v35, v37
	v_sub_f32_e32 v37, v73, v69
	s_delay_alu instid0(VALU_DEP_1) | instskip(SKIP_1) | instid1(VALU_DEP_2)
	v_mul_f32_e32 v39, 0x3fb8aa3b, v37
	v_cmp_ngt_f32_e64 s6, 0xc2ce8ed0, v37
	v_fma_f32 v40, 0x3fb8aa3b, v37, -v39
	v_rndne_f32_e32 v41, v39
	s_delay_alu instid0(VALU_DEP_2) | instskip(NEXT) | instid1(VALU_DEP_2)
	v_fmac_f32_e32 v40, 0x32a5705f, v37
	v_sub_f32_e32 v39, v39, v41
	s_delay_alu instid0(VALU_DEP_1) | instskip(SKIP_1) | instid1(VALU_DEP_2)
	v_add_f32_e32 v39, v39, v40
	v_cvt_i32_f32_e32 v40, v41
	v_exp_f32_e32 v39, v39
	s_waitcnt_depctr 0xfff
	v_ldexp_f32 v39, v39, v40
	s_delay_alu instid0(VALU_DEP_1) | instskip(SKIP_1) | instid1(VALU_DEP_1)
	v_cndmask_b32_e64 v39, 0, v39, s6
	v_cmp_nlt_f32_e64 s6, 0x42b17218, v37
	v_cndmask_b32_e64 v111, 0x7f800000, v39, s6
	s_delay_alu instid0(VALU_DEP_1) | instskip(SKIP_4) | instid1(VALU_DEP_2)
	v_cndmask_b32_e64 v37, v38, v111, s4
	ds_bpermute_b32 v38, v68, v111
	v_cndmask_b32_e64 v36, v36, v111, s5
	s_waitcnt lgkmcnt(0)
	v_cndmask_b32_e64 v37, v37, v38, s3
	v_cndmask_b32_e32 v38, v36, v38, vcc_lo
	s_delay_alu instid0(VALU_DEP_2) | instskip(NEXT) | instid1(VALU_DEP_2)
	v_cvt_f16_f32_e32 v36, v37
	v_cvt_f16_f32_e32 v39, v38
	s_delay_alu instid0(VALU_DEP_1) | instskip(SKIP_1) | instid1(VALU_DEP_1)
	v_pack_b32_f16 v36, v36, v39
	v_sub_f32_e32 v39, v72, v69
	v_mul_f32_e32 v40, 0x3fb8aa3b, v39
	v_cmp_ngt_f32_e64 s6, 0xc2ce8ed0, v39
	s_delay_alu instid0(VALU_DEP_2) | instskip(SKIP_1) | instid1(VALU_DEP_1)
	v_fma_f32 v41, 0x3fb8aa3b, v39, -v40
	v_rndne_f32_e32 v42, v40
	v_dual_fmac_f32 v41, 0x32a5705f, v39 :: v_dual_sub_f32 v40, v40, v42
	s_delay_alu instid0(VALU_DEP_1) | instskip(SKIP_1) | instid1(VALU_DEP_2)
	v_add_f32_e32 v40, v40, v41
	v_cvt_i32_f32_e32 v41, v42
	v_exp_f32_e32 v40, v40
	s_waitcnt_depctr 0xfff
	v_ldexp_f32 v40, v40, v41
	s_delay_alu instid0(VALU_DEP_1) | instskip(SKIP_1) | instid1(VALU_DEP_1)
	v_cndmask_b32_e64 v40, 0, v40, s6
	v_cmp_nlt_f32_e64 s6, 0x42b17218, v39
	v_cndmask_b32_e64 v112, 0x7f800000, v40, s6
	ds_bpermute_b32 v39, v68, v112
	v_cndmask_b32_e64 v37, v37, v112, s4
	v_cndmask_b32_e64 v38, v38, v112, s5
	s_waitcnt lgkmcnt(0)
	s_delay_alu instid0(VALU_DEP_2) | instskip(NEXT) | instid1(VALU_DEP_2)
	v_cndmask_b32_e64 v40, v37, v39, s3
	v_cndmask_b32_e32 v38, v38, v39, vcc_lo
	s_delay_alu instid0(VALU_DEP_2) | instskip(NEXT) | instid1(VALU_DEP_2)
	v_cvt_f16_f32_e32 v37, v40
	v_cvt_f16_f32_e32 v39, v38
	s_delay_alu instid0(VALU_DEP_1) | instskip(SKIP_1) | instid1(VALU_DEP_1)
	v_pack_b32_f16 v37, v37, v39
	v_sub_f32_e32 v39, v71, v69
	v_mul_f32_e32 v41, 0x3fb8aa3b, v39
	v_cmp_ngt_f32_e64 s6, 0xc2ce8ed0, v39
	s_delay_alu instid0(VALU_DEP_2) | instskip(SKIP_1) | instid1(VALU_DEP_2)
	v_fma_f32 v42, 0x3fb8aa3b, v39, -v41
	v_rndne_f32_e32 v43, v41
	v_fmac_f32_e32 v42, 0x32a5705f, v39
	s_delay_alu instid0(VALU_DEP_2) | instskip(NEXT) | instid1(VALU_DEP_1)
	v_sub_f32_e32 v41, v41, v43
	v_add_f32_e32 v41, v41, v42
	v_cvt_i32_f32_e32 v42, v43
	s_delay_alu instid0(VALU_DEP_2) | instskip(SKIP_2) | instid1(VALU_DEP_1)
	v_exp_f32_e32 v41, v41
	s_waitcnt_depctr 0xfff
	v_ldexp_f32 v41, v41, v42
	v_cndmask_b32_e64 v41, 0, v41, s6
	v_cmp_nlt_f32_e64 s6, 0x42b17218, v39
	s_delay_alu instid0(VALU_DEP_1) | instskip(NEXT) | instid1(VALU_DEP_1)
	v_cndmask_b32_e64 v113, 0x7f800000, v41, s6
	v_cndmask_b32_e64 v39, v40, v113, s4
	ds_bpermute_b32 v40, v68, v113
	v_cndmask_b32_e64 v38, v38, v113, s5
	s_waitcnt lgkmcnt(0)
	v_cndmask_b32_e64 v39, v39, v40, s3
	s_delay_alu instid0(VALU_DEP_2) | instskip(NEXT) | instid1(VALU_DEP_2)
	v_cndmask_b32_e32 v40, v38, v40, vcc_lo
	v_cvt_f16_f32_e32 v38, v39
	s_delay_alu instid0(VALU_DEP_2) | instskip(NEXT) | instid1(VALU_DEP_1)
	v_cvt_f16_f32_e32 v41, v40
	v_pack_b32_f16 v38, v38, v41
	v_sub_f32_e32 v41, v70, v69
	s_delay_alu instid0(VALU_DEP_1) | instskip(SKIP_1) | instid1(VALU_DEP_2)
	v_mul_f32_e32 v42, 0x3fb8aa3b, v41
	v_cmp_ngt_f32_e64 s6, 0xc2ce8ed0, v41
	v_fma_f32 v43, 0x3fb8aa3b, v41, -v42
	v_rndne_f32_e32 v44, v42
	s_delay_alu instid0(VALU_DEP_1) | instskip(NEXT) | instid1(VALU_DEP_1)
	v_dual_fmac_f32 v43, 0x32a5705f, v41 :: v_dual_sub_f32 v42, v42, v44
	v_add_f32_e32 v42, v42, v43
	v_cvt_i32_f32_e32 v43, v44
	s_delay_alu instid0(VALU_DEP_2) | instskip(SKIP_3) | instid1(VALU_DEP_2)
	v_exp_f32_e32 v42, v42
	s_waitcnt_depctr 0xfff
	v_ldexp_f32 v42, v42, v43
	v_add_nc_u32_e32 v43, 0x2800, v210
	v_cndmask_b32_e64 v42, 0, v42, s6
	v_cmp_nlt_f32_e64 s6, 0x42b17218, v41
	s_delay_alu instid0(VALU_DEP_1)
	v_cndmask_b32_e64 v114, 0x7f800000, v42, s6
	v_add_nc_u32_e32 v42, 0x2600, v210
	ds_bpermute_b32 v41, v68, v114
	v_cndmask_b32_e64 v39, v39, v114, s4
	v_cndmask_b32_e64 v40, v40, v114, s5
	s_waitcnt lgkmcnt(0)
	s_delay_alu instid0(VALU_DEP_2) | instskip(NEXT) | instid1(VALU_DEP_2)
	v_cndmask_b32_e64 v39, v39, v41, s3
	v_dual_cndmask_b32 v40, v40, v41 :: v_dual_add_nc_u32 v41, 0x2400, v210
	s_cselect_b32 s3, -1, 0
	s_delay_alu instid0(VALU_DEP_2) | instskip(NEXT) | instid1(VALU_DEP_2)
	v_cvt_f16_f32_e32 v39, v39
	v_cvt_f16_f32_e32 v40, v40
	s_and_b32 s4, s0, s3
	s_delay_alu instid0(VALU_DEP_1)
	v_pack_b32_f16 v39, v39, v40
	v_add_nc_u32_e32 v40, 0x2000, v210
	ds_load_2addr_b32 v[48:49], v40 offset0:128 offset1:196
	ds_load_2addr_b32 v[50:51], v41 offset0:8 offset1:76
	ds_load_b32 v115, v230 offset:1088
	ds_load_2addr_b32 v[52:53], v42 offset0:84 offset1:152
	ds_load_2addr_b32 v[54:55], v43 offset0:92 offset1:228
	;; [unrolled: 1-line block ×4, first 2 shown]
	s_waitcnt lgkmcnt(6)
	v_perm_b32 v40, v49, v48, 0x5040100
	s_waitcnt lgkmcnt(5)
	v_perm_b32 v41, v51, v50, 0x5040100
	;; [unrolled: 2-line block ×4, first 2 shown]
	v_perm_b32 v44, v55, v136, 0x5040100
	s_waitcnt lgkmcnt(1)
	v_perm_b32 v45, v57, v56, 0x5040100
	s_waitcnt lgkmcnt(0)
	v_perm_b32 v46, v58, v125, 0x5040100
	v_perm_b32 v47, v137, v59, 0x5040100
	s_delay_alu instid0(VALU_DEP_1)
	v_wmma_f16_16x16x16_f16 v[24:31], v[40:47], v[32:39], v[24:31]
	v_add_nc_u32_e32 v40, 0x2000, v149
	v_add_nc_u32_e32 v42, 0x2600, v149
	;; [unrolled: 1-line block ×6, first 2 shown]
	ds_load_2addr_b32 v[60:61], v40 offset0:128 offset1:196
	ds_load_2addr_b32 v[62:63], v41 offset0:8 offset1:76
	;; [unrolled: 1-line block ×3, first 2 shown]
	ds_load_b32 v116, v252 offset:1088
	ds_load_b32 v117, v252 offset:2176
	;; [unrolled: 1-line block ×3, first 2 shown]
	ds_load_2addr_b32 v[66:67], v43 offset0:92 offset1:228
	ds_load_2addr_b32 v[70:71], v45 offset0:40 offset1:108
	ds_load_2addr_b32 v[72:73], v46 offset0:116 offset1:184
	s_waitcnt lgkmcnt(8)
	v_perm_b32 v40, v61, v60, 0x5040100
	s_waitcnt lgkmcnt(7)
	v_perm_b32 v41, v63, v62, 0x5040100
	s_waitcnt lgkmcnt(5)
	v_perm_b32 v42, v64, v116, 0x5040100
	s_waitcnt lgkmcnt(2)
	v_perm_b32 v43, v66, v65, 0x5040100
	v_perm_b32 v44, v67, v117, 0x5040100
	s_waitcnt lgkmcnt(1)
	v_perm_b32 v45, v71, v70, 0x5040100
	s_waitcnt lgkmcnt(0)
	v_perm_b32 v46, v72, v129, 0x5040100
	v_perm_b32 v47, v118, v73, 0x5040100
	s_delay_alu instid0(VALU_DEP_1)
	v_wmma_f16_16x16x16_f16 v[16:23], v[40:47], v[32:39], v[16:23]
	v_add_nc_u32_e32 v40, 0x2000, v237
	v_add_nc_u32_e32 v42, 0x2600, v237
	v_add_nc_u32_e32 v43, 0x2800, v237
	v_add_nc_u32_e32 v45, 0x2c00, v237
	v_add_nc_u32_e32 v46, 0x2e00, v237
	v_add_nc_u32_e32 v41, 0x2400, v237
	ds_load_2addr_b32 v[74:75], v40 offset0:128 offset1:196
	ds_load_2addr_b32 v[76:77], v41 offset0:8 offset1:76
	;; [unrolled: 1-line block ×3, first 2 shown]
	ds_load_b32 v119, v212 offset:1088
	ds_load_b32 v120, v212 offset:2176
	ds_load_2addr_b32 v[89:90], v43 offset0:92 offset1:228
	ds_load_2addr_b32 v[91:92], v45 offset0:40 offset1:108
	;; [unrolled: 1-line block ×3, first 2 shown]
	s_waitcnt lgkmcnt(7)
	v_perm_b32 v40, v75, v74, 0x5040100
	s_waitcnt lgkmcnt(6)
	v_perm_b32 v41, v77, v76, 0x5040100
	s_waitcnt lgkmcnt(4)
	v_perm_b32 v42, v87, v119, 0x5040100
	s_waitcnt lgkmcnt(2)
	v_perm_b32 v43, v89, v88, 0x5040100
	v_perm_b32 v44, v90, v120, 0x5040100
	s_waitcnt lgkmcnt(1)
	v_perm_b32 v45, v92, v91, 0x5040100
	s_waitcnt lgkmcnt(0)
	v_perm_b32 v46, v93, v134, 0x5040100
	v_perm_b32 v47, v128, v94, 0x5040100
	s_delay_alu instid0(VALU_DEP_1)
	v_wmma_f16_16x16x16_f16 v[8:15], v[40:47], v[32:39], v[8:15]
	v_add_nc_u32_e32 v40, 0x2000, v239
	v_add_nc_u32_e32 v43, 0x2800, v239
	;; [unrolled: 1-line block ×6, first 2 shown]
	ds_load_2addr_b32 v[95:96], v40 offset0:128 offset1:196
	ds_load_2addr_b32 v[97:98], v41 offset0:8 offset1:76
	ds_load_b32 v121, v211 offset:1088
	ds_load_2addr_b32 v[99:100], v42 offset0:84 offset1:152
	ds_load_2addr_b32 v[101:102], v43 offset0:92 offset1:228
	ds_load_b32 v122, v211 offset:2176
	ds_load_b32 v123, v211 offset:3264
	ds_load_2addr_b32 v[103:104], v45 offset0:40 offset1:108
	ds_load_2addr_b32 v[105:106], v46 offset0:116 offset1:184
	s_waitcnt lgkmcnt(0)
	s_barrier
	buffer_gl0_inv
	v_perm_b32 v40, v96, v95, 0x5040100
	v_perm_b32 v41, v98, v97, 0x5040100
	;; [unrolled: 1-line block ×8, first 2 shown]
	s_delay_alu instid0(VALU_DEP_1)
	v_wmma_f16_16x16x16_f16 v[0:7], v[40:47], v[32:39], v[0:7]
	v_perm_b32 v42, v52, v115, 0x7060302
	v_perm_b32 v43, v54, v53, 0x7060302
	v_perm_b32 v44, v55, v136, 0x7060302
	v_perm_b32 v46, v58, v125, 0x7060302
	v_perm_b32 v47, v137, v59, 0x7060302
	v_perm_b32 v40, v49, v48, 0x7060302
	v_perm_b32 v41, v51, v50, 0x7060302
	v_perm_b32 v45, v57, v56, 0x7060302
	s_delay_alu instid0(VALU_DEP_1)
	v_wmma_f16_16x16x16_f16 v[24:31], v[40:47], v[32:39], v[24:31] op_sel:[0,0,1]
	v_perm_b32 v42, v64, v116, 0x7060302
	v_perm_b32 v43, v66, v65, 0x7060302
	v_perm_b32 v44, v67, v117, 0x7060302
	v_perm_b32 v46, v72, v129, 0x7060302
	v_perm_b32 v47, v118, v73, 0x7060302
	v_perm_b32 v40, v61, v60, 0x7060302
	v_perm_b32 v41, v63, v62, 0x7060302
	v_perm_b32 v45, v71, v70, 0x7060302
	s_delay_alu instid0(VALU_DEP_1)
	v_wmma_f16_16x16x16_f16 v[16:23], v[40:47], v[32:39], v[16:23] op_sel:[0,0,1]
	v_perm_b32 v42, v87, v119, 0x7060302
	v_perm_b32 v43, v89, v88, 0x7060302
	v_perm_b32 v44, v90, v120, 0x7060302
	v_perm_b32 v46, v93, v134, 0x7060302
	v_perm_b32 v47, v128, v94, 0x7060302
	v_perm_b32 v40, v75, v74, 0x7060302
	v_perm_b32 v41, v77, v76, 0x7060302
	v_perm_b32 v45, v92, v91, 0x7060302
	s_delay_alu instid0(VALU_DEP_1)
	v_wmma_f16_16x16x16_f16 v[8:15], v[40:47], v[32:39], v[8:15] op_sel:[0,0,1]
	v_perm_b32 v42, v99, v121, 0x7060302
	v_perm_b32 v43, v101, v100, 0x7060302
	;; [unrolled: 1-line block ×8, first 2 shown]
	s_delay_alu instid0(VALU_DEP_1) | instskip(SKIP_1) | instid1(VALU_DEP_1)
	v_wmma_f16_16x16x16_f16 v[0:7], v[40:47], v[32:39], v[0:7] op_sel:[0,0,1]
	v_add_f32_e32 v32, v79, v80
	v_add_f32_e32 v32, v81, v32
	s_delay_alu instid0(VALU_DEP_1) | instskip(NEXT) | instid1(VALU_DEP_1)
	v_add_f32_e32 v32, v82, v32
	v_add_f32_e32 v32, v83, v32
	s_delay_alu instid0(VALU_DEP_1) | instskip(NEXT) | instid1(VALU_DEP_1)
	;; [unrolled: 3-line block ×7, first 2 shown]
	v_add_f32_e32 v32, v114, v32
	v_fmac_f32_e32 v32, v190, v78
	ds_bpermute_b32 v33, v68, v32
	s_waitcnt lgkmcnt(0)
	v_add_f32_e32 v32, v32, v33
	s_and_saveexec_b32 s3, s4
	s_cbranch_execz .LBB24_57
; %bb.56:                               ;   in Loop: Header=BB24_12 Depth=1
	scratch_load_b32 v33, off, off offset:208 ; 4-byte Folded Reload
	v_max_f32_e32 v34, v69, v69
	s_waitcnt vmcnt(0)
	v_lshlrev_b32_e32 v33, 2, v33
	global_load_b32 v33, v33, s[72:73]
	s_waitcnt vmcnt(0)
	v_max_f32_e32 v35, v33, v33
	s_delay_alu instid0(VALU_DEP_1) | instskip(NEXT) | instid1(VALU_DEP_1)
	v_max_f32_e32 v34, v34, v35
	v_sub_f32_e32 v35, v69, v34
	v_mov_b32_e32 v69, v34
	s_delay_alu instid0(VALU_DEP_2) | instskip(NEXT) | instid1(VALU_DEP_1)
	v_dual_sub_f32 v33, v33, v34 :: v_dual_mul_f32 v36, 0x3fb8aa3b, v35
	v_fma_f32 v37, 0x3fb8aa3b, v35, -v36
	v_rndne_f32_e32 v38, v36
	s_delay_alu instid0(VALU_DEP_1) | instskip(SKIP_1) | instid1(VALU_DEP_2)
	v_dual_fmac_f32 v37, 0x32a5705f, v35 :: v_dual_sub_f32 v36, v36, v38
	v_cvt_i32_f32_e32 v38, v38
	v_add_f32_e32 v36, v36, v37
	v_cmp_ngt_f32_e32 vcc_lo, 0xc2ce8ed0, v35
	s_delay_alu instid0(VALU_DEP_2) | instskip(SKIP_2) | instid1(VALU_DEP_1)
	v_exp_f32_e32 v36, v36
	s_waitcnt_depctr 0xfff
	v_ldexp_f32 v36, v36, v38
	v_dual_mul_f32 v39, 0x3fb8aa3b, v33 :: v_dual_cndmask_b32 v36, 0, v36
	s_delay_alu instid0(VALU_DEP_1) | instskip(SKIP_2) | instid1(VALU_DEP_2)
	v_fma_f32 v40, 0x3fb8aa3b, v33, -v39
	v_rndne_f32_e32 v41, v39
	v_cmp_nlt_f32_e32 vcc_lo, 0x42b17218, v35
	v_dual_sub_f32 v37, v39, v41 :: v_dual_cndmask_b32 v36, 0x7f800000, v36
	s_delay_alu instid0(VALU_DEP_4) | instskip(SKIP_2) | instid1(VALU_DEP_3)
	v_fmac_f32_e32 v40, 0x32a5705f, v33
	v_cvt_i32_f32_e32 v38, v41
	v_cmp_ngt_f32_e32 vcc_lo, 0xc2ce8ed0, v33
	v_add_f32_e32 v37, v37, v40
	s_delay_alu instid0(VALU_DEP_1) | instskip(SKIP_2) | instid1(VALU_DEP_1)
	v_exp_f32_e32 v37, v37
	s_waitcnt_depctr 0xfff
	v_ldexp_f32 v37, v37, v38
	v_cndmask_b32_e32 v37, 0, v37, vcc_lo
	v_cmp_le_f32_e32 vcc_lo, 0xc1a00000, v35
	v_cndmask_b32_e32 v35, 0, v36, vcc_lo
	v_cmp_nlt_f32_e32 vcc_lo, 0x42b17218, v33
	s_delay_alu instid0(VALU_DEP_2) | instskip(SKIP_1) | instid1(VALU_DEP_2)
	v_cvt_f16_f32_e32 v36, v35
	v_cndmask_b32_e32 v33, 0x7f800000, v37, vcc_lo
	v_pk_mul_f16 v24, v36, v24 op_sel_hi:[0,1]
	s_delay_alu instid0(VALU_DEP_2)
	v_fmac_f32_e32 v33, v32, v35
	v_pk_mul_f16 v25, v36, v25 op_sel_hi:[0,1]
	v_pk_mul_f16 v26, v36, v26 op_sel_hi:[0,1]
	;; [unrolled: 1-line block ×4, first 2 shown]
	v_mov_b32_e32 v32, v33
	v_pk_mul_f16 v29, v36, v29 op_sel_hi:[0,1]
	v_pk_mul_f16 v30, v36, v30 op_sel_hi:[0,1]
	;; [unrolled: 1-line block ×27, first 2 shown]
.LBB24_57:                              ;   in Loop: Header=BB24_12 Depth=1
	s_or_b32 exec_lo, exec_lo, s3
	s_and_saveexec_b32 s3, s2
	s_cbranch_execz .LBB24_59
; %bb.58:                               ;   in Loop: Header=BB24_12 Depth=1
	v_add_nc_u32_e32 v33, 0, v227
	ds_store_2addr_b32 v33, v69, v32 offset0:64 offset1:65
.LBB24_59:                              ;   in Loop: Header=BB24_12 Depth=1
	s_or_b32 exec_lo, exec_lo, s3
	s_waitcnt lgkmcnt(0)
	s_barrier
	buffer_gl0_inv
	s_and_saveexec_b32 s3, s1
	s_delay_alu instid0(SALU_CYCLE_1)
	s_xor_b32 s3, exec_lo, s3
	s_cbranch_execz .LBB24_61
; %bb.60:                               ;   in Loop: Header=BB24_12 Depth=1
	s_barrier
	buffer_gl0_inv
                                        ; implicit-def: $vgpr68
.LBB24_61:                              ;   in Loop: Header=BB24_12 Depth=1
	s_and_not1_saveexec_b32 s3, s3
	s_cbranch_execz .LBB24_65
; %bb.62:                               ;   in Loop: Header=BB24_12 Depth=1
	v_add_nc_u32_e32 v36, 0, v228
	ds_load_b64 v[34:35], v36 offset:256
	s_waitcnt lgkmcnt(0)
	s_barrier
	buffer_gl0_inv
	v_max_f32_e32 v33, v34, v34
	ds_bpermute_b32 v32, v68, v34
	s_waitcnt lgkmcnt(0)
	v_max_f32_e32 v32, v32, v32
	s_delay_alu instid0(VALU_DEP_1) | instskip(NEXT) | instid1(VALU_DEP_1)
	v_max_f32_e32 v32, v33, v32
	v_sub_f32_e32 v33, v34, v32
	s_delay_alu instid0(VALU_DEP_1) | instskip(SKIP_1) | instid1(VALU_DEP_2)
	v_mul_f32_e32 v34, 0x3fb8aa3b, v33
	v_cmp_ngt_f32_e32 vcc_lo, 0xc2ce8ed0, v33
	v_fma_f32 v37, 0x3fb8aa3b, v33, -v34
	v_rndne_f32_e32 v38, v34
	s_delay_alu instid0(VALU_DEP_1) | instskip(NEXT) | instid1(VALU_DEP_1)
	v_dual_fmac_f32 v37, 0x32a5705f, v33 :: v_dual_sub_f32 v34, v34, v38
	v_add_f32_e32 v34, v34, v37
	v_cvt_i32_f32_e32 v37, v38
	s_delay_alu instid0(VALU_DEP_2) | instskip(SKIP_2) | instid1(VALU_DEP_1)
	v_exp_f32_e32 v34, v34
	s_waitcnt_depctr 0xfff
	v_ldexp_f32 v34, v34, v37
	v_cndmask_b32_e32 v34, 0, v34, vcc_lo
	v_cmp_nlt_f32_e32 vcc_lo, 0x42b17218, v33
	s_delay_alu instid0(VALU_DEP_2) | instskip(NEXT) | instid1(VALU_DEP_1)
	v_cndmask_b32_e32 v33, 0x7f800000, v34, vcc_lo
	v_mul_f32_e32 v34, v35, v33
	ds_bpermute_b32 v34, v68, v34
	s_waitcnt lgkmcnt(0)
	v_fmac_f32_e32 v34, v35, v33
	ds_store_b64 v36, v[33:34] offset:256
	s_and_saveexec_b32 s4, s2
	s_cbranch_execz .LBB24_64
; %bb.63:                               ;   in Loop: Header=BB24_12 Depth=1
	v_mov_b32_e32 v33, v34
	scratch_load_b64 v[34:35], off, off offset:504 ; 8-byte Folded Reload
	s_waitcnt vmcnt(0)
	global_store_b64 v[34:35], v[32:33], off
.LBB24_64:                              ;   in Loop: Header=BB24_12 Depth=1
	s_or_b32 exec_lo, exec_lo, s4
.LBB24_65:                              ;   in Loop: Header=BB24_12 Depth=1
	s_delay_alu instid0(SALU_CYCLE_1)
	s_or_b32 exec_lo, exec_lo, s3
	ds_store_2addr_b32 v232, v24, v25 offset1:2
	ds_store_2addr_b32 v232, v26, v27 offset0:4 offset1:6
	ds_store_2addr_b32 v232, v28, v29 offset0:8 offset1:10
	;; [unrolled: 1-line block ×15, first 2 shown]
	s_waitcnt lgkmcnt(0)
	s_waitcnt_vscnt null, 0x0
	s_barrier
	buffer_gl0_inv
	s_and_saveexec_b32 s5, s0
	s_cbranch_execz .LBB24_143
; %bb.66:                               ;   in Loop: Header=BB24_12 Depth=1
	s_clause 0x1
	scratch_load_b32 v0, off, off offset:248
	scratch_load_b64 v[2:3], off, off offset:188
	s_waitcnt vmcnt(1)
	v_add_nc_u32_e32 v1, s66, v0
	s_waitcnt vmcnt(0)
	v_or_b32_e32 v0, s94, v2
	s_delay_alu instid0(VALU_DEP_1) | instskip(SKIP_2) | instid1(VALU_DEP_1)
	v_cmp_gt_i32_e32 vcc_lo, s33, v0
	v_mov_b32_e32 v0, 0x47
	v_cmp_gt_i32_e64 s3, s8, v1
	s_and_b32 s3, s3, vcc_lo
	s_delay_alu instid0(SALU_CYCLE_1)
	s_and_saveexec_b32 s4, s3
	s_cbranch_execz .LBB24_68
; %bb.67:                               ;   in Loop: Header=BB24_12 Depth=1
	s_clause 0x1
	scratch_load_b32 v0, off, off offset:280
	scratch_load_b32 v8, off, off offset:284
	s_waitcnt vmcnt(1)
	v_add_nc_u32_e32 v0, 0, v0
	s_waitcnt vmcnt(0)
	ds_load_2addr_b32 v[2:3], v8 offset1:32
	ds_load_2addr_stride64_b32 v[4:5], v0 offset0:1 offset1:18
	scratch_load_b64 v[9:10], off, off offset:188 ; 8-byte Folded Reload
	s_waitcnt lgkmcnt(0)
	v_fma_mix_f32 v11, v4, v3, 0 op_sel:[0,1,0] op_sel_hi:[0,1,0]
	s_waitcnt vmcnt(0)
	v_mad_u64_u32 v[6:7], null, v1, s9, v[9:10]
	scratch_load_b32 v1, off, off offset:288 ; 4-byte Folded Reload
	ds_load_b32 v7, v8 offset:4352
	v_fma_mix_f32 v9, v4, v2, 0 op_sel:[0,1,0] op_sel_hi:[0,1,0]
	v_fma_mix_f32 v10, v4, v3, 0 op_sel_hi:[0,1,0]
	v_lshl_add_u32 v0, v6, 6, v222
	v_fma_mix_f32 v6, v4, v2, 0 op_sel_hi:[0,1,0]
	s_waitcnt lgkmcnt(0)
	s_delay_alu instid0(VALU_DEP_1) | instskip(SKIP_4) | instid1(VALU_DEP_1)
	v_fma_mix_f32 v6, v5, v7, v6 op_sel_hi:[0,1,0]
	v_fma_mix_f32 v7, v5, v7, v9 op_sel:[0,1,0] op_sel_hi:[0,1,0]
	s_waitcnt vmcnt(0)
	ds_load_b32 v8, v1 offset:4352
	v_ashrrev_i32_e32 v1, 31, v0
	v_lshlrev_b64 v[0:1], 3, v[0:1]
	s_delay_alu instid0(VALU_DEP_1) | instskip(NEXT) | instid1(VALU_DEP_1)
	v_add_co_u32 v2, s3, s83, v0
	v_add_co_ci_u32_e64 v3, s3, s67, v1, s3
	v_mov_b32_e32 v0, 0
	s_waitcnt lgkmcnt(0)
	v_fma_mix_f32 v4, v5, v8, v10 op_sel_hi:[0,1,0]
	v_fma_mix_f32 v5, v5, v8, v11 op_sel:[0,1,0] op_sel_hi:[0,1,0]
	s_clause 0x1
	global_store_b64 v[2:3], v[6:7], off
	global_store_b64 v[2:3], v[4:5], off offset:256
.LBB24_68:                              ;   in Loop: Header=BB24_12 Depth=1
	s_or_b32 exec_lo, exec_lo, s4
	s_mov_b32 s4, -1
	s_mov_b32 s6, exec_lo
	v_cmpx_gt_i32_e32 0x47, v0
; %bb.69:                               ;   in Loop: Header=BB24_12 Depth=1
	v_cmp_eq_u32_e64 s3, 0, v0
	s_delay_alu instid0(VALU_DEP_1)
	s_or_not1_b32 s4, s3, exec_lo
; %bb.70:                               ;   in Loop: Header=BB24_12 Depth=1
	s_or_b32 exec_lo, exec_lo, s6
	s_delay_alu instid0(SALU_CYCLE_1)
	s_and_b32 exec_lo, exec_lo, s4
	s_cbranch_execz .LBB24_143
; %bb.71:                               ;   in Loop: Header=BB24_12 Depth=1
	s_clause 0x1
	scratch_load_b32 v0, off, off offset:292
	scratch_load_b64 v[2:3], off, off offset:268
	s_waitcnt vmcnt(1)
	v_add_nc_u32_e32 v1, s66, v0
	s_waitcnt vmcnt(0)
	v_or_b32_e32 v0, s94, v2
	s_delay_alu instid0(VALU_DEP_1) | instskip(SKIP_2) | instid1(VALU_DEP_1)
	v_cmp_gt_i32_e64 s4, s33, v0
	v_mov_b32_e32 v0, 0x47
	v_cmp_gt_i32_e64 s3, s8, v1
	s_and_b32 s3, s3, s4
	s_delay_alu instid0(SALU_CYCLE_1)
	s_and_saveexec_b32 s4, s3
	s_cbranch_execz .LBB24_73
; %bb.72:                               ;   in Loop: Header=BB24_12 Depth=1
	s_clause 0x1
	scratch_load_b32 v0, off, off offset:512
	scratch_load_b32 v8, off, off offset:516
	s_waitcnt vmcnt(1)
	v_add_nc_u32_e32 v0, 0, v0
	s_waitcnt vmcnt(0)
	ds_load_2addr_b32 v[2:3], v8 offset1:32
	ds_load_2addr_stride64_b32 v[4:5], v0 offset0:1 offset1:18
	scratch_load_b64 v[9:10], off, off offset:268 ; 8-byte Folded Reload
	s_waitcnt lgkmcnt(0)
	v_fma_mix_f32 v11, v4, v3, 0 op_sel:[0,1,0] op_sel_hi:[0,1,0]
	s_waitcnt vmcnt(0)
	v_mad_u64_u32 v[6:7], null, v1, s9, v[9:10]
	scratch_load_b32 v1, off, off offset:520 ; 4-byte Folded Reload
	ds_load_b32 v7, v8 offset:4352
	v_fma_mix_f32 v9, v4, v2, 0 op_sel:[0,1,0] op_sel_hi:[0,1,0]
	v_fma_mix_f32 v10, v4, v3, 0 op_sel_hi:[0,1,0]
	v_lshl_add_u32 v0, v6, 6, v222
	v_fma_mix_f32 v6, v4, v2, 0 op_sel_hi:[0,1,0]
	s_waitcnt lgkmcnt(0)
	s_delay_alu instid0(VALU_DEP_1) | instskip(SKIP_4) | instid1(VALU_DEP_1)
	v_fma_mix_f32 v6, v5, v7, v6 op_sel_hi:[0,1,0]
	v_fma_mix_f32 v7, v5, v7, v9 op_sel:[0,1,0] op_sel_hi:[0,1,0]
	s_waitcnt vmcnt(0)
	ds_load_b32 v8, v1 offset:4352
	v_ashrrev_i32_e32 v1, 31, v0
	v_lshlrev_b64 v[0:1], 3, v[0:1]
	s_delay_alu instid0(VALU_DEP_1) | instskip(NEXT) | instid1(VALU_DEP_1)
	v_add_co_u32 v2, s3, s83, v0
	v_add_co_ci_u32_e64 v3, s3, s67, v1, s3
	v_mov_b32_e32 v0, 0
	s_waitcnt lgkmcnt(0)
	v_fma_mix_f32 v4, v5, v8, v10 op_sel_hi:[0,1,0]
	v_fma_mix_f32 v5, v5, v8, v11 op_sel:[0,1,0] op_sel_hi:[0,1,0]
	s_clause 0x1
	global_store_b64 v[2:3], v[6:7], off
	global_store_b64 v[2:3], v[4:5], off offset:256
.LBB24_73:                              ;   in Loop: Header=BB24_12 Depth=1
	s_or_b32 exec_lo, exec_lo, s4
	s_mov_b32 s4, -1
	s_mov_b32 s6, exec_lo
	v_cmpx_gt_i32_e32 0x47, v0
; %bb.74:                               ;   in Loop: Header=BB24_12 Depth=1
	v_cmp_eq_u32_e64 s3, 0, v0
	s_delay_alu instid0(VALU_DEP_1)
	s_or_not1_b32 s4, s3, exec_lo
; %bb.75:                               ;   in Loop: Header=BB24_12 Depth=1
	s_or_b32 exec_lo, exec_lo, s6
	s_delay_alu instid0(SALU_CYCLE_1)
	s_and_b32 exec_lo, exec_lo, s4
	s_cbranch_execz .LBB24_143
; %bb.76:                               ;   in Loop: Header=BB24_12 Depth=1
	scratch_load_b32 v0, off, off offset:524 ; 4-byte Folded Reload
	s_waitcnt vmcnt(0)
	v_dual_mov_b32 v0, 0x47 :: v_dual_add_nc_u32 v1, s66, v0
	s_delay_alu instid0(VALU_DEP_1) | instskip(NEXT) | instid1(VALU_DEP_1)
	v_cmp_gt_i32_e64 s3, s8, v1
	s_and_b32 s3, s3, vcc_lo
	s_delay_alu instid0(SALU_CYCLE_1)
	s_and_saveexec_b32 s4, s3
	s_cbranch_execz .LBB24_78
; %bb.77:                               ;   in Loop: Header=BB24_12 Depth=1
	s_clause 0x1
	scratch_load_b32 v0, off, off offset:536
	scratch_load_b32 v8, off, off offset:540
	s_waitcnt vmcnt(1)
	v_add_nc_u32_e32 v0, 0, v0
	s_waitcnt vmcnt(0)
	ds_load_2addr_b32 v[2:3], v8 offset1:32
	ds_load_2addr_stride64_b32 v[4:5], v0 offset0:1 offset1:18
	scratch_load_b64 v[9:10], off, off offset:188 ; 8-byte Folded Reload
	s_waitcnt lgkmcnt(0)
	v_fma_mix_f32 v11, v4, v3, 0 op_sel:[0,1,0] op_sel_hi:[0,1,0]
	s_waitcnt vmcnt(0)
	v_mad_u64_u32 v[6:7], null, v1, s9, v[9:10]
	scratch_load_b32 v1, off, off offset:544 ; 4-byte Folded Reload
	ds_load_b32 v7, v8 offset:4352
	v_fma_mix_f32 v9, v4, v2, 0 op_sel:[0,1,0] op_sel_hi:[0,1,0]
	v_fma_mix_f32 v10, v4, v3, 0 op_sel_hi:[0,1,0]
	v_lshl_add_u32 v0, v6, 6, v222
	v_fma_mix_f32 v6, v4, v2, 0 op_sel_hi:[0,1,0]
	s_waitcnt lgkmcnt(0)
	s_delay_alu instid0(VALU_DEP_1) | instskip(SKIP_4) | instid1(VALU_DEP_1)
	v_fma_mix_f32 v6, v5, v7, v6 op_sel_hi:[0,1,0]
	v_fma_mix_f32 v7, v5, v7, v9 op_sel:[0,1,0] op_sel_hi:[0,1,0]
	s_waitcnt vmcnt(0)
	ds_load_b32 v8, v1 offset:4352
	v_ashrrev_i32_e32 v1, 31, v0
	v_lshlrev_b64 v[0:1], 3, v[0:1]
	s_delay_alu instid0(VALU_DEP_1) | instskip(NEXT) | instid1(VALU_DEP_1)
	v_add_co_u32 v2, s3, s83, v0
	v_add_co_ci_u32_e64 v3, s3, s67, v1, s3
	v_mov_b32_e32 v0, 0
	s_waitcnt lgkmcnt(0)
	v_fma_mix_f32 v4, v5, v8, v10 op_sel_hi:[0,1,0]
	v_fma_mix_f32 v5, v5, v8, v11 op_sel:[0,1,0] op_sel_hi:[0,1,0]
	s_clause 0x1
	global_store_b64 v[2:3], v[6:7], off
	global_store_b64 v[2:3], v[4:5], off offset:256
.LBB24_78:                              ;   in Loop: Header=BB24_12 Depth=1
	s_or_b32 exec_lo, exec_lo, s4
	s_mov_b32 s4, -1
	s_mov_b32 s6, exec_lo
	v_cmpx_gt_i32_e32 0x47, v0
; %bb.79:                               ;   in Loop: Header=BB24_12 Depth=1
	v_cmp_eq_u32_e64 s3, 0, v0
	s_delay_alu instid0(VALU_DEP_1)
	s_or_not1_b32 s4, s3, exec_lo
; %bb.80:                               ;   in Loop: Header=BB24_12 Depth=1
	s_or_b32 exec_lo, exec_lo, s6
	s_delay_alu instid0(SALU_CYCLE_1)
	s_and_b32 exec_lo, exec_lo, s4
	s_cbranch_execz .LBB24_143
; %bb.81:                               ;   in Loop: Header=BB24_12 Depth=1
	s_clause 0x1
	scratch_load_b32 v0, off, off offset:548
	scratch_load_b64 v[2:3], off, off offset:528
	s_waitcnt vmcnt(1)
	v_add_nc_u32_e32 v1, s66, v0
	s_waitcnt vmcnt(0)
	v_or_b32_e32 v0, s94, v2
	s_delay_alu instid0(VALU_DEP_1) | instskip(SKIP_2) | instid1(VALU_DEP_1)
	v_cmp_gt_i32_e64 s4, s33, v0
	v_mov_b32_e32 v0, 0x47
	v_cmp_gt_i32_e64 s3, s8, v1
	s_and_b32 s3, s3, s4
	s_delay_alu instid0(SALU_CYCLE_1)
	s_and_saveexec_b32 s4, s3
	s_cbranch_execz .LBB24_83
; %bb.82:                               ;   in Loop: Header=BB24_12 Depth=1
	s_clause 0x1
	scratch_load_b32 v0, off, off offset:560
	scratch_load_b32 v8, off, off offset:564
	s_waitcnt vmcnt(1)
	v_add_nc_u32_e32 v0, 0, v0
	s_waitcnt vmcnt(0)
	ds_load_2addr_b32 v[2:3], v8 offset1:32
	ds_load_2addr_stride64_b32 v[4:5], v0 offset0:1 offset1:18
	scratch_load_b64 v[9:10], off, off offset:528 ; 8-byte Folded Reload
	s_waitcnt lgkmcnt(0)
	v_fma_mix_f32 v11, v4, v3, 0 op_sel:[0,1,0] op_sel_hi:[0,1,0]
	s_waitcnt vmcnt(0)
	v_mad_u64_u32 v[6:7], null, v1, s9, v[9:10]
	scratch_load_b32 v1, off, off offset:568 ; 4-byte Folded Reload
	ds_load_b32 v7, v8 offset:4352
	v_fma_mix_f32 v9, v4, v2, 0 op_sel:[0,1,0] op_sel_hi:[0,1,0]
	v_fma_mix_f32 v10, v4, v3, 0 op_sel_hi:[0,1,0]
	v_lshl_add_u32 v0, v6, 6, v222
	v_fma_mix_f32 v6, v4, v2, 0 op_sel_hi:[0,1,0]
	s_waitcnt lgkmcnt(0)
	s_delay_alu instid0(VALU_DEP_1) | instskip(SKIP_4) | instid1(VALU_DEP_1)
	v_fma_mix_f32 v6, v5, v7, v6 op_sel_hi:[0,1,0]
	v_fma_mix_f32 v7, v5, v7, v9 op_sel:[0,1,0] op_sel_hi:[0,1,0]
	s_waitcnt vmcnt(0)
	ds_load_b32 v8, v1 offset:4352
	v_ashrrev_i32_e32 v1, 31, v0
	v_lshlrev_b64 v[0:1], 3, v[0:1]
	s_delay_alu instid0(VALU_DEP_1) | instskip(NEXT) | instid1(VALU_DEP_1)
	v_add_co_u32 v2, s3, s83, v0
	v_add_co_ci_u32_e64 v3, s3, s67, v1, s3
	v_mov_b32_e32 v0, 0
	s_waitcnt lgkmcnt(0)
	v_fma_mix_f32 v4, v5, v8, v10 op_sel_hi:[0,1,0]
	v_fma_mix_f32 v5, v5, v8, v11 op_sel:[0,1,0] op_sel_hi:[0,1,0]
	s_clause 0x1
	global_store_b64 v[2:3], v[6:7], off
	global_store_b64 v[2:3], v[4:5], off offset:256
.LBB24_83:                              ;   in Loop: Header=BB24_12 Depth=1
	s_or_b32 exec_lo, exec_lo, s4
	s_mov_b32 s4, -1
	s_mov_b32 s6, exec_lo
	v_cmpx_gt_i32_e32 0x47, v0
; %bb.84:                               ;   in Loop: Header=BB24_12 Depth=1
	v_cmp_eq_u32_e64 s3, 0, v0
	s_delay_alu instid0(VALU_DEP_1)
	s_or_not1_b32 s4, s3, exec_lo
; %bb.85:                               ;   in Loop: Header=BB24_12 Depth=1
	s_or_b32 exec_lo, exec_lo, s6
	s_delay_alu instid0(SALU_CYCLE_1)
	s_and_b32 exec_lo, exec_lo, s4
	s_cbranch_execz .LBB24_143
; %bb.86:                               ;   in Loop: Header=BB24_12 Depth=1
	scratch_load_b32 v0, off, off offset:572 ; 4-byte Folded Reload
	s_waitcnt vmcnt(0)
	v_dual_mov_b32 v0, 0x47 :: v_dual_add_nc_u32 v1, s66, v0
	s_delay_alu instid0(VALU_DEP_1) | instskip(NEXT) | instid1(VALU_DEP_1)
	v_cmp_gt_i32_e64 s3, s8, v1
	s_and_b32 s3, s3, vcc_lo
	s_delay_alu instid0(SALU_CYCLE_1)
	s_and_saveexec_b32 s4, s3
	s_cbranch_execz .LBB24_88
; %bb.87:                               ;   in Loop: Header=BB24_12 Depth=1
	s_clause 0x1
	scratch_load_b32 v0, off, off offset:608
	scratch_load_b32 v8, off, off offset:612
	s_waitcnt vmcnt(1)
	v_add_nc_u32_e32 v0, 0, v0
	s_waitcnt vmcnt(0)
	ds_load_2addr_b32 v[2:3], v8 offset1:32
	ds_load_2addr_stride64_b32 v[4:5], v0 offset0:1 offset1:18
	scratch_load_b64 v[9:10], off, off offset:188 ; 8-byte Folded Reload
	s_waitcnt lgkmcnt(0)
	v_fma_mix_f32 v11, v4, v3, 0 op_sel:[0,1,0] op_sel_hi:[0,1,0]
	s_waitcnt vmcnt(0)
	v_mad_u64_u32 v[6:7], null, v1, s9, v[9:10]
	scratch_load_b32 v1, off, off offset:616 ; 4-byte Folded Reload
	ds_load_b32 v7, v8 offset:4352
	v_fma_mix_f32 v9, v4, v2, 0 op_sel:[0,1,0] op_sel_hi:[0,1,0]
	v_fma_mix_f32 v10, v4, v3, 0 op_sel_hi:[0,1,0]
	v_lshl_add_u32 v0, v6, 6, v222
	v_fma_mix_f32 v6, v4, v2, 0 op_sel_hi:[0,1,0]
	s_waitcnt lgkmcnt(0)
	s_delay_alu instid0(VALU_DEP_1) | instskip(SKIP_4) | instid1(VALU_DEP_1)
	v_fma_mix_f32 v6, v5, v7, v6 op_sel_hi:[0,1,0]
	v_fma_mix_f32 v7, v5, v7, v9 op_sel:[0,1,0] op_sel_hi:[0,1,0]
	s_waitcnt vmcnt(0)
	ds_load_b32 v8, v1 offset:4352
	v_ashrrev_i32_e32 v1, 31, v0
	v_lshlrev_b64 v[0:1], 3, v[0:1]
	s_delay_alu instid0(VALU_DEP_1) | instskip(NEXT) | instid1(VALU_DEP_1)
	v_add_co_u32 v2, s3, s83, v0
	v_add_co_ci_u32_e64 v3, s3, s67, v1, s3
	v_mov_b32_e32 v0, 0
	s_waitcnt lgkmcnt(0)
	v_fma_mix_f32 v4, v5, v8, v10 op_sel_hi:[0,1,0]
	v_fma_mix_f32 v5, v5, v8, v11 op_sel:[0,1,0] op_sel_hi:[0,1,0]
	s_clause 0x1
	global_store_b64 v[2:3], v[6:7], off
	global_store_b64 v[2:3], v[4:5], off offset:256
.LBB24_88:                              ;   in Loop: Header=BB24_12 Depth=1
	s_or_b32 exec_lo, exec_lo, s4
	s_mov_b32 s4, -1
	s_mov_b32 s6, exec_lo
	v_cmpx_gt_i32_e32 0x47, v0
; %bb.89:                               ;   in Loop: Header=BB24_12 Depth=1
	v_cmp_eq_u32_e64 s3, 0, v0
	s_delay_alu instid0(VALU_DEP_1)
	s_or_not1_b32 s4, s3, exec_lo
; %bb.90:                               ;   in Loop: Header=BB24_12 Depth=1
	s_or_b32 exec_lo, exec_lo, s6
	s_delay_alu instid0(SALU_CYCLE_1)
	s_and_b32 exec_lo, exec_lo, s4
	s_cbranch_execz .LBB24_143
; %bb.91:                               ;   in Loop: Header=BB24_12 Depth=1
	s_clause 0x1
	scratch_load_b32 v0, off, off offset:620
	scratch_load_b64 v[2:3], off, off offset:600
	s_waitcnt vmcnt(1)
	v_add_nc_u32_e32 v1, s66, v0
	s_waitcnt vmcnt(0)
	v_or_b32_e32 v0, s94, v2
	s_delay_alu instid0(VALU_DEP_1) | instskip(SKIP_2) | instid1(VALU_DEP_1)
	v_cmp_gt_i32_e64 s4, s33, v0
	v_mov_b32_e32 v0, 0x47
	v_cmp_gt_i32_e64 s3, s8, v1
	s_and_b32 s3, s3, s4
	s_delay_alu instid0(SALU_CYCLE_1)
	s_and_saveexec_b32 s4, s3
	s_cbranch_execz .LBB24_93
; %bb.92:                               ;   in Loop: Header=BB24_12 Depth=1
	s_clause 0x1
	scratch_load_b32 v0, off, off offset:624
	scratch_load_b32 v8, off, off offset:628
	s_waitcnt vmcnt(1)
	v_add_nc_u32_e32 v0, 0, v0
	s_waitcnt vmcnt(0)
	ds_load_2addr_b32 v[2:3], v8 offset1:32
	ds_load_2addr_stride64_b32 v[4:5], v0 offset0:1 offset1:18
	scratch_load_b64 v[9:10], off, off offset:600 ; 8-byte Folded Reload
	s_waitcnt lgkmcnt(0)
	v_fma_mix_f32 v11, v4, v3, 0 op_sel:[0,1,0] op_sel_hi:[0,1,0]
	s_waitcnt vmcnt(0)
	v_mad_u64_u32 v[6:7], null, v1, s9, v[9:10]
	scratch_load_b32 v1, off, off offset:632 ; 4-byte Folded Reload
	ds_load_b32 v7, v8 offset:4352
	v_fma_mix_f32 v9, v4, v2, 0 op_sel:[0,1,0] op_sel_hi:[0,1,0]
	v_fma_mix_f32 v10, v4, v3, 0 op_sel_hi:[0,1,0]
	v_lshl_add_u32 v0, v6, 6, v222
	v_fma_mix_f32 v6, v4, v2, 0 op_sel_hi:[0,1,0]
	s_waitcnt lgkmcnt(0)
	s_delay_alu instid0(VALU_DEP_1) | instskip(SKIP_4) | instid1(VALU_DEP_1)
	v_fma_mix_f32 v6, v5, v7, v6 op_sel_hi:[0,1,0]
	v_fma_mix_f32 v7, v5, v7, v9 op_sel:[0,1,0] op_sel_hi:[0,1,0]
	s_waitcnt vmcnt(0)
	ds_load_b32 v8, v1 offset:4352
	v_ashrrev_i32_e32 v1, 31, v0
	v_lshlrev_b64 v[0:1], 3, v[0:1]
	s_delay_alu instid0(VALU_DEP_1) | instskip(NEXT) | instid1(VALU_DEP_1)
	v_add_co_u32 v2, s3, s83, v0
	v_add_co_ci_u32_e64 v3, s3, s67, v1, s3
	v_mov_b32_e32 v0, 0
	s_waitcnt lgkmcnt(0)
	v_fma_mix_f32 v4, v5, v8, v10 op_sel_hi:[0,1,0]
	v_fma_mix_f32 v5, v5, v8, v11 op_sel:[0,1,0] op_sel_hi:[0,1,0]
	s_clause 0x1
	global_store_b64 v[2:3], v[6:7], off
	global_store_b64 v[2:3], v[4:5], off offset:256
.LBB24_93:                              ;   in Loop: Header=BB24_12 Depth=1
	s_or_b32 exec_lo, exec_lo, s4
	s_mov_b32 s4, -1
	s_mov_b32 s6, exec_lo
	v_cmpx_gt_i32_e32 0x47, v0
; %bb.94:                               ;   in Loop: Header=BB24_12 Depth=1
	v_cmp_eq_u32_e64 s3, 0, v0
	s_delay_alu instid0(VALU_DEP_1)
	s_or_not1_b32 s4, s3, exec_lo
; %bb.95:                               ;   in Loop: Header=BB24_12 Depth=1
	s_or_b32 exec_lo, exec_lo, s6
	s_delay_alu instid0(SALU_CYCLE_1)
	s_and_b32 exec_lo, exec_lo, s4
	s_cbranch_execz .LBB24_143
; %bb.96:                               ;   in Loop: Header=BB24_12 Depth=1
	scratch_load_b32 v0, off, off offset:636 ; 4-byte Folded Reload
	s_waitcnt vmcnt(0)
	v_dual_mov_b32 v0, 0x47 :: v_dual_add_nc_u32 v1, s66, v0
	s_delay_alu instid0(VALU_DEP_1) | instskip(NEXT) | instid1(VALU_DEP_1)
	v_cmp_gt_i32_e64 s3, s8, v1
	s_and_b32 s3, s3, vcc_lo
	s_delay_alu instid0(SALU_CYCLE_1)
	s_and_saveexec_b32 s4, s3
	s_cbranch_execz .LBB24_98
; %bb.97:                               ;   in Loop: Header=BB24_12 Depth=1
	s_clause 0x1
	scratch_load_b32 v0, off, off offset:648
	scratch_load_b32 v8, off, off offset:652
	s_waitcnt vmcnt(1)
	v_add_nc_u32_e32 v0, 0, v0
	s_waitcnt vmcnt(0)
	ds_load_2addr_b32 v[2:3], v8 offset1:32
	ds_load_2addr_stride64_b32 v[4:5], v0 offset0:1 offset1:18
	scratch_load_b64 v[9:10], off, off offset:188 ; 8-byte Folded Reload
	s_waitcnt lgkmcnt(0)
	v_fma_mix_f32 v11, v4, v3, 0 op_sel:[0,1,0] op_sel_hi:[0,1,0]
	s_waitcnt vmcnt(0)
	v_mad_u64_u32 v[6:7], null, v1, s9, v[9:10]
	scratch_load_b32 v1, off, off offset:656 ; 4-byte Folded Reload
	ds_load_b32 v7, v8 offset:4352
	v_fma_mix_f32 v9, v4, v2, 0 op_sel:[0,1,0] op_sel_hi:[0,1,0]
	v_fma_mix_f32 v10, v4, v3, 0 op_sel_hi:[0,1,0]
	v_lshl_add_u32 v0, v6, 6, v222
	v_fma_mix_f32 v6, v4, v2, 0 op_sel_hi:[0,1,0]
	s_waitcnt lgkmcnt(0)
	s_delay_alu instid0(VALU_DEP_1) | instskip(SKIP_4) | instid1(VALU_DEP_1)
	v_fma_mix_f32 v6, v5, v7, v6 op_sel_hi:[0,1,0]
	v_fma_mix_f32 v7, v5, v7, v9 op_sel:[0,1,0] op_sel_hi:[0,1,0]
	s_waitcnt vmcnt(0)
	ds_load_b32 v8, v1 offset:4352
	v_ashrrev_i32_e32 v1, 31, v0
	v_lshlrev_b64 v[0:1], 3, v[0:1]
	s_delay_alu instid0(VALU_DEP_1) | instskip(NEXT) | instid1(VALU_DEP_1)
	v_add_co_u32 v2, s3, s83, v0
	v_add_co_ci_u32_e64 v3, s3, s67, v1, s3
	v_mov_b32_e32 v0, 0
	s_waitcnt lgkmcnt(0)
	v_fma_mix_f32 v4, v5, v8, v10 op_sel_hi:[0,1,0]
	v_fma_mix_f32 v5, v5, v8, v11 op_sel:[0,1,0] op_sel_hi:[0,1,0]
	s_clause 0x1
	global_store_b64 v[2:3], v[6:7], off
	global_store_b64 v[2:3], v[4:5], off offset:256
.LBB24_98:                              ;   in Loop: Header=BB24_12 Depth=1
	s_or_b32 exec_lo, exec_lo, s4
	s_mov_b32 s4, -1
	s_mov_b32 s6, exec_lo
	v_cmpx_gt_i32_e32 0x47, v0
; %bb.99:                               ;   in Loop: Header=BB24_12 Depth=1
	v_cmp_eq_u32_e64 s3, 0, v0
	s_delay_alu instid0(VALU_DEP_1)
	s_or_not1_b32 s4, s3, exec_lo
; %bb.100:                              ;   in Loop: Header=BB24_12 Depth=1
	s_or_b32 exec_lo, exec_lo, s6
	s_delay_alu instid0(SALU_CYCLE_1)
	s_and_b32 exec_lo, exec_lo, s4
	s_cbranch_execz .LBB24_143
; %bb.101:                              ;   in Loop: Header=BB24_12 Depth=1
	s_clause 0x1
	scratch_load_b32 v0, off, off offset:660
	scratch_load_b64 v[2:3], off, off offset:640
	s_waitcnt vmcnt(1)
	v_add_nc_u32_e32 v1, s66, v0
	s_waitcnt vmcnt(0)
	v_or_b32_e32 v0, s94, v2
	s_delay_alu instid0(VALU_DEP_1) | instskip(SKIP_2) | instid1(VALU_DEP_1)
	v_cmp_gt_i32_e64 s4, s33, v0
	v_mov_b32_e32 v0, 0x47
	v_cmp_gt_i32_e64 s3, s8, v1
	s_and_b32 s3, s3, s4
	s_delay_alu instid0(SALU_CYCLE_1)
	s_and_saveexec_b32 s4, s3
	s_cbranch_execz .LBB24_103
; %bb.102:                              ;   in Loop: Header=BB24_12 Depth=1
	s_clause 0x1
	scratch_load_b32 v0, off, off offset:664
	scratch_load_b32 v8, off, off offset:668
	s_waitcnt vmcnt(1)
	v_add_nc_u32_e32 v0, 0, v0
	s_waitcnt vmcnt(0)
	ds_load_2addr_b32 v[2:3], v8 offset1:32
	ds_load_2addr_stride64_b32 v[4:5], v0 offset0:1 offset1:18
	scratch_load_b64 v[9:10], off, off offset:640 ; 8-byte Folded Reload
	s_waitcnt lgkmcnt(0)
	v_fma_mix_f32 v11, v4, v3, 0 op_sel:[0,1,0] op_sel_hi:[0,1,0]
	s_waitcnt vmcnt(0)
	v_mad_u64_u32 v[6:7], null, v1, s9, v[9:10]
	scratch_load_b32 v1, off, off offset:672 ; 4-byte Folded Reload
	ds_load_b32 v7, v8 offset:4352
	v_fma_mix_f32 v9, v4, v2, 0 op_sel:[0,1,0] op_sel_hi:[0,1,0]
	v_fma_mix_f32 v10, v4, v3, 0 op_sel_hi:[0,1,0]
	v_lshl_add_u32 v0, v6, 6, v222
	v_fma_mix_f32 v6, v4, v2, 0 op_sel_hi:[0,1,0]
	s_waitcnt lgkmcnt(0)
	s_delay_alu instid0(VALU_DEP_1) | instskip(SKIP_4) | instid1(VALU_DEP_1)
	v_fma_mix_f32 v6, v5, v7, v6 op_sel_hi:[0,1,0]
	v_fma_mix_f32 v7, v5, v7, v9 op_sel:[0,1,0] op_sel_hi:[0,1,0]
	s_waitcnt vmcnt(0)
	ds_load_b32 v8, v1 offset:4352
	v_ashrrev_i32_e32 v1, 31, v0
	v_lshlrev_b64 v[0:1], 3, v[0:1]
	s_delay_alu instid0(VALU_DEP_1) | instskip(NEXT) | instid1(VALU_DEP_1)
	v_add_co_u32 v2, s3, s83, v0
	v_add_co_ci_u32_e64 v3, s3, s67, v1, s3
	v_mov_b32_e32 v0, 0
	s_waitcnt lgkmcnt(0)
	v_fma_mix_f32 v4, v5, v8, v10 op_sel_hi:[0,1,0]
	v_fma_mix_f32 v5, v5, v8, v11 op_sel:[0,1,0] op_sel_hi:[0,1,0]
	s_clause 0x1
	global_store_b64 v[2:3], v[6:7], off
	global_store_b64 v[2:3], v[4:5], off offset:256
.LBB24_103:                             ;   in Loop: Header=BB24_12 Depth=1
	s_or_b32 exec_lo, exec_lo, s4
	s_mov_b32 s4, -1
	s_mov_b32 s6, exec_lo
	v_cmpx_gt_i32_e32 0x47, v0
; %bb.104:                              ;   in Loop: Header=BB24_12 Depth=1
	v_cmp_eq_u32_e64 s3, 0, v0
	s_delay_alu instid0(VALU_DEP_1)
	s_or_not1_b32 s4, s3, exec_lo
; %bb.105:                              ;   in Loop: Header=BB24_12 Depth=1
	s_or_b32 exec_lo, exec_lo, s6
	s_delay_alu instid0(SALU_CYCLE_1)
	s_and_b32 exec_lo, exec_lo, s4
	s_cbranch_execz .LBB24_143
; %bb.106:                              ;   in Loop: Header=BB24_12 Depth=1
	scratch_load_b32 v0, off, off offset:676 ; 4-byte Folded Reload
	s_waitcnt vmcnt(0)
	v_dual_mov_b32 v0, 0x47 :: v_dual_add_nc_u32 v1, s66, v0
	s_delay_alu instid0(VALU_DEP_1) | instskip(NEXT) | instid1(VALU_DEP_1)
	v_cmp_gt_i32_e64 s3, s8, v1
	s_and_b32 s3, s3, vcc_lo
	s_delay_alu instid0(SALU_CYCLE_1)
	s_and_saveexec_b32 s4, s3
	s_cbranch_execz .LBB24_108
; %bb.107:                              ;   in Loop: Header=BB24_12 Depth=1
	s_clause 0x1
	scratch_load_b32 v0, off, off offset:688
	scratch_load_b32 v8, off, off offset:692
	s_waitcnt vmcnt(1)
	v_add_nc_u32_e32 v0, 0, v0
	s_waitcnt vmcnt(0)
	ds_load_2addr_b32 v[2:3], v8 offset1:32
	ds_load_2addr_stride64_b32 v[4:5], v0 offset0:1 offset1:18
	scratch_load_b64 v[9:10], off, off offset:188 ; 8-byte Folded Reload
	s_waitcnt lgkmcnt(0)
	v_fma_mix_f32 v11, v4, v3, 0 op_sel:[0,1,0] op_sel_hi:[0,1,0]
	s_waitcnt vmcnt(0)
	v_mad_u64_u32 v[6:7], null, v1, s9, v[9:10]
	scratch_load_b32 v1, off, off offset:696 ; 4-byte Folded Reload
	ds_load_b32 v7, v8 offset:4352
	v_fma_mix_f32 v9, v4, v2, 0 op_sel:[0,1,0] op_sel_hi:[0,1,0]
	v_fma_mix_f32 v10, v4, v3, 0 op_sel_hi:[0,1,0]
	v_lshl_add_u32 v0, v6, 6, v222
	v_fma_mix_f32 v6, v4, v2, 0 op_sel_hi:[0,1,0]
	s_waitcnt lgkmcnt(0)
	s_delay_alu instid0(VALU_DEP_1) | instskip(SKIP_4) | instid1(VALU_DEP_1)
	v_fma_mix_f32 v6, v5, v7, v6 op_sel_hi:[0,1,0]
	v_fma_mix_f32 v7, v5, v7, v9 op_sel:[0,1,0] op_sel_hi:[0,1,0]
	s_waitcnt vmcnt(0)
	ds_load_b32 v8, v1 offset:4352
	v_ashrrev_i32_e32 v1, 31, v0
	v_lshlrev_b64 v[0:1], 3, v[0:1]
	s_delay_alu instid0(VALU_DEP_1) | instskip(NEXT) | instid1(VALU_DEP_1)
	v_add_co_u32 v2, s3, s83, v0
	v_add_co_ci_u32_e64 v3, s3, s67, v1, s3
	v_mov_b32_e32 v0, 0
	s_waitcnt lgkmcnt(0)
	v_fma_mix_f32 v4, v5, v8, v10 op_sel_hi:[0,1,0]
	v_fma_mix_f32 v5, v5, v8, v11 op_sel:[0,1,0] op_sel_hi:[0,1,0]
	s_clause 0x1
	global_store_b64 v[2:3], v[6:7], off
	global_store_b64 v[2:3], v[4:5], off offset:256
.LBB24_108:                             ;   in Loop: Header=BB24_12 Depth=1
	s_or_b32 exec_lo, exec_lo, s4
	s_mov_b32 s4, -1
	s_mov_b32 s6, exec_lo
	v_cmpx_gt_i32_e32 0x47, v0
; %bb.109:                              ;   in Loop: Header=BB24_12 Depth=1
	v_cmp_eq_u32_e64 s3, 0, v0
	s_delay_alu instid0(VALU_DEP_1)
	s_or_not1_b32 s4, s3, exec_lo
; %bb.110:                              ;   in Loop: Header=BB24_12 Depth=1
	s_or_b32 exec_lo, exec_lo, s6
	s_delay_alu instid0(SALU_CYCLE_1)
	s_and_b32 exec_lo, exec_lo, s4
	s_cbranch_execz .LBB24_143
; %bb.111:                              ;   in Loop: Header=BB24_12 Depth=1
	s_clause 0x1
	scratch_load_b32 v0, off, off offset:700
	scratch_load_b64 v[2:3], off, off offset:680
	s_waitcnt vmcnt(1)
	v_add_nc_u32_e32 v1, s66, v0
	s_waitcnt vmcnt(0)
	v_or_b32_e32 v0, s94, v2
	s_delay_alu instid0(VALU_DEP_1) | instskip(SKIP_2) | instid1(VALU_DEP_1)
	v_cmp_gt_i32_e64 s4, s33, v0
	v_mov_b32_e32 v0, 0x47
	v_cmp_gt_i32_e64 s3, s8, v1
	s_and_b32 s3, s3, s4
	s_delay_alu instid0(SALU_CYCLE_1)
	s_and_saveexec_b32 s4, s3
	s_cbranch_execz .LBB24_113
; %bb.112:                              ;   in Loop: Header=BB24_12 Depth=1
	s_clause 0x1
	scratch_load_b32 v0, off, off offset:704
	scratch_load_b32 v8, off, off offset:708
	s_waitcnt vmcnt(1)
	v_add_nc_u32_e32 v0, 0, v0
	s_waitcnt vmcnt(0)
	ds_load_2addr_b32 v[2:3], v8 offset1:32
	ds_load_2addr_stride64_b32 v[4:5], v0 offset0:1 offset1:18
	scratch_load_b64 v[9:10], off, off offset:680 ; 8-byte Folded Reload
	s_waitcnt lgkmcnt(0)
	v_fma_mix_f32 v11, v4, v3, 0 op_sel:[0,1,0] op_sel_hi:[0,1,0]
	s_waitcnt vmcnt(0)
	v_mad_u64_u32 v[6:7], null, v1, s9, v[9:10]
	scratch_load_b32 v1, off, off offset:712 ; 4-byte Folded Reload
	ds_load_b32 v7, v8 offset:4352
	v_fma_mix_f32 v9, v4, v2, 0 op_sel:[0,1,0] op_sel_hi:[0,1,0]
	v_fma_mix_f32 v10, v4, v3, 0 op_sel_hi:[0,1,0]
	v_lshl_add_u32 v0, v6, 6, v222
	v_fma_mix_f32 v6, v4, v2, 0 op_sel_hi:[0,1,0]
	s_waitcnt lgkmcnt(0)
	s_delay_alu instid0(VALU_DEP_1) | instskip(SKIP_4) | instid1(VALU_DEP_1)
	v_fma_mix_f32 v6, v5, v7, v6 op_sel_hi:[0,1,0]
	v_fma_mix_f32 v7, v5, v7, v9 op_sel:[0,1,0] op_sel_hi:[0,1,0]
	s_waitcnt vmcnt(0)
	ds_load_b32 v8, v1 offset:4352
	v_ashrrev_i32_e32 v1, 31, v0
	v_lshlrev_b64 v[0:1], 3, v[0:1]
	s_delay_alu instid0(VALU_DEP_1) | instskip(NEXT) | instid1(VALU_DEP_1)
	v_add_co_u32 v2, s3, s83, v0
	v_add_co_ci_u32_e64 v3, s3, s67, v1, s3
	v_mov_b32_e32 v0, 0
	s_waitcnt lgkmcnt(0)
	v_fma_mix_f32 v4, v5, v8, v10 op_sel_hi:[0,1,0]
	v_fma_mix_f32 v5, v5, v8, v11 op_sel:[0,1,0] op_sel_hi:[0,1,0]
	s_clause 0x1
	global_store_b64 v[2:3], v[6:7], off
	global_store_b64 v[2:3], v[4:5], off offset:256
.LBB24_113:                             ;   in Loop: Header=BB24_12 Depth=1
	s_or_b32 exec_lo, exec_lo, s4
	s_mov_b32 s4, -1
	s_mov_b32 s6, exec_lo
	v_cmpx_gt_i32_e32 0x47, v0
; %bb.114:                              ;   in Loop: Header=BB24_12 Depth=1
	v_cmp_eq_u32_e64 s3, 0, v0
	s_delay_alu instid0(VALU_DEP_1)
	s_or_not1_b32 s4, s3, exec_lo
; %bb.115:                              ;   in Loop: Header=BB24_12 Depth=1
	s_or_b32 exec_lo, exec_lo, s6
	s_delay_alu instid0(SALU_CYCLE_1)
	s_and_b32 exec_lo, exec_lo, s4
	s_cbranch_execz .LBB24_143
; %bb.116:                              ;   in Loop: Header=BB24_12 Depth=1
	scratch_load_b32 v0, off, off offset:716 ; 4-byte Folded Reload
	s_waitcnt vmcnt(0)
	v_dual_mov_b32 v0, 0x47 :: v_dual_add_nc_u32 v1, s66, v0
	s_delay_alu instid0(VALU_DEP_1) | instskip(NEXT) | instid1(VALU_DEP_1)
	v_cmp_gt_i32_e64 s3, s8, v1
	s_and_b32 s3, s3, vcc_lo
	s_delay_alu instid0(SALU_CYCLE_1)
	s_and_saveexec_b32 s4, s3
	s_cbranch_execz .LBB24_118
; %bb.117:                              ;   in Loop: Header=BB24_12 Depth=1
	s_clause 0x1
	scratch_load_b32 v0, off, off offset:728
	scratch_load_b32 v8, off, off offset:732
	s_waitcnt vmcnt(1)
	v_add_nc_u32_e32 v0, 0, v0
	s_waitcnt vmcnt(0)
	ds_load_2addr_b32 v[2:3], v8 offset1:32
	ds_load_2addr_stride64_b32 v[4:5], v0 offset0:1 offset1:18
	scratch_load_b64 v[9:10], off, off offset:188 ; 8-byte Folded Reload
	s_waitcnt lgkmcnt(0)
	v_fma_mix_f32 v11, v4, v3, 0 op_sel:[0,1,0] op_sel_hi:[0,1,0]
	s_waitcnt vmcnt(0)
	v_mad_u64_u32 v[6:7], null, v1, s9, v[9:10]
	scratch_load_b32 v1, off, off offset:736 ; 4-byte Folded Reload
	ds_load_b32 v7, v8 offset:4352
	v_fma_mix_f32 v9, v4, v2, 0 op_sel:[0,1,0] op_sel_hi:[0,1,0]
	v_fma_mix_f32 v10, v4, v3, 0 op_sel_hi:[0,1,0]
	v_lshl_add_u32 v0, v6, 6, v222
	v_fma_mix_f32 v6, v4, v2, 0 op_sel_hi:[0,1,0]
	s_waitcnt lgkmcnt(0)
	s_delay_alu instid0(VALU_DEP_1) | instskip(SKIP_4) | instid1(VALU_DEP_1)
	v_fma_mix_f32 v6, v5, v7, v6 op_sel_hi:[0,1,0]
	v_fma_mix_f32 v7, v5, v7, v9 op_sel:[0,1,0] op_sel_hi:[0,1,0]
	s_waitcnt vmcnt(0)
	ds_load_b32 v8, v1 offset:4352
	v_ashrrev_i32_e32 v1, 31, v0
	v_lshlrev_b64 v[0:1], 3, v[0:1]
	s_delay_alu instid0(VALU_DEP_1) | instskip(NEXT) | instid1(VALU_DEP_1)
	v_add_co_u32 v2, s3, s83, v0
	v_add_co_ci_u32_e64 v3, s3, s67, v1, s3
	v_mov_b32_e32 v0, 0
	s_waitcnt lgkmcnt(0)
	v_fma_mix_f32 v4, v5, v8, v10 op_sel_hi:[0,1,0]
	v_fma_mix_f32 v5, v5, v8, v11 op_sel:[0,1,0] op_sel_hi:[0,1,0]
	s_clause 0x1
	global_store_b64 v[2:3], v[6:7], off
	global_store_b64 v[2:3], v[4:5], off offset:256
.LBB24_118:                             ;   in Loop: Header=BB24_12 Depth=1
	s_or_b32 exec_lo, exec_lo, s4
	s_mov_b32 s4, -1
	s_mov_b32 s6, exec_lo
	v_cmpx_gt_i32_e32 0x47, v0
; %bb.119:                              ;   in Loop: Header=BB24_12 Depth=1
	v_cmp_eq_u32_e64 s3, 0, v0
	s_delay_alu instid0(VALU_DEP_1)
	s_or_not1_b32 s4, s3, exec_lo
; %bb.120:                              ;   in Loop: Header=BB24_12 Depth=1
	s_or_b32 exec_lo, exec_lo, s6
	s_delay_alu instid0(SALU_CYCLE_1)
	s_and_b32 exec_lo, exec_lo, s4
	s_cbranch_execz .LBB24_143
; %bb.121:                              ;   in Loop: Header=BB24_12 Depth=1
	s_clause 0x1
	scratch_load_b32 v0, off, off offset:740
	scratch_load_b64 v[2:3], off, off offset:720
	s_waitcnt vmcnt(1)
	v_add_nc_u32_e32 v1, s66, v0
	s_waitcnt vmcnt(0)
	v_or_b32_e32 v0, s94, v2
	s_delay_alu instid0(VALU_DEP_1) | instskip(SKIP_2) | instid1(VALU_DEP_1)
	v_cmp_gt_i32_e64 s4, s33, v0
	v_mov_b32_e32 v0, 0x47
	v_cmp_gt_i32_e64 s3, s8, v1
	s_and_b32 s3, s3, s4
	s_delay_alu instid0(SALU_CYCLE_1)
	s_and_saveexec_b32 s4, s3
	s_cbranch_execz .LBB24_123
; %bb.122:                              ;   in Loop: Header=BB24_12 Depth=1
	s_clause 0x1
	scratch_load_b32 v0, off, off offset:744
	scratch_load_b32 v8, off, off offset:748
	s_waitcnt vmcnt(1)
	v_add_nc_u32_e32 v0, 0, v0
	s_waitcnt vmcnt(0)
	ds_load_2addr_b32 v[2:3], v8 offset1:32
	ds_load_2addr_stride64_b32 v[4:5], v0 offset0:1 offset1:18
	scratch_load_b64 v[9:10], off, off offset:720 ; 8-byte Folded Reload
	s_waitcnt lgkmcnt(0)
	v_fma_mix_f32 v11, v4, v3, 0 op_sel:[0,1,0] op_sel_hi:[0,1,0]
	s_waitcnt vmcnt(0)
	v_mad_u64_u32 v[6:7], null, v1, s9, v[9:10]
	scratch_load_b32 v1, off, off offset:752 ; 4-byte Folded Reload
	ds_load_b32 v7, v8 offset:4352
	v_fma_mix_f32 v9, v4, v2, 0 op_sel:[0,1,0] op_sel_hi:[0,1,0]
	v_fma_mix_f32 v10, v4, v3, 0 op_sel_hi:[0,1,0]
	v_lshl_add_u32 v0, v6, 6, v222
	v_fma_mix_f32 v6, v4, v2, 0 op_sel_hi:[0,1,0]
	s_waitcnt lgkmcnt(0)
	s_delay_alu instid0(VALU_DEP_1) | instskip(SKIP_4) | instid1(VALU_DEP_1)
	v_fma_mix_f32 v6, v5, v7, v6 op_sel_hi:[0,1,0]
	v_fma_mix_f32 v7, v5, v7, v9 op_sel:[0,1,0] op_sel_hi:[0,1,0]
	s_waitcnt vmcnt(0)
	ds_load_b32 v8, v1 offset:4352
	v_ashrrev_i32_e32 v1, 31, v0
	v_lshlrev_b64 v[0:1], 3, v[0:1]
	s_delay_alu instid0(VALU_DEP_1) | instskip(NEXT) | instid1(VALU_DEP_1)
	v_add_co_u32 v2, s3, s83, v0
	v_add_co_ci_u32_e64 v3, s3, s67, v1, s3
	v_mov_b32_e32 v0, 0
	s_waitcnt lgkmcnt(0)
	v_fma_mix_f32 v4, v5, v8, v10 op_sel_hi:[0,1,0]
	v_fma_mix_f32 v5, v5, v8, v11 op_sel:[0,1,0] op_sel_hi:[0,1,0]
	s_clause 0x1
	global_store_b64 v[2:3], v[6:7], off
	global_store_b64 v[2:3], v[4:5], off offset:256
.LBB24_123:                             ;   in Loop: Header=BB24_12 Depth=1
	s_or_b32 exec_lo, exec_lo, s4
	s_mov_b32 s4, -1
	s_mov_b32 s6, exec_lo
	v_cmpx_gt_i32_e32 0x47, v0
; %bb.124:                              ;   in Loop: Header=BB24_12 Depth=1
	v_cmp_eq_u32_e64 s3, 0, v0
	s_delay_alu instid0(VALU_DEP_1)
	s_or_not1_b32 s4, s3, exec_lo
; %bb.125:                              ;   in Loop: Header=BB24_12 Depth=1
	s_or_b32 exec_lo, exec_lo, s6
	s_delay_alu instid0(SALU_CYCLE_1)
	s_and_b32 exec_lo, exec_lo, s4
	s_cbranch_execz .LBB24_143
; %bb.126:                              ;   in Loop: Header=BB24_12 Depth=1
	scratch_load_b32 v0, off, off offset:756 ; 4-byte Folded Reload
	s_waitcnt vmcnt(0)
	v_dual_mov_b32 v0, 0x47 :: v_dual_add_nc_u32 v1, s66, v0
	s_delay_alu instid0(VALU_DEP_1) | instskip(NEXT) | instid1(VALU_DEP_1)
	v_cmp_gt_i32_e64 s3, s8, v1
	s_and_b32 s3, s3, vcc_lo
	s_delay_alu instid0(SALU_CYCLE_1)
	s_and_saveexec_b32 s4, s3
	s_cbranch_execz .LBB24_128
; %bb.127:                              ;   in Loop: Header=BB24_12 Depth=1
	s_clause 0x1
	scratch_load_b32 v0, off, off offset:768
	scratch_load_b32 v8, off, off offset:772
	s_waitcnt vmcnt(1)
	v_add_nc_u32_e32 v0, 0, v0
	s_waitcnt vmcnt(0)
	ds_load_2addr_b32 v[2:3], v8 offset1:32
	ds_load_2addr_stride64_b32 v[4:5], v0 offset0:1 offset1:18
	scratch_load_b64 v[9:10], off, off offset:188 ; 8-byte Folded Reload
	s_waitcnt lgkmcnt(0)
	v_fma_mix_f32 v11, v4, v3, 0 op_sel:[0,1,0] op_sel_hi:[0,1,0]
	s_waitcnt vmcnt(0)
	v_mad_u64_u32 v[6:7], null, v1, s9, v[9:10]
	scratch_load_b32 v1, off, off offset:776 ; 4-byte Folded Reload
	ds_load_b32 v7, v8 offset:4352
	v_fma_mix_f32 v9, v4, v2, 0 op_sel:[0,1,0] op_sel_hi:[0,1,0]
	v_fma_mix_f32 v10, v4, v3, 0 op_sel_hi:[0,1,0]
	v_lshl_add_u32 v0, v6, 6, v222
	v_fma_mix_f32 v6, v4, v2, 0 op_sel_hi:[0,1,0]
	s_waitcnt lgkmcnt(0)
	s_delay_alu instid0(VALU_DEP_1) | instskip(SKIP_4) | instid1(VALU_DEP_1)
	v_fma_mix_f32 v6, v5, v7, v6 op_sel_hi:[0,1,0]
	v_fma_mix_f32 v7, v5, v7, v9 op_sel:[0,1,0] op_sel_hi:[0,1,0]
	s_waitcnt vmcnt(0)
	ds_load_b32 v8, v1 offset:4352
	v_ashrrev_i32_e32 v1, 31, v0
	v_lshlrev_b64 v[0:1], 3, v[0:1]
	s_delay_alu instid0(VALU_DEP_1) | instskip(NEXT) | instid1(VALU_DEP_1)
	v_add_co_u32 v2, s3, s83, v0
	v_add_co_ci_u32_e64 v3, s3, s67, v1, s3
	v_mov_b32_e32 v0, 0
	s_waitcnt lgkmcnt(0)
	v_fma_mix_f32 v4, v5, v8, v10 op_sel_hi:[0,1,0]
	v_fma_mix_f32 v5, v5, v8, v11 op_sel:[0,1,0] op_sel_hi:[0,1,0]
	s_clause 0x1
	global_store_b64 v[2:3], v[6:7], off
	global_store_b64 v[2:3], v[4:5], off offset:256
.LBB24_128:                             ;   in Loop: Header=BB24_12 Depth=1
	s_or_b32 exec_lo, exec_lo, s4
	s_mov_b32 s4, -1
	s_mov_b32 s6, exec_lo
	v_cmpx_gt_i32_e32 0x47, v0
; %bb.129:                              ;   in Loop: Header=BB24_12 Depth=1
	v_cmp_eq_u32_e64 s3, 0, v0
	s_delay_alu instid0(VALU_DEP_1)
	s_or_not1_b32 s4, s3, exec_lo
; %bb.130:                              ;   in Loop: Header=BB24_12 Depth=1
	s_or_b32 exec_lo, exec_lo, s6
	s_delay_alu instid0(SALU_CYCLE_1)
	s_and_b32 exec_lo, exec_lo, s4
	s_cbranch_execz .LBB24_143
; %bb.131:                              ;   in Loop: Header=BB24_12 Depth=1
	s_clause 0x1
	scratch_load_b32 v0, off, off offset:780
	scratch_load_b64 v[2:3], off, off offset:760
	s_waitcnt vmcnt(1)
	v_add_nc_u32_e32 v1, s66, v0
	s_waitcnt vmcnt(0)
	v_or_b32_e32 v0, s94, v2
	s_delay_alu instid0(VALU_DEP_1) | instskip(SKIP_2) | instid1(VALU_DEP_1)
	v_cmp_gt_i32_e64 s4, s33, v0
	v_mov_b32_e32 v0, 0x47
	v_cmp_gt_i32_e64 s3, s8, v1
	s_and_b32 s3, s3, s4
	s_delay_alu instid0(SALU_CYCLE_1)
	s_and_saveexec_b32 s4, s3
	s_cbranch_execz .LBB24_133
; %bb.132:                              ;   in Loop: Header=BB24_12 Depth=1
	s_clause 0x1
	scratch_load_b32 v0, off, off offset:784
	scratch_load_b32 v8, off, off offset:788
	s_waitcnt vmcnt(1)
	v_add_nc_u32_e32 v0, 0, v0
	s_waitcnt vmcnt(0)
	ds_load_2addr_b32 v[2:3], v8 offset1:32
	ds_load_2addr_stride64_b32 v[4:5], v0 offset0:1 offset1:18
	scratch_load_b64 v[9:10], off, off offset:760 ; 8-byte Folded Reload
	s_waitcnt lgkmcnt(0)
	v_fma_mix_f32 v11, v4, v3, 0 op_sel:[0,1,0] op_sel_hi:[0,1,0]
	s_waitcnt vmcnt(0)
	v_mad_u64_u32 v[6:7], null, v1, s9, v[9:10]
	scratch_load_b32 v1, off, off offset:792 ; 4-byte Folded Reload
	ds_load_b32 v7, v8 offset:4352
	v_fma_mix_f32 v9, v4, v2, 0 op_sel:[0,1,0] op_sel_hi:[0,1,0]
	v_fma_mix_f32 v10, v4, v3, 0 op_sel_hi:[0,1,0]
	v_lshl_add_u32 v0, v6, 6, v222
	v_fma_mix_f32 v6, v4, v2, 0 op_sel_hi:[0,1,0]
	s_waitcnt lgkmcnt(0)
	s_delay_alu instid0(VALU_DEP_1) | instskip(SKIP_4) | instid1(VALU_DEP_1)
	v_fma_mix_f32 v6, v5, v7, v6 op_sel_hi:[0,1,0]
	v_fma_mix_f32 v7, v5, v7, v9 op_sel:[0,1,0] op_sel_hi:[0,1,0]
	s_waitcnt vmcnt(0)
	ds_load_b32 v8, v1 offset:4352
	v_ashrrev_i32_e32 v1, 31, v0
	v_lshlrev_b64 v[0:1], 3, v[0:1]
	s_delay_alu instid0(VALU_DEP_1) | instskip(NEXT) | instid1(VALU_DEP_1)
	v_add_co_u32 v2, s3, s83, v0
	v_add_co_ci_u32_e64 v3, s3, s67, v1, s3
	v_mov_b32_e32 v0, 0
	s_waitcnt lgkmcnt(0)
	v_fma_mix_f32 v4, v5, v8, v10 op_sel_hi:[0,1,0]
	v_fma_mix_f32 v5, v5, v8, v11 op_sel:[0,1,0] op_sel_hi:[0,1,0]
	s_clause 0x1
	global_store_b64 v[2:3], v[6:7], off
	global_store_b64 v[2:3], v[4:5], off offset:256
.LBB24_133:                             ;   in Loop: Header=BB24_12 Depth=1
	s_or_b32 exec_lo, exec_lo, s4
	s_mov_b32 s4, -1
	s_mov_b32 s6, exec_lo
	v_cmpx_gt_i32_e32 0x47, v0
; %bb.134:                              ;   in Loop: Header=BB24_12 Depth=1
	v_cmp_eq_u32_e64 s3, 0, v0
	s_delay_alu instid0(VALU_DEP_1)
	s_or_not1_b32 s4, s3, exec_lo
; %bb.135:                              ;   in Loop: Header=BB24_12 Depth=1
	s_or_b32 exec_lo, exec_lo, s6
	s_delay_alu instid0(SALU_CYCLE_1)
	s_and_b32 exec_lo, exec_lo, s4
	s_cbranch_execz .LBB24_143
; %bb.136:                              ;   in Loop: Header=BB24_12 Depth=1
	scratch_load_b32 v0, off, off offset:796 ; 4-byte Folded Reload
	s_waitcnt vmcnt(0)
	v_dual_mov_b32 v0, 0x47 :: v_dual_add_nc_u32 v1, s66, v0
	s_delay_alu instid0(VALU_DEP_1) | instskip(NEXT) | instid1(VALU_DEP_1)
	v_cmp_gt_i32_e64 s3, s8, v1
	s_and_b32 s4, s3, vcc_lo
	s_delay_alu instid0(SALU_CYCLE_1)
	s_and_saveexec_b32 s3, s4
	s_cbranch_execz .LBB24_138
; %bb.137:                              ;   in Loop: Header=BB24_12 Depth=1
	s_clause 0x1
	scratch_load_b32 v0, off, off offset:808
	scratch_load_b32 v8, off, off offset:812
	s_waitcnt vmcnt(1)
	v_add_nc_u32_e32 v0, 0, v0
	s_waitcnt vmcnt(0)
	ds_load_2addr_b32 v[2:3], v8 offset1:32
	ds_load_2addr_stride64_b32 v[4:5], v0 offset0:1 offset1:18
	scratch_load_b64 v[9:10], off, off offset:188 ; 8-byte Folded Reload
	s_waitcnt lgkmcnt(0)
	v_fma_mix_f32 v11, v4, v3, 0 op_sel:[0,1,0] op_sel_hi:[0,1,0]
	s_waitcnt vmcnt(0)
	v_mad_u64_u32 v[6:7], null, v1, s9, v[9:10]
	scratch_load_b32 v1, off, off offset:816 ; 4-byte Folded Reload
	ds_load_b32 v7, v8 offset:4352
	v_fma_mix_f32 v9, v4, v2, 0 op_sel:[0,1,0] op_sel_hi:[0,1,0]
	v_fma_mix_f32 v10, v4, v3, 0 op_sel_hi:[0,1,0]
	v_lshl_add_u32 v0, v6, 6, v222
	v_fma_mix_f32 v6, v4, v2, 0 op_sel_hi:[0,1,0]
	s_waitcnt lgkmcnt(0)
	s_delay_alu instid0(VALU_DEP_1) | instskip(SKIP_4) | instid1(VALU_DEP_1)
	v_fma_mix_f32 v6, v5, v7, v6 op_sel_hi:[0,1,0]
	v_fma_mix_f32 v7, v5, v7, v9 op_sel:[0,1,0] op_sel_hi:[0,1,0]
	s_waitcnt vmcnt(0)
	ds_load_b32 v8, v1 offset:4352
	v_ashrrev_i32_e32 v1, 31, v0
	v_lshlrev_b64 v[0:1], 3, v[0:1]
	s_delay_alu instid0(VALU_DEP_1) | instskip(NEXT) | instid1(VALU_DEP_2)
	v_add_co_u32 v2, vcc_lo, s83, v0
	v_add_co_ci_u32_e32 v3, vcc_lo, s67, v1, vcc_lo
	v_mov_b32_e32 v0, 0
	s_waitcnt lgkmcnt(0)
	v_fma_mix_f32 v4, v5, v8, v10 op_sel_hi:[0,1,0]
	v_fma_mix_f32 v5, v5, v8, v11 op_sel:[0,1,0] op_sel_hi:[0,1,0]
	s_clause 0x1
	global_store_b64 v[2:3], v[6:7], off
	global_store_b64 v[2:3], v[4:5], off offset:256
.LBB24_138:                             ;   in Loop: Header=BB24_12 Depth=1
	s_or_b32 exec_lo, exec_lo, s3
	s_mov_b32 s3, -1
	s_mov_b32 s4, exec_lo
	v_cmpx_gt_i32_e32 0x47, v0
; %bb.139:                              ;   in Loop: Header=BB24_12 Depth=1
	v_cmp_eq_u32_e32 vcc_lo, 0, v0
	s_or_not1_b32 s3, vcc_lo, exec_lo
; %bb.140:                              ;   in Loop: Header=BB24_12 Depth=1
	s_or_b32 exec_lo, exec_lo, s4
	s_delay_alu instid0(SALU_CYCLE_1)
	s_and_b32 exec_lo, exec_lo, s3
	s_cbranch_execz .LBB24_143
; %bb.141:                              ;   in Loop: Header=BB24_12 Depth=1
	s_clause 0x1
	scratch_load_b32 v0, off, off offset:820
	scratch_load_b64 v[1:2], off, off offset:800
	s_waitcnt vmcnt(1)
	v_add_nc_u32_e32 v0, s66, v0
	s_waitcnt vmcnt(0)
	v_or_b32_e32 v1, s94, v1
	s_delay_alu instid0(VALU_DEP_2) | instskip(NEXT) | instid1(VALU_DEP_2)
	v_cmp_gt_i32_e32 vcc_lo, s8, v0
	v_cmp_gt_i32_e64 s3, s33, v1
	s_delay_alu instid0(VALU_DEP_1) | instskip(NEXT) | instid1(SALU_CYCLE_1)
	s_and_b32 s3, vcc_lo, s3
	s_and_b32 exec_lo, exec_lo, s3
	s_cbranch_execz .LBB24_143
; %bb.142:                              ;   in Loop: Header=BB24_12 Depth=1
	s_clause 0x1
	scratch_load_b32 v1, off, off offset:824
	scratch_load_b32 v7, off, off offset:828
	s_waitcnt vmcnt(1)
	v_add_nc_u32_e32 v3, 0, v1
	s_waitcnt vmcnt(0)
	ds_load_2addr_b32 v[1:2], v7 offset1:32
	ds_load_2addr_stride64_b32 v[3:4], v3 offset0:1 offset1:18
	scratch_load_b64 v[8:9], off, off offset:800 ; 8-byte Folded Reload
	ds_load_b32 v7, v7 offset:4352
	s_waitcnt lgkmcnt(1)
	v_fma_mix_f32 v10, v3, v1, 0 op_sel:[0,1,0] op_sel_hi:[0,1,0]
	v_fma_mix_f32 v11, v3, v2, 0 op_sel_hi:[0,1,0]
	v_fma_mix_f32 v12, v3, v2, 0 op_sel:[0,1,0] op_sel_hi:[0,1,0]
	s_waitcnt vmcnt(0)
	v_mad_u64_u32 v[5:6], null, v0, s9, v[8:9]
	scratch_load_b32 v0, off, off offset:832 ; 4-byte Folded Reload
	v_fma_mix_f32 v9, v3, v1, 0 op_sel_hi:[0,1,0]
	v_lshl_add_u32 v5, v5, 6, v222
	s_delay_alu instid0(VALU_DEP_1) | instskip(NEXT) | instid1(VALU_DEP_1)
	v_ashrrev_i32_e32 v6, 31, v5
	v_lshlrev_b64 v[5:6], 3, v[5:6]
	s_waitcnt vmcnt(0)
	ds_load_b32 v8, v0 offset:4352
	v_add_co_u32 v0, vcc_lo, s83, v5
	v_add_co_ci_u32_e32 v1, vcc_lo, s67, v6, vcc_lo
	s_waitcnt lgkmcnt(1)
	v_fma_mix_f32 v2, v4, v7, v9 op_sel_hi:[0,1,0]
	v_fma_mix_f32 v3, v4, v7, v10 op_sel:[0,1,0] op_sel_hi:[0,1,0]
	s_waitcnt lgkmcnt(0)
	v_fma_mix_f32 v5, v4, v8, v11 op_sel_hi:[0,1,0]
	v_fma_mix_f32 v6, v4, v8, v12 op_sel:[0,1,0] op_sel_hi:[0,1,0]
	s_clause 0x1
	global_store_b64 v[0:1], v[2:3], off
	global_store_b64 v[0:1], v[5:6], off offset:256
.LBB24_143:                             ;   in Loop: Header=BB24_12 Depth=1
	s_or_b32 exec_lo, exec_lo, s5
	s_waitcnt_vscnt null, 0x0
	s_barrier
	s_branch .LBB24_11
.LBB24_144:                             ;   in Loop: Header=BB24_12 Depth=1
	s_lshl_b32 s74, s46, 3
	v_cmp_gt_i32_e32 vcc_lo, s33, v147
	v_add_nc_u32_e32 v0, s74, v233
	s_xor_b32 s4, vcc_lo, -1
	s_delay_alu instid0(VALU_DEP_1) | instskip(NEXT) | instid1(VALU_DEP_1)
	v_cmp_le_i32_e64 s3, s8, v0
	s_or_b32 s3, s3, s4
	s_delay_alu instid0(SALU_CYCLE_1) | instskip(NEXT) | instid1(SALU_CYCLE_1)
	s_and_saveexec_b32 s5, s3
	s_xor_b32 s3, exec_lo, s5
	s_cbranch_execz .LBB24_146
; %bb.145:                              ;   in Loop: Header=BB24_12 Depth=1
	ds_store_2addr_b32 v202, v238, v238 offset1:32
                                        ; implicit-def: $vgpr0
.LBB24_146:                             ;   in Loop: Header=BB24_12 Depth=1
	s_and_not1_saveexec_b32 s3, s3
	s_cbranch_execz .LBB24_148
; %bb.147:                              ;   in Loop: Header=BB24_12 Depth=1
	v_mul_lo_u32 v0, v0, s59
	s_delay_alu instid0(VALU_DEP_1) | instskip(NEXT) | instid1(VALU_DEP_1)
	v_add3_u32 v0, v0, v148, v222
	v_ashrrev_i32_e32 v1, 31, v0
	s_delay_alu instid0(VALU_DEP_1) | instskip(NEXT) | instid1(VALU_DEP_1)
	v_lshlrev_b64 v[0:1], 3, v[0:1]
	v_add_co_u32 v0, vcc_lo, s14, v0
	s_delay_alu instid0(VALU_DEP_2)
	v_add_co_ci_u32_e32 v1, vcc_lo, s15, v1, vcc_lo
	s_clause 0x1
	global_load_b64 v[2:3], v[0:1], off
	global_load_b64 v[0:1], v[0:1], off offset:256
	s_waitcnt vmcnt(1)
	v_cvt_f16_f32_e32 v2, v2
	v_cvt_f16_f32_e32 v3, v3
	s_waitcnt vmcnt(0)
	v_cvt_f16_f32_e32 v0, v0
	v_cvt_f16_f32_e32 v1, v1
	s_delay_alu instid0(VALU_DEP_3) | instskip(NEXT) | instid1(VALU_DEP_2)
	v_pack_b32_f16 v2, v2, v3
	v_pack_b32_f16 v0, v0, v1
	s_delay_alu instid0(VALU_DEP_2) | instskip(NEXT) | instid1(VALU_DEP_2)
	v_pk_mul_f16 v1, v219, v2
	v_pk_mul_f16 v0, v219, v0
	ds_store_2addr_b32 v202, v1, v0 offset1:32
.LBB24_148:                             ;   in Loop: Header=BB24_12 Depth=1
	s_or_b32 exec_lo, exec_lo, s3
	v_add_nc_u32_e32 v0, s74, v181
	s_delay_alu instid0(VALU_DEP_1) | instskip(SKIP_1) | instid1(SALU_CYCLE_1)
	v_cmp_le_i32_e32 vcc_lo, s8, v0
	s_or_b32 s3, vcc_lo, s4
	s_and_saveexec_b32 s5, s3
	s_delay_alu instid0(SALU_CYCLE_1)
	s_xor_b32 s3, exec_lo, s5
	s_cbranch_execz .LBB24_150
; %bb.149:                              ;   in Loop: Header=BB24_12 Depth=1
	ds_store_2addr_b32 v182, v238, v238 offset1:32
                                        ; implicit-def: $vgpr0
.LBB24_150:                             ;   in Loop: Header=BB24_12 Depth=1
	s_and_not1_saveexec_b32 s3, s3
	s_cbranch_execz .LBB24_152
; %bb.151:                              ;   in Loop: Header=BB24_12 Depth=1
	v_mul_lo_u32 v0, v0, s59
	s_delay_alu instid0(VALU_DEP_1) | instskip(NEXT) | instid1(VALU_DEP_1)
	v_add3_u32 v0, v0, v148, v222
	v_ashrrev_i32_e32 v1, 31, v0
	s_delay_alu instid0(VALU_DEP_1) | instskip(NEXT) | instid1(VALU_DEP_1)
	v_lshlrev_b64 v[0:1], 3, v[0:1]
	v_add_co_u32 v0, vcc_lo, s14, v0
	s_delay_alu instid0(VALU_DEP_2)
	v_add_co_ci_u32_e32 v1, vcc_lo, s15, v1, vcc_lo
	s_clause 0x1
	global_load_b64 v[2:3], v[0:1], off
	global_load_b64 v[0:1], v[0:1], off offset:256
	s_waitcnt vmcnt(1)
	v_cvt_f16_f32_e32 v2, v2
	v_cvt_f16_f32_e32 v3, v3
	s_waitcnt vmcnt(0)
	v_cvt_f16_f32_e32 v0, v0
	v_cvt_f16_f32_e32 v1, v1
	s_delay_alu instid0(VALU_DEP_3) | instskip(NEXT) | instid1(VALU_DEP_2)
	v_pack_b32_f16 v2, v2, v3
	v_pack_b32_f16 v0, v0, v1
	s_delay_alu instid0(VALU_DEP_2) | instskip(NEXT) | instid1(VALU_DEP_2)
	v_pk_mul_f16 v1, v219, v2
	v_pk_mul_f16 v0, v219, v0
	ds_store_2addr_b32 v182, v1, v0 offset1:32
.LBB24_152:                             ;   in Loop: Header=BB24_12 Depth=1
	s_or_b32 exec_lo, exec_lo, s3
	v_add_nc_u32_e32 v0, s74, v183
	s_delay_alu instid0(VALU_DEP_1) | instskip(SKIP_1) | instid1(SALU_CYCLE_1)
	v_cmp_le_i32_e32 vcc_lo, s8, v0
	s_or_b32 s3, vcc_lo, s4
	s_and_saveexec_b32 s5, s3
	s_delay_alu instid0(SALU_CYCLE_1)
	s_xor_b32 s3, exec_lo, s5
	s_cbranch_execz .LBB24_154
; %bb.153:                              ;   in Loop: Header=BB24_12 Depth=1
	v_add_nc_u32_e32 v0, 0x400, v182
	ds_store_2addr_b32 v0, v238, v238 offset0:16 offset1:48
                                        ; implicit-def: $vgpr0
.LBB24_154:                             ;   in Loop: Header=BB24_12 Depth=1
	s_and_not1_saveexec_b32 s3, s3
	s_cbranch_execz .LBB24_156
; %bb.155:                              ;   in Loop: Header=BB24_12 Depth=1
	v_mul_lo_u32 v0, v0, s59
	s_delay_alu instid0(VALU_DEP_1) | instskip(NEXT) | instid1(VALU_DEP_1)
	v_add3_u32 v0, v0, v148, v222
	v_ashrrev_i32_e32 v1, 31, v0
	s_delay_alu instid0(VALU_DEP_1) | instskip(NEXT) | instid1(VALU_DEP_1)
	v_lshlrev_b64 v[0:1], 3, v[0:1]
	v_add_co_u32 v0, vcc_lo, s14, v0
	s_delay_alu instid0(VALU_DEP_2)
	v_add_co_ci_u32_e32 v1, vcc_lo, s15, v1, vcc_lo
	s_clause 0x1
	global_load_b64 v[2:3], v[0:1], off
	global_load_b64 v[0:1], v[0:1], off offset:256
	s_waitcnt vmcnt(1)
	v_cvt_f16_f32_e32 v2, v2
	v_cvt_f16_f32_e32 v3, v3
	s_waitcnt vmcnt(0)
	v_cvt_f16_f32_e32 v0, v0
	v_cvt_f16_f32_e32 v1, v1
	s_delay_alu instid0(VALU_DEP_3) | instskip(NEXT) | instid1(VALU_DEP_2)
	v_pack_b32_f16 v2, v2, v3
	v_pack_b32_f16 v0, v0, v1
	s_delay_alu instid0(VALU_DEP_2) | instskip(SKIP_1) | instid1(VALU_DEP_3)
	v_pk_mul_f16 v1, v219, v2
	v_add_nc_u32_e32 v2, 0x400, v182
	v_pk_mul_f16 v0, v219, v0
	ds_store_2addr_b32 v2, v1, v0 offset0:16 offset1:48
.LBB24_156:                             ;   in Loop: Header=BB24_12 Depth=1
	s_or_b32 exec_lo, exec_lo, s3
	v_add_nc_u32_e32 v0, s74, v184
	s_delay_alu instid0(VALU_DEP_1) | instskip(SKIP_1) | instid1(SALU_CYCLE_1)
	v_cmp_le_i32_e32 vcc_lo, s8, v0
	s_or_b32 s3, vcc_lo, s4
	s_and_saveexec_b32 s5, s3
	s_delay_alu instid0(SALU_CYCLE_1)
	s_xor_b32 s3, exec_lo, s5
	s_cbranch_execz .LBB24_158
; %bb.157:                              ;   in Loop: Header=BB24_12 Depth=1
	v_add_nc_u32_e32 v0, 0x800, v182
	ds_store_2addr_b32 v0, v238, v238 offset0:32 offset1:64
                                        ; implicit-def: $vgpr0
.LBB24_158:                             ;   in Loop: Header=BB24_12 Depth=1
	s_and_not1_saveexec_b32 s3, s3
	s_cbranch_execz .LBB24_160
; %bb.159:                              ;   in Loop: Header=BB24_12 Depth=1
	v_mul_lo_u32 v0, v0, s59
	s_delay_alu instid0(VALU_DEP_1) | instskip(NEXT) | instid1(VALU_DEP_1)
	v_add3_u32 v0, v0, v148, v222
	v_ashrrev_i32_e32 v1, 31, v0
	s_delay_alu instid0(VALU_DEP_1) | instskip(NEXT) | instid1(VALU_DEP_1)
	v_lshlrev_b64 v[0:1], 3, v[0:1]
	v_add_co_u32 v0, vcc_lo, s14, v0
	s_delay_alu instid0(VALU_DEP_2)
	v_add_co_ci_u32_e32 v1, vcc_lo, s15, v1, vcc_lo
	s_clause 0x1
	global_load_b64 v[2:3], v[0:1], off
	global_load_b64 v[0:1], v[0:1], off offset:256
	s_waitcnt vmcnt(1)
	v_cvt_f16_f32_e32 v2, v2
	v_cvt_f16_f32_e32 v3, v3
	s_waitcnt vmcnt(0)
	v_cvt_f16_f32_e32 v0, v0
	v_cvt_f16_f32_e32 v1, v1
	s_delay_alu instid0(VALU_DEP_3) | instskip(NEXT) | instid1(VALU_DEP_2)
	v_pack_b32_f16 v2, v2, v3
	v_pack_b32_f16 v0, v0, v1
	s_delay_alu instid0(VALU_DEP_2) | instskip(SKIP_1) | instid1(VALU_DEP_3)
	v_pk_mul_f16 v1, v219, v2
	v_add_nc_u32_e32 v2, 0x800, v182
	v_pk_mul_f16 v0, v219, v0
	ds_store_2addr_b32 v2, v1, v0 offset0:32 offset1:64
.LBB24_160:                             ;   in Loop: Header=BB24_12 Depth=1
	;; [unrolled: 44-line block ×6, first 2 shown]
	s_or_b32 exec_lo, exec_lo, s3
	v_add_nc_u32_e32 v0, v218, v203
	s_waitcnt lgkmcnt(0)
	s_waitcnt_vscnt null, 0x0
	s_barrier
	buffer_gl0_inv
	s_cmp_gt_i32 s99, 1
	ds_load_b128 v[59:62], v0
	ds_load_b128 v[63:66], v0 offset:16
	ds_load_b128 v[35:38], v0 offset:32
	;; [unrolled: 1-line block ×15, first 2 shown]
	s_waitcnt lgkmcnt(0)
	s_barrier
	buffer_gl0_inv
	s_clause 0x1
	scratch_store_b128 off, v[1:4], off offset:156
	scratch_store_b128 off, v[5:8], off offset:172
	s_cbranch_scc1 .LBB24_178
; %bb.177:                              ;   in Loop: Header=BB24_12 Depth=1
	v_dual_mov_b32 v87, 32 :: v_dual_add_nc_u32 v0, s74, v204
	v_add_nc_u32_e32 v1, s74, v220
	v_xor_b32_e32 v86, 16, v193
	s_mov_b32 s14, 0
	s_delay_alu instid0(VALU_DEP_3) | instskip(SKIP_2) | instid1(VALU_DEP_2)
	v_mul_hi_u32 v2, s34, v0
	s_mov_b32 s3, 0xfeffffff
	v_mul_hi_u32 v3, s34, v1
	v_add_nc_u32_e32 v2, v0, v2
	s_delay_alu instid0(VALU_DEP_2) | instskip(NEXT) | instid1(VALU_DEP_2)
	v_add_nc_u32_e32 v3, v1, v3
	v_lshrrev_b32_e32 v2, s35, v2
	s_delay_alu instid0(VALU_DEP_2) | instskip(NEXT) | instid1(VALU_DEP_2)
	v_lshrrev_b32_e32 v3, s35, v3
	v_mul_lo_u32 v2, v2, s8
	s_delay_alu instid0(VALU_DEP_2) | instskip(NEXT) | instid1(VALU_DEP_2)
	v_mul_lo_u32 v3, v3, s8
	v_sub_nc_u32_e32 v0, v0, v2
	s_delay_alu instid0(VALU_DEP_2) | instskip(NEXT) | instid1(VALU_DEP_2)
	v_sub_nc_u32_e32 v1, v1, v3
	v_mad_i64_i32 v[32:33], null, v0, s82, 0
	s_delay_alu instid0(VALU_DEP_2)
	v_mad_i64_i32 v[83:84], null, v1, s82, 0
	s_branch .LBB24_179
.LBB24_178:                             ;   in Loop: Header=BB24_12 Depth=1
	s_mov_b32 s14, -1
                                        ; implicit-def: $sgpr3
                                        ; implicit-def: $vgpr32_vgpr33
                                        ; implicit-def: $vgpr83_vgpr84
                                        ; implicit-def: $vgpr86
                                        ; implicit-def: $vgpr87
.LBB24_179:                             ;   in Loop: Header=BB24_12 Depth=1
	s_delay_alu instid0(SALU_CYCLE_1)
	v_dual_mov_b32 v31, s14 :: v_dual_mov_b32 v146, s14
	v_dual_mov_b32 v147, s3 :: v_dual_mov_b32 v30, s14
	;; [unrolled: 1-line block ×17, first 2 shown]
	s_and_not1_b32 vcc_lo, exec_lo, s14
	s_cbranch_vccnz .LBB24_183
; %bb.180:                              ;   in Loop: Header=BB24_12 Depth=1
	s_clause 0x3
	scratch_store_b128 off, v[75:78], off offset:124
	scratch_store_b128 off, v[79:82], off offset:140
	scratch_store_b32 off, v152, off offset:252
	scratch_store_b32 off, v151, off offset:256
	s_clause 0x1
	scratch_load_b32 v18, off, off offset:368
	scratch_load_b32 v32, off, off offset:376
	v_dual_mov_b32 v0, 0 :: v_dual_add_nc_u32 v9, s74, v204
	v_add_nc_u32_e32 v11, s74, v220
	v_readlane_b32 s48, v255, 8
	v_xor_b32_e32 v86, 16, v193
	s_delay_alu instid0(VALU_DEP_4)
	v_mul_hi_u32 v1, s34, v9
	s_add_i32 s14, s99, -1
	v_mul_hi_u32 v2, s34, v11
	s_mov_b32 s46, s48
	s_add_u32 s3, vcc_hi, s64
	v_mov_b32_e32 v4, v0
	v_cmp_gt_i32_e32 vcc_lo, 32, v86
	s_delay_alu instid0(VALU_DEP_4) | instskip(SKIP_1) | instid1(VALU_DEP_4)
	v_dual_mov_b32 v8, v0 :: v_dual_add_nc_u32 v1, v9, v1
	s_addc_u32 s4, s60, s63
	v_add_nc_u32_e32 v2, v11, v2
	v_cndmask_b32_e32 v17, v193, v86, vcc_lo
	s_add_u32 s5, s102, s103
	v_lshrrev_b32_e32 v3, s35, v1
	v_mov_b32_e32 v1, v0
	v_lshrrev_b32_e32 v5, s35, v2
	v_mov_b32_e32 v2, v0
	s_addc_u32 s6, s101, s104
	v_mul_lo_u32 v10, v3, s8
	v_dual_mov_b32 v3, v0 :: v_dual_mov_b32 v34, v230
	v_mul_lo_u32 v12, v5, s8
	v_dual_mov_b32 v5, v0 :: v_dual_mov_b32 v146, 0
	v_dual_mov_b32 v6, v0 :: v_dual_mov_b32 v85, v193
	v_sub_nc_u32_e32 v96, v9, v10
	v_mov_b32_e32 v7, v0
	v_mov_b32_e32 v9, v0
	v_sub_nc_u32_e32 v97, v11, v12
	v_dual_mov_b32 v10, v0 :: v_dual_lshlrev_b32 v223, 2, v17
	v_mad_i64_i32 v[13:14], null, s46, v96, v[155:156]
	s_delay_alu instid0(VALU_DEP_3)
	v_mad_i64_i32 v[15:16], null, s46, v97, v[155:156]
	v_mad_i64_i32 v[83:84], null, v97, s82, 0
	v_mov_b32_e32 v11, v0
	v_dual_mov_b32 v12, v0 :: v_dual_mov_b32 v87, 32
	v_mov_b32_e32 v17, v0
	v_mov_b32_e32 v19, v0
	v_mov_b32_e32 v20, v0
	v_mov_b32_e32 v21, v0
	v_mov_b32_e32 v22, v0
	v_mov_b32_e32 v23, v0
	v_mov_b32_e32 v24, v0
	v_mov_b32_e32 v25, v0
	v_mov_b32_e32 v26, v0
	v_mov_b32_e32 v27, v0
	v_mov_b32_e32 v28, v0
	v_mov_b32_e32 v29, v0
	v_mov_b32_e32 v30, v0
	v_mov_b32_e32 v31, v0
	s_mov_b32 s15, s14
	v_readlane_b32 s49, v255, 9
	v_mov_b32_e32 v147, 0xfeffffff
	s_waitcnt vmcnt(1)
	v_add_co_u32 v155, vcc_lo, v18, v13
	scratch_load_b32 v13, off, off offset:372 ; 4-byte Folded Reload
	s_waitcnt vmcnt(0)
	v_add_co_ci_u32_e32 v156, vcc_lo, v13, v14, vcc_lo
	v_add_co_u32 v161, vcc_lo, v18, v15
	v_add_co_ci_u32_e32 v162, vcc_lo, v13, v16, vcc_lo
	v_add_co_u32 v225, vcc_lo, v32, s3
	scratch_load_b32 v32, off, off offset:380 ; 4-byte Folded Reload
	v_mov_b32_e32 v13, v0
	v_mov_b32_e32 v14, v0
	;; [unrolled: 1-line block ×5, first 2 shown]
	s_waitcnt vmcnt(0)
	v_add_co_ci_u32_e32 v226, vcc_lo, s4, v32, vcc_lo
	scratch_load_b32 v32, off, off offset:384 ; 4-byte Folded Reload
	s_waitcnt vmcnt(0)
	v_add_co_u32 v228, vcc_lo, v32, s3
	scratch_load_b32 v32, off, off offset:388 ; 4-byte Folded Reload
	s_waitcnt vmcnt(0)
	v_add_co_ci_u32_e32 v198, vcc_lo, s4, v32, vcc_lo
	v_mad_i64_i32 v[32:33], null, v96, s82, 0
	scratch_store_b64 off, v[32:33], off offset:260 ; 8-byte Folded Spill
	scratch_load_b32 v32, off, off offset:392 ; 4-byte Folded Reload
	v_mov_b32_e32 v33, v240
	s_waitcnt vmcnt(0)
	v_add_co_u32 v199, vcc_lo, v32, s3
	scratch_load_b32 v32, off, off offset:396 ; 4-byte Folded Reload
	s_waitcnt vmcnt(0)
	v_add_co_ci_u32_e32 v200, vcc_lo, s4, v32, vcc_lo
	scratch_load_b32 v32, off, off offset:400 ; 4-byte Folded Reload
	s_waitcnt vmcnt(0)
	v_add_co_u32 v201, vcc_lo, v32, s3
	scratch_load_b32 v32, off, off offset:404 ; 4-byte Folded Reload
	s_waitcnt vmcnt(0)
	v_add_co_ci_u32_e32 v202, vcc_lo, s4, v32, vcc_lo
	scratch_load_b32 v32, off, off offset:408 ; 4-byte Folded Reload
	;; [unrolled: 6-line block ×13, first 2 shown]
	s_waitcnt vmcnt(0)
	v_add_co_u32 v216, vcc_lo, v32, s5
	s_clause 0x2
	scratch_load_b32 v32, off, off offset:500
	scratch_load_b128 v[75:78], off, off offset:156
	scratch_load_b128 v[79:82], off, off offset:172
	s_waitcnt vmcnt(2)
	v_add_co_ci_u32_e32 v195, vcc_lo, s6, v32, vcc_lo
.LBB24_181:                             ;   Parent Loop BB24_12 Depth=1
                                        ; =>  This Inner Loop Header: Depth=2
	global_load_b32 v97, v[155:156], off
	global_load_b32 v98, v[161:162], off
	v_add_nc_u32_e32 v96, v242, v251
	v_dual_mov_b32 v170, s43 :: v_dual_mov_b32 v163, s36
	v_mov_b32_e32 v169, s42
	s_delay_alu instid0(VALU_DEP_3)
	v_dual_mov_b32 v167, s40 :: v_dual_add_nc_u32 v96, 0x4400, v96
	v_dual_mov_b32 v165, s38 :: v_dual_add_nc_u32 v112, v241, v229
	v_mov_b32_e32 v168, s41
	v_mov_b32_e32 v166, s39
	;; [unrolled: 1-line block ×3, first 2 shown]
	v_cmp_eq_u32_e64 s4, 1, v244
	v_cmp_eq_u32_e64 s5, 0, v244
	v_add_nc_u32_e32 v214, 0x800, v210
	v_mov_b32_e32 v32, v253
	s_add_i32 s15, s15, -1
	v_mov_b32_e32 v247, v229
	s_cmp_lg_u32 s15, 0
	v_dual_mov_b32 v50, v42 :: v_dual_mov_b32 v47, v39
	v_dual_mov_b32 v45, v37 :: v_dual_mov_b32 v44, v36
	v_mov_b32_e32 v43, v35
	v_dual_mov_b32 v49, v41 :: v_dual_mov_b32 v48, v40
	v_mov_b32_e32 v46, v38
	s_waitcnt vmcnt(0)
	ds_store_2addr_b32 v96, v97, v98 offset1:144
	v_add_co_u32 v96, vcc_lo, v154, v253
	v_add_co_ci_u32_e32 v97, vcc_lo, 0, v215, vcc_lo
	v_add_co_u32 v100, vcc_lo, v231, v253
	v_add_co_ci_u32_e32 v101, vcc_lo, 0, v194, vcc_lo
	global_load_b128 v[96:99], v[96:97], off
	global_load_b128 v[100:103], v[100:101], off
	s_waitcnt vmcnt(1)
	ds_store_b128 v236, v[96:99]
	s_waitcnt vmcnt(0)
	ds_store_b128 v150, v[100:103]
	v_add_co_u32 v96, vcc_lo, v206, v253
	v_add_co_ci_u32_e32 v97, vcc_lo, 0, v152, vcc_lo
	v_add_co_u32 v100, vcc_lo, v234, v253
	v_add_co_ci_u32_e32 v101, vcc_lo, 0, v238, vcc_lo
	global_load_b128 v[96:99], v[96:97], off
	global_load_b128 v[100:103], v[100:101], off
	s_waitcnt vmcnt(1)
	ds_store_b128 v187, v[96:99]
	s_waitcnt vmcnt(0)
	ds_store_b128 v188, v[100:103]
	v_add_co_u32 v96, vcc_lo, v148, v253
	v_add_co_ci_u32_e32 v97, vcc_lo, 0, v230, vcc_lo
	global_load_b128 v[96:99], v[96:97], off
	s_waitcnt vmcnt(0)
	ds_store_b128 v196, v[96:99]
	v_add_co_u32 v96, vcc_lo, v232, v253
	v_add_co_ci_u32_e32 v97, vcc_lo, 0, v233, vcc_lo
	global_load_b128 v[96:99], v[96:97], off
	;; [unrolled: 5-line block ×4, first 2 shown]
	s_waitcnt vmcnt(0)
	ds_store_b128 v208, v[96:99]
	s_waitcnt lgkmcnt(0)
	s_waitcnt_vscnt null, 0x0
	s_barrier
	buffer_gl0_inv
	ds_load_b128 v[96:99], v112
	ds_load_b128 v[100:103], v112 offset:16
	ds_load_b128 v[104:107], v112 offset:8704
	ds_load_b128 v[108:111], v112 offset:8720
	s_waitcnt lgkmcnt(2)
	v_wmma_f32_16x16x16_f16 v[171:178], v[96:103], v[59:66], v[163:170]
	ds_load_b128 v[96:99], v112 offset:32
	ds_load_b128 v[100:103], v112 offset:48
	s_waitcnt lgkmcnt(2)
	v_wmma_f32_16x16x16_f16 v[179:186], v[104:111], v[59:66], v[163:170]
	s_waitcnt lgkmcnt(0)
	v_wmma_f32_16x16x16_f16 v[171:178], v[96:103], v[35:42], v[171:178]
	ds_load_b128 v[96:99], v112 offset:8736
	ds_load_b128 v[100:103], v112 offset:8752
	s_waitcnt lgkmcnt(0)
	v_wmma_f32_16x16x16_f16 v[179:186], v[96:103], v[35:42], v[179:186]
	ds_load_b128 v[96:99], v112 offset:64
	ds_load_b128 v[100:103], v112 offset:80
	v_dual_mov_b32 v35, v121 :: v_dual_mov_b32 v36, v122
	v_dual_mov_b32 v37, v123 :: v_dual_mov_b32 v38, v124
	;; [unrolled: 1-line block ×4, first 2 shown]
	s_waitcnt lgkmcnt(0)
	v_wmma_f32_16x16x16_f16 v[171:178], v[96:103], v[75:82], v[171:178]
	ds_load_b128 v[96:99], v112 offset:8768
	ds_load_b128 v[100:103], v112 offset:8784
	s_waitcnt lgkmcnt(0)
	v_wmma_f32_16x16x16_f16 v[179:186], v[96:103], v[75:82], v[179:186]
	ds_load_b128 v[96:99], v112 offset:96
	ds_load_b128 v[100:103], v112 offset:112
	;; [unrolled: 4-line block ×6, first 2 shown]
	s_clause 0x1
	scratch_load_b128 v[51:54], off, off offset:124
	scratch_load_b128 v[55:58], off, off offset:140
	s_waitcnt vmcnt(0) lgkmcnt(0)
	v_wmma_f32_16x16x16_f16 v[171:178], v[96:103], v[51:58], v[171:178]
	ds_load_b128 v[96:99], v112 offset:8864
	ds_load_b128 v[100:103], v112 offset:8880
	s_waitcnt lgkmcnt(0)
	v_wmma_f32_16x16x16_f16 v[179:186], v[96:103], v[51:58], v[179:186]
	ds_load_b128 v[96:99], v112 offset:192
	ds_load_b128 v[100:103], v112 offset:208
	v_dual_mov_b32 v51, v129 :: v_dual_mov_b32 v54, v132
	v_dual_mov_b32 v52, v130 :: v_dual_mov_b32 v53, v131
	v_dual_mov_b32 v56, v134 :: v_dual_mov_b32 v55, v133
	v_dual_mov_b32 v58, v136 :: v_dual_mov_b32 v57, v135
	s_waitcnt lgkmcnt(0)
	v_wmma_f32_16x16x16_f16 v[171:178], v[96:103], v[67:74], v[171:178]
	ds_load_b128 v[96:99], v112 offset:8896
	ds_load_b128 v[100:103], v112 offset:8912
	s_waitcnt lgkmcnt(0)
	v_wmma_f32_16x16x16_f16 v[179:186], v[96:103], v[67:74], v[179:186]
	ds_load_b128 v[96:99], v112 offset:224
	ds_load_b128 v[100:103], v112 offset:240
	;; [unrolled: 4-line block ×3, first 2 shown]
	s_waitcnt lgkmcnt(0)
	s_barrier
	buffer_gl0_inv
	v_wmma_f32_16x16x16_f16 v[179:186], v[96:103], v[88:95], v[179:186]
	ds_load_u16 v96, v209 offset:17408
	ds_load_u16 v97, v209 offset:17412
	;; [unrolled: 1-line block ×8, first 2 shown]
	s_waitcnt lgkmcnt(7)
	v_cvt_f32_f16_e32 v96, v96
	s_waitcnt lgkmcnt(6)
	v_cvt_f32_f16_e32 v97, v97
	;; [unrolled: 2-line block ×6, first 2 shown]
	v_dual_add_f32 v108, v171, v96 :: v_dual_add_f32 v109, v172, v97
	v_dual_add_f32 v110, v173, v98 :: v_dual_add_f32 v111, v174, v99
	v_add_f32_e32 v112, v175, v100
	s_delay_alu instid0(VALU_DEP_4)
	v_add_f32_e32 v114, v176, v101
	ds_load_u16 v96, v243 offset:64
	ds_load_u16 v97, v243 offset:68
	;; [unrolled: 1-line block ×8, first 2 shown]
	s_waitcnt lgkmcnt(9)
	v_cvt_f32_f16_e32 v102, v102
	s_waitcnt lgkmcnt(8)
	v_cvt_f32_f16_e32 v103, v103
	s_delay_alu instid0(VALU_DEP_1)
	v_add_f32_e32 v103, v178, v103
	s_waitcnt lgkmcnt(7)
	v_cvt_f32_f16_e32 v96, v96
	s_waitcnt lgkmcnt(6)
	v_cvt_f32_f16_e32 v97, v97
	;; [unrolled: 2-line block ×6, first 2 shown]
	v_add_f32_e32 v193, v180, v97
	s_waitcnt lgkmcnt(0)
	v_cvt_f32_f16_e32 v105, v105
	v_add_f32_e32 v224, v179, v96
	v_add_co_u32 v96, vcc_lo, v225, v253
	v_add_co_ci_u32_e32 v97, vcc_lo, 0, v226, vcc_lo
	s_delay_alu instid0(VALU_DEP_4)
	v_add_f32_e32 v153, v186, v105
	v_add_f32_e32 v191, v183, v100
	v_add_co_u32 v100, vcc_lo, v228, v253
	v_cvt_f32_f16_e32 v104, v104
	v_dual_add_f32 v102, v177, v102 :: v_dual_add_f32 v197, v184, v101
	v_add_co_ci_u32_e32 v101, vcc_lo, 0, v198, vcc_lo
	v_add_f32_e32 v151, v181, v98
	s_delay_alu instid0(VALU_DEP_4)
	v_dual_add_f32 v245, v182, v99 :: v_dual_add_f32 v192, v185, v104
	global_load_b128 v[96:99], v[96:97], off
	global_load_b128 v[104:107], v[100:101], off
	s_waitcnt vmcnt(1)
	ds_store_b128 v236, v[96:99]
	s_waitcnt vmcnt(0)
	ds_store_b128 v150, v[104:107]
	v_add_co_u32 v96, vcc_lo, v199, v253
	v_add_co_ci_u32_e32 v97, vcc_lo, 0, v200, vcc_lo
	v_add_co_u32 v100, vcc_lo, v201, v253
	v_add_co_ci_u32_e32 v101, vcc_lo, 0, v202, vcc_lo
	global_load_b128 v[96:99], v[96:97], off
	global_load_b128 v[104:107], v[100:101], off
	s_waitcnt vmcnt(1)
	ds_store_b128 v187, v[96:99]
	s_waitcnt vmcnt(0)
	ds_store_b128 v188, v[104:107]
	v_add_co_u32 v96, vcc_lo, v203, v253
	v_add_co_ci_u32_e32 v97, vcc_lo, 0, v220, vcc_lo
	v_mov_b32_e32 v104, v147
	global_load_b128 v[96:99], v[96:97], off
	s_waitcnt vmcnt(0)
	ds_store_b128 v196, v[96:99]
	v_add_co_u32 v96, vcc_lo, v222, v253
	v_add_co_ci_u32_e32 v97, vcc_lo, 0, v217, vcc_lo
	global_load_b128 v[96:99], v[96:97], off
	s_waitcnt vmcnt(0)
	ds_store_b128 v205, v[96:99]
	v_add_co_u32 v96, vcc_lo, v218, v253
	v_add_co_ci_u32_e32 v97, vcc_lo, 0, v221, vcc_lo
	;; [unrolled: 5-line block ×3, first 2 shown]
	v_dual_mov_b32 v253, v251 :: v_dual_mov_b32 v246, v244
	global_load_b128 v[96:99], v[96:97], off
	s_waitcnt vmcnt(0)
	ds_store_b128 v208, v[96:99]
	v_dual_add_f32 v96, 0x40051340, v108 :: v_dual_add_f32 v97, 0x40051340, v109
	v_add_f32_e32 v98, 0x40051340, v111
	s_waitcnt lgkmcnt(0)
	s_barrier
	buffer_gl0_inv
	v_max3_f32 v96, v104, v96, v97
	v_add_f32_e32 v97, 0x40051340, v110
	ds_load_2addr_b32 v[163:164], v210 offset1:16
	ds_load_2addr_b32 v[165:166], v210 offset0:68 offset1:84
	ds_load_2addr_b32 v[167:168], v210 offset0:136 offset1:152
	;; [unrolled: 1-line block ×3, first 2 shown]
	v_max3_f32 v96, v96, v97, v98
	v_dual_add_f32 v97, 0x40051340, v112 :: v_dual_add_f32 v98, 0x40051340, v114
	s_delay_alu instid0(VALU_DEP_1) | instskip(SKIP_1) | instid1(VALU_DEP_1)
	v_max3_f32 v96, v96, v97, v98
	v_dual_add_f32 v97, 0x40051340, v102 :: v_dual_add_f32 v98, 0x40051340, v103
	v_max3_f32 v96, v96, v97, v98
	v_dual_add_f32 v97, 0x40051340, v224 :: v_dual_add_f32 v98, 0x40051340, v193
	s_waitcnt lgkmcnt(2)
	v_perm_b32 v115, v165, v163, 0x5040100
	s_waitcnt lgkmcnt(0)
	v_perm_b32 v116, v169, v167, 0x5040100
	v_max3_f32 v96, v96, v97, v98
	v_dual_add_f32 v97, 0x40051340, v151 :: v_dual_add_f32 v98, 0x40051340, v245
	s_delay_alu instid0(VALU_DEP_1) | instskip(SKIP_1) | instid1(VALU_DEP_1)
	v_max3_f32 v96, v96, v97, v98
	v_dual_add_f32 v97, 0x40051340, v191 :: v_dual_add_f32 v98, 0x40051340, v197
	v_max3_f32 v96, v96, v97, v98
	v_dual_add_f32 v97, 0x40051340, v192 :: v_dual_add_f32 v98, 0x40051340, v153
	s_delay_alu instid0(VALU_DEP_1) | instskip(SKIP_3) | instid1(VALU_DEP_1)
	v_max3_f32 v96, v96, v97, v98
	ds_bpermute_b32 v97, v223, v96
	s_waitcnt lgkmcnt(0)
	v_max_f32_e32 v97, v97, v97
	v_max_f32_e32 v147, v96, v97
	s_delay_alu instid0(VALU_DEP_1) | instskip(NEXT) | instid1(VALU_DEP_1)
	v_sub_f32_e32 v96, v109, v147
	v_mul_f32_e32 v97, 0x3fb8aa3b, v96
	s_delay_alu instid0(VALU_DEP_1) | instskip(SKIP_1) | instid1(VALU_DEP_1)
	v_fma_f32 v98, 0x3fb8aa3b, v96, -v97
	v_rndne_f32_e32 v99, v97
	v_dual_fmac_f32 v98, 0x32a5705f, v96 :: v_dual_sub_f32 v97, v97, v99
	v_cvt_i32_f32_e32 v99, v99
	s_delay_alu instid0(VALU_DEP_2) | instskip(NEXT) | instid1(VALU_DEP_1)
	v_dual_add_f32 v97, v97, v98 :: v_dual_sub_f32 v98, v108, v147
	v_mul_f32_e32 v100, 0x3fb8aa3b, v98
	v_cmp_ngt_f32_e64 s3, 0xc2ce8ed0, v98
	v_sub_f32_e32 v102, v102, v147
	v_sub_f32_e32 v103, v103, v147
	;; [unrolled: 1-line block ×3, first 2 shown]
	v_rndne_f32_e32 v105, v100
	v_fma_f32 v101, 0x3fb8aa3b, v98, -v100
	v_mov_b32_e32 v213, v212
	s_delay_alu instid0(VALU_DEP_3) | instskip(SKIP_1) | instid1(VALU_DEP_3)
	v_sub_f32_e32 v100, v100, v105
	v_exp_f32_e32 v97, v97
	v_fmac_f32_e32 v101, 0x32a5705f, v98
	v_cmp_ngt_f32_e32 vcc_lo, 0xc2ce8ed0, v96
	s_waitcnt_depctr 0xfff
	v_ldexp_f32 v97, v97, v99
	v_cvt_i32_f32_e32 v99, v105
	s_delay_alu instid0(VALU_DEP_2) | instskip(SKIP_1) | instid1(VALU_DEP_2)
	v_cndmask_b32_e32 v97, 0, v97, vcc_lo
	v_cmp_nlt_f32_e32 vcc_lo, 0x42b17218, v96
	v_dual_mov_b32 v249, v236 :: v_dual_cndmask_b32 v236, 0x7f800000, v97
	v_cmp_eq_u32_e32 vcc_lo, 1, v33
	v_add_f32_e32 v100, v100, v101
	s_delay_alu instid0(VALU_DEP_1) | instskip(SKIP_2) | instid1(VALU_DEP_1)
	v_exp_f32_e32 v100, v100
	s_waitcnt_depctr 0xfff
	v_ldexp_f32 v99, v100, v99
	v_cndmask_b32_e64 v96, 0, v99, s3
	v_cmp_nlt_f32_e64 s3, 0x42b17218, v98
	ds_bpermute_b32 v98, v223, v236
	v_cndmask_b32_e64 v229, 0x7f800000, v96, s3
	v_cmp_eq_u32_e64 s3, 0, v33
	ds_bpermute_b32 v96, v223, v229
	s_waitcnt lgkmcnt(0)
	v_cndmask_b32_e32 v97, v229, v96, vcc_lo
	v_cndmask_b32_e64 v96, v229, v96, s3
	s_delay_alu instid0(VALU_DEP_2) | instskip(NEXT) | instid1(VALU_DEP_2)
	v_cndmask_b32_e64 v100, v97, v236, s4
	v_cndmask_b32_e64 v99, v96, v236, s5
	v_cvt_f16_f32_e32 v96, v96
	v_cvt_f16_f32_e32 v97, v97
	s_delay_alu instid0(VALU_DEP_3) | instskip(SKIP_1) | instid1(VALU_DEP_3)
	v_cndmask_b32_e64 v99, v99, v98, s3
	v_cndmask_b32_e32 v98, v100, v98, vcc_lo
	v_pack_b32_f16 v96, v96, v97
	s_delay_alu instid0(VALU_DEP_3) | instskip(NEXT) | instid1(VALU_DEP_3)
	v_cvt_f16_f32_e32 v100, v99
	v_cvt_f16_f32_e32 v101, v98
	s_delay_alu instid0(VALU_DEP_1) | instskip(SKIP_1) | instid1(VALU_DEP_1)
	v_pack_b32_f16 v97, v100, v101
	v_sub_f32_e32 v100, v110, v147
	v_mul_f32_e32 v101, 0x3fb8aa3b, v100
	s_delay_alu instid0(VALU_DEP_1) | instskip(SKIP_1) | instid1(VALU_DEP_1)
	v_fma_f32 v105, 0x3fb8aa3b, v100, -v101
	v_rndne_f32_e32 v106, v101
	v_sub_f32_e32 v101, v101, v106
	s_delay_alu instid0(VALU_DEP_3) | instskip(SKIP_1) | instid1(VALU_DEP_2)
	v_fmac_f32_e32 v105, 0x32a5705f, v100
	v_cmp_ngt_f32_e64 s6, 0xc2ce8ed0, v100
	v_add_f32_e32 v101, v101, v105
	v_cvt_i32_f32_e32 v105, v106
	s_delay_alu instid0(VALU_DEP_2) | instskip(SKIP_2) | instid1(VALU_DEP_1)
	v_exp_f32_e32 v101, v101
	s_waitcnt_depctr 0xfff
	v_ldexp_f32 v101, v101, v105
	v_cndmask_b32_e64 v101, 0, v101, s6
	v_cmp_nlt_f32_e64 s6, 0x42b17218, v100
	s_delay_alu instid0(VALU_DEP_1) | instskip(SKIP_4) | instid1(VALU_DEP_2)
	v_cndmask_b32_e64 v113, 0x7f800000, v101, s6
	ds_bpermute_b32 v100, v223, v113
	v_cndmask_b32_e64 v99, v99, v113, s5
	v_cndmask_b32_e64 v98, v98, v113, s4
	s_waitcnt lgkmcnt(0)
	v_cndmask_b32_e64 v99, v99, v100, s3
	s_delay_alu instid0(VALU_DEP_2) | instskip(NEXT) | instid1(VALU_DEP_2)
	v_cndmask_b32_e32 v100, v98, v100, vcc_lo
	v_cvt_f16_f32_e32 v98, v99
	s_delay_alu instid0(VALU_DEP_2) | instskip(NEXT) | instid1(VALU_DEP_1)
	v_cvt_f16_f32_e32 v101, v100
	v_pack_b32_f16 v98, v98, v101
	v_sub_f32_e32 v101, v111, v147
	v_add_nc_u32_e32 v111, 0x1000, v210
	s_delay_alu instid0(VALU_DEP_2) | instskip(SKIP_1) | instid1(VALU_DEP_2)
	v_mul_f32_e32 v105, 0x3fb8aa3b, v101
	v_cmp_ngt_f32_e64 s6, 0xc2ce8ed0, v101
	v_fma_f32 v106, 0x3fb8aa3b, v101, -v105
	v_rndne_f32_e32 v107, v105
	s_delay_alu instid0(VALU_DEP_1) | instskip(NEXT) | instid1(VALU_DEP_1)
	v_dual_fmac_f32 v106, 0x32a5705f, v101 :: v_dual_sub_f32 v105, v105, v107
	v_add_f32_e32 v105, v105, v106
	v_cvt_i32_f32_e32 v106, v107
	s_delay_alu instid0(VALU_DEP_2) | instskip(SKIP_2) | instid1(VALU_DEP_1)
	v_exp_f32_e32 v105, v105
	s_waitcnt_depctr 0xfff
	v_ldexp_f32 v105, v105, v106
	v_cndmask_b32_e64 v105, 0, v105, s6
	v_cmp_nlt_f32_e64 s6, 0x42b17218, v101
	s_delay_alu instid0(VALU_DEP_1) | instskip(SKIP_4) | instid1(VALU_DEP_2)
	v_cndmask_b32_e64 v157, 0x7f800000, v105, s6
	ds_bpermute_b32 v101, v223, v157
	v_cndmask_b32_e64 v99, v99, v157, s5
	v_cndmask_b32_e64 v100, v100, v157, s4
	s_waitcnt lgkmcnt(0)
	v_cndmask_b32_e64 v105, v99, v101, s3
	s_delay_alu instid0(VALU_DEP_2) | instskip(NEXT) | instid1(VALU_DEP_2)
	v_cndmask_b32_e32 v100, v100, v101, vcc_lo
	v_cvt_f16_f32_e32 v99, v105
	s_delay_alu instid0(VALU_DEP_2) | instskip(NEXT) | instid1(VALU_DEP_1)
	v_cvt_f16_f32_e32 v101, v100
	v_pack_b32_f16 v99, v99, v101
	v_sub_f32_e32 v101, v112, v147
	s_delay_alu instid0(VALU_DEP_1) | instskip(SKIP_1) | instid1(VALU_DEP_2)
	v_mul_f32_e32 v106, 0x3fb8aa3b, v101
	v_cmp_ngt_f32_e64 s6, 0xc2ce8ed0, v101
	v_fma_f32 v107, 0x3fb8aa3b, v101, -v106
	v_rndne_f32_e32 v108, v106
	s_delay_alu instid0(VALU_DEP_1) | instskip(NEXT) | instid1(VALU_DEP_1)
	v_dual_fmac_f32 v107, 0x32a5705f, v101 :: v_dual_sub_f32 v106, v106, v108
	v_add_f32_e32 v106, v106, v107
	v_cvt_i32_f32_e32 v107, v108
	s_delay_alu instid0(VALU_DEP_2) | instskip(SKIP_2) | instid1(VALU_DEP_1)
	v_exp_f32_e32 v106, v106
	s_waitcnt_depctr 0xfff
	v_ldexp_f32 v106, v106, v107
	v_cndmask_b32_e64 v106, 0, v106, s6
	v_cmp_nlt_f32_e64 s6, 0x42b17218, v101
	s_delay_alu instid0(VALU_DEP_1) | instskip(NEXT) | instid1(VALU_DEP_1)
	v_cndmask_b32_e64 v158, 0x7f800000, v106, s6
	v_cndmask_b32_e64 v101, v105, v158, s5
	ds_bpermute_b32 v105, v223, v158
	v_cndmask_b32_e64 v100, v100, v158, s4
	s_waitcnt lgkmcnt(0)
	v_cndmask_b32_e64 v101, v101, v105, s3
	s_delay_alu instid0(VALU_DEP_2) | instskip(NEXT) | instid1(VALU_DEP_2)
	v_cndmask_b32_e32 v105, v100, v105, vcc_lo
	v_cvt_f16_f32_e32 v100, v101
	s_delay_alu instid0(VALU_DEP_2) | instskip(NEXT) | instid1(VALU_DEP_1)
	v_cvt_f16_f32_e32 v106, v105
	v_pack_b32_f16 v100, v100, v106
	v_sub_f32_e32 v106, v114, v147
	v_add_nc_u32_e32 v114, 0xc00, v210
	s_delay_alu instid0(VALU_DEP_2) | instskip(SKIP_1) | instid1(VALU_DEP_2)
	v_mul_f32_e32 v107, 0x3fb8aa3b, v106
	v_cmp_ngt_f32_e64 s6, 0xc2ce8ed0, v106
	v_fma_f32 v108, 0x3fb8aa3b, v106, -v107
	v_rndne_f32_e32 v109, v107
	s_delay_alu instid0(VALU_DEP_1) | instskip(NEXT) | instid1(VALU_DEP_1)
	v_dual_fmac_f32 v108, 0x32a5705f, v106 :: v_dual_sub_f32 v107, v107, v109
	v_add_f32_e32 v107, v107, v108
	v_cvt_i32_f32_e32 v108, v109
	s_delay_alu instid0(VALU_DEP_2) | instskip(SKIP_2) | instid1(VALU_DEP_1)
	v_exp_f32_e32 v107, v107
	s_waitcnt_depctr 0xfff
	v_ldexp_f32 v107, v107, v108
	v_cndmask_b32_e64 v107, 0, v107, s6
	v_cmp_nlt_f32_e64 s6, 0x42b17218, v106
	s_delay_alu instid0(VALU_DEP_1)
	v_cndmask_b32_e64 v159, 0x7f800000, v107, s6
	v_cmp_ngt_f32_e64 s6, 0xc2ce8ed0, v102
	ds_bpermute_b32 v106, v223, v159
	v_cndmask_b32_e64 v101, v101, v159, s5
	v_cndmask_b32_e64 v105, v105, v159, s4
	s_waitcnt lgkmcnt(0)
	s_delay_alu instid0(VALU_DEP_2) | instskip(NEXT) | instid1(VALU_DEP_2)
	v_cndmask_b32_e64 v107, v101, v106, s3
	v_cndmask_b32_e32 v105, v105, v106, vcc_lo
	s_delay_alu instid0(VALU_DEP_2) | instskip(NEXT) | instid1(VALU_DEP_2)
	v_cvt_f16_f32_e32 v101, v107
	v_cvt_f16_f32_e32 v106, v105
	s_delay_alu instid0(VALU_DEP_1) | instskip(SKIP_1) | instid1(VALU_DEP_1)
	v_pack_b32_f16 v101, v101, v106
	v_mul_f32_e32 v106, 0x3fb8aa3b, v102
	v_fma_f32 v108, 0x3fb8aa3b, v102, -v106
	v_rndne_f32_e32 v109, v106
	s_delay_alu instid0(VALU_DEP_2) | instskip(NEXT) | instid1(VALU_DEP_2)
	v_fmac_f32_e32 v108, 0x32a5705f, v102
	v_sub_f32_e32 v106, v106, v109
	s_delay_alu instid0(VALU_DEP_1) | instskip(SKIP_1) | instid1(VALU_DEP_2)
	v_add_f32_e32 v106, v106, v108
	v_cvt_i32_f32_e32 v108, v109
	v_exp_f32_e32 v106, v106
	s_waitcnt_depctr 0xfff
	v_ldexp_f32 v106, v106, v108
	s_delay_alu instid0(VALU_DEP_1) | instskip(SKIP_1) | instid1(VALU_DEP_1)
	v_cndmask_b32_e64 v106, 0, v106, s6
	v_cmp_nlt_f32_e64 s6, 0x42b17218, v102
	v_cndmask_b32_e64 v160, 0x7f800000, v106, s6
	ds_bpermute_b32 v106, v223, v160
	v_cndmask_b32_e64 v102, v107, v160, s5
	v_cndmask_b32_e64 v105, v105, v160, s4
	s_waitcnt lgkmcnt(0)
	s_delay_alu instid0(VALU_DEP_2) | instskip(NEXT) | instid1(VALU_DEP_2)
	v_cndmask_b32_e64 v107, v102, v106, s3
	v_cndmask_b32_e32 v105, v105, v106, vcc_lo
	s_delay_alu instid0(VALU_DEP_2) | instskip(NEXT) | instid1(VALU_DEP_2)
	v_cvt_f16_f32_e32 v102, v107
	v_cvt_f16_f32_e32 v106, v105
	s_delay_alu instid0(VALU_DEP_1) | instskip(SKIP_1) | instid1(VALU_DEP_1)
	v_pack_b32_f16 v102, v102, v106
	v_mul_f32_e32 v106, 0x3fb8aa3b, v103
	v_fma_f32 v108, 0x3fb8aa3b, v103, -v106
	v_rndne_f32_e32 v109, v106
	s_delay_alu instid0(VALU_DEP_1) | instskip(NEXT) | instid1(VALU_DEP_3)
	v_sub_f32_e32 v106, v106, v109
	v_fmac_f32_e32 v108, 0x32a5705f, v103
	v_cmp_ngt_f32_e64 s6, 0xc2ce8ed0, v103
	s_delay_alu instid0(VALU_DEP_2) | instskip(SKIP_1) | instid1(VALU_DEP_2)
	v_add_f32_e32 v106, v106, v108
	v_cvt_i32_f32_e32 v108, v109
	v_exp_f32_e32 v106, v106
	s_waitcnt_depctr 0xfff
	v_ldexp_f32 v106, v106, v108
	s_delay_alu instid0(VALU_DEP_1) | instskip(SKIP_1) | instid1(VALU_DEP_1)
	v_cndmask_b32_e64 v106, 0, v106, s6
	v_cmp_nlt_f32_e64 s6, 0x42b17218, v103
	v_cndmask_b32_e64 v112, 0x7f800000, v106, s6
	v_cmp_ngt_f32_e64 s6, 0xc2ce8ed0, v104
	ds_bpermute_b32 v106, v223, v112
	v_cndmask_b32_e64 v103, v107, v112, s5
	v_cndmask_b32_e64 v105, v105, v112, s4
	s_waitcnt lgkmcnt(0)
	s_delay_alu instid0(VALU_DEP_2) | instskip(NEXT) | instid1(VALU_DEP_2)
	v_cndmask_b32_e64 v103, v103, v106, s3
	v_cndmask_b32_e32 v105, v105, v106, vcc_lo
	s_delay_alu instid0(VALU_DEP_2) | instskip(NEXT) | instid1(VALU_DEP_2)
	v_cvt_f16_f32_e32 v103, v103
	v_cvt_f16_f32_e32 v105, v105
	s_delay_alu instid0(VALU_DEP_1) | instskip(SKIP_1) | instid1(VALU_DEP_1)
	v_pack_b32_f16 v103, v103, v105
	v_mul_f32_e32 v105, 0x3fb8aa3b, v104
	v_fma_f32 v106, 0x3fb8aa3b, v104, -v105
	v_rndne_f32_e32 v107, v105
	s_delay_alu instid0(VALU_DEP_1) | instskip(NEXT) | instid1(VALU_DEP_1)
	v_dual_fmac_f32 v106, 0x32a5705f, v104 :: v_dual_sub_f32 v105, v105, v107
	v_add_f32_e32 v105, v105, v106
	v_cvt_i32_f32_e32 v106, v107
	v_add_nc_u32_e32 v107, 0x400, v210
	s_delay_alu instid0(VALU_DEP_3)
	v_exp_f32_e32 v105, v105
	ds_load_2addr_b32 v[187:188], v107 offset0:16 offset1:84
	ds_load_2addr_b32 v[171:172], v107 offset0:132 offset1:152
	;; [unrolled: 1-line block ×10, first 2 shown]
	ds_load_b32 v207, v149 offset:2176
	v_ldexp_f32 v105, v105, v106
	s_delay_alu instid0(VALU_DEP_1) | instskip(SKIP_1) | instid1(VALU_DEP_1)
	v_cndmask_b32_e64 v105, 0, v105, s6
	v_cmp_nlt_f32_e64 s6, 0x42b17218, v104
	v_cndmask_b32_e64 v105, 0x7f800000, v105, s6
	v_cmp_le_f32_e64 s6, 0xc1a00000, v104
	s_waitcnt lgkmcnt(10)
	v_perm_b32 v117, v188, v187, 0x5040100
	s_waitcnt lgkmcnt(8)
	v_perm_b32 v118, v174, v172, 0x5040100
	;; [unrolled: 2-line block ×4, first 2 shown]
	v_cndmask_b32_e64 v196, 0, v105, s6
	s_waitcnt lgkmcnt(3)
	v_perm_b32 v121, v190, v189, 0x5040100
	s_waitcnt lgkmcnt(1)
	v_perm_b32 v122, v180, v178, 0x5040100
	v_perm_b32 v104, v166, v164, 0x5040100
	;; [unrolled: 1-line block ×3, first 2 shown]
	v_cvt_f16_f32_e64 v219, v196
	s_waitcnt lgkmcnt(0)
	v_perm_b32 v108, v182, v207, 0x5040100
	v_perm_b32 v109, v186, v184, 0x5040100
	s_delay_alu instid0(VALU_DEP_3)
	v_pk_mul_f16 v24, v219, v24 op_sel_hi:[0,1]
	v_pk_mul_f16 v25, v219, v25 op_sel_hi:[0,1]
	;; [unrolled: 1-line block ×12, first 2 shown]
	v_wmma_f16_16x16x16_f16 v[24:31], v[115:122], v[96:103], v[24:31]
	ds_load_b32 v251, v149 offset:3264
	ds_load_b32 v248, v149 offset:1088
	;; [unrolled: 1-line block ×3, first 2 shown]
	ds_load_2addr_b32 v[115:116], v107 offset0:100 offset1:116
	ds_load_2addr_b32 v[117:118], v107 offset0:168 offset1:184
	ds_load_2addr_b32 v[119:120], v107 offset0:236 offset1:252
	ds_load_2addr_b32 v[121:122], v114 offset0:132 offset1:148
	ds_load_2addr_b32 v[123:124], v111 offset0:12 offset1:28
	ds_load_2addr_b32 v[125:126], v114 offset0:200 offset1:216
	ds_load_2addr_b32 v[127:128], v210 offset0:32 offset1:48
	ds_load_2addr_b32 v[129:130], v210 offset0:100 offset1:116
	ds_load_2addr_b32 v[131:132], v210 offset0:168 offset1:184
	ds_load_2addr_b32 v[133:134], v210 offset0:236 offset1:252
	ds_load_b32 v141, v237 offset:1088
	ds_load_b32 v143, v237 offset:2176
	;; [unrolled: 1-line block ×5, first 2 shown]
	ds_load_2addr_b32 v[135:136], v214 offset0:132 offset1:148
	ds_load_2addr_b32 v[137:138], v214 offset0:200 offset1:216
	;; [unrolled: 1-line block ×3, first 2 shown]
	v_pk_mul_f16 v20, v219, v20 op_sel_hi:[0,1]
	v_pk_mul_f16 v21, v219, v21 op_sel_hi:[0,1]
	;; [unrolled: 1-line block ×20, first 2 shown]
	ds_load_b32 v114, v239 offset:1088
	ds_load_b32 v214, v239 offset:2176
	;; [unrolled: 1-line block ×5, first 2 shown]
	v_mov_b32_e32 v212, v252
	ds_load_b32 v252, v210 offset:4272
	ds_load_b32 v150, v34 offset:2176
	s_waitcnt lgkmcnt(24)
	v_perm_b32 v106, v115, v248, 0x5040100
	s_waitcnt lgkmcnt(22)
	v_perm_b32 v107, v119, v117, 0x5040100
	;; [unrolled: 2-line block ×4, first 2 shown]
	ds_load_b32 v244, v210 offset:12784
	v_wmma_f16_16x16x16_f16 v[16:23], v[104:111], v[96:103], v[16:23]
	s_waitcnt lgkmcnt(18)
	v_perm_b32 v104, v129, v127, 0x5040100
	s_waitcnt lgkmcnt(16)
	v_perm_b32 v105, v133, v131, 0x5040100
	;; [unrolled: 2-line block ×3, first 2 shown]
	v_perm_b32 v107, v120, v118, 0x5040100
	s_waitcnt lgkmcnt(10)
	v_perm_b32 v108, v135, v143, 0x5040100
	s_waitcnt lgkmcnt(8)
	v_perm_b32 v109, v139, v137, 0x5040100
	v_perm_b32 v110, v122, v144, 0x5040100
	;; [unrolled: 1-line block ×3, first 2 shown]
	s_delay_alu instid0(VALU_DEP_1)
	v_wmma_f16_16x16x16_f16 v[8:15], v[104:111], v[96:103], v[8:15]
	v_perm_b32 v104, v130, v128, 0x5040100
	v_perm_b32 v105, v134, v132, 0x5040100
	s_waitcnt lgkmcnt(7)
	v_perm_b32 v106, v171, v114, 0x5040100
	v_perm_b32 v107, v175, v173, 0x5040100
	s_waitcnt lgkmcnt(6)
	;; [unrolled: 3-line block ×3, first 2 shown]
	v_perm_b32 v110, v177, v219, 0x5040100
	s_waitcnt lgkmcnt(2)
	v_perm_b32 v111, v252, v179, 0x5040100
	s_delay_alu instid0(VALU_DEP_1)
	v_wmma_f16_16x16x16_f16 v[0:7], v[104:111], v[96:103], v[0:7]
	v_perm_b32 v106, v188, v187, 0x7060302
	v_perm_b32 v110, v190, v189, 0x7060302
	;; [unrolled: 1-line block ×8, first 2 shown]
	s_delay_alu instid0(VALU_DEP_1)
	v_wmma_f16_16x16x16_f16 v[24:31], v[104:111], v[96:103], v[24:31] op_sel:[0,0,1]
	v_perm_b32 v104, v166, v164, 0x7060302
	v_perm_b32 v105, v170, v168, 0x7060302
	;; [unrolled: 1-line block ×8, first 2 shown]
	v_mov_b32_e32 v251, v253
	s_delay_alu instid0(VALU_DEP_2)
	v_wmma_f16_16x16x16_f16 v[16:23], v[104:111], v[96:103], v[16:23] op_sel:[0,0,1]
	v_perm_b32 v107, v120, v118, 0x7060302
	v_perm_b32 v111, v124, v126, 0x7060302
	v_perm_b32 v106, v116, v141, 0x7060302
	v_perm_b32 v110, v122, v144, 0x7060302
	v_perm_b32 v108, v135, v143, 0x7060302
	v_perm_b32 v104, v129, v127, 0x7060302
	v_perm_b32 v105, v133, v131, 0x7060302
	v_perm_b32 v109, v139, v137, 0x7060302
	s_delay_alu instid0(VALU_DEP_1)
	v_wmma_f16_16x16x16_f16 v[8:15], v[104:111], v[96:103], v[8:15] op_sel:[0,0,1]
	v_perm_b32 v104, v130, v128, 0x7060302
	v_perm_b32 v105, v134, v132, 0x7060302
	;; [unrolled: 1-line block ×8, first 2 shown]
	s_delay_alu instid0(VALU_DEP_1) | instskip(SKIP_4) | instid1(VALU_DEP_4)
	v_wmma_f16_16x16x16_f16 v[0:7], v[104:111], v[96:103], v[0:7] op_sel:[0,0,1]
	v_sub_f32_e32 v96, v193, v147
	v_mov_b32_e32 v252, v212
	v_dual_mov_b32 v253, v32 :: v_dual_mov_b32 v212, v213
	v_add_nc_u32_e32 v109, 0x2c00, v210
	v_mul_f32_e32 v97, 0x3fb8aa3b, v96
	v_cmp_ngt_f32_e64 s6, 0xc2ce8ed0, v96
	s_delay_alu instid0(VALU_DEP_2) | instskip(SKIP_1) | instid1(VALU_DEP_1)
	v_fma_f32 v98, 0x3fb8aa3b, v96, -v97
	v_rndne_f32_e32 v99, v97
	v_dual_fmac_f32 v98, 0x32a5705f, v96 :: v_dual_sub_f32 v97, v97, v99
	v_cvt_i32_f32_e32 v99, v99
	s_delay_alu instid0(VALU_DEP_2) | instskip(NEXT) | instid1(VALU_DEP_1)
	v_dual_add_f32 v97, v97, v98 :: v_dual_sub_f32 v98, v224, v147
	v_exp_f32_e32 v97, v97
	s_delay_alu instid0(VALU_DEP_1) | instskip(SKIP_1) | instid1(VALU_DEP_2)
	v_mul_f32_e32 v100, 0x3fb8aa3b, v98
	v_cmp_ngt_f32_e64 s7, 0xc2ce8ed0, v98
	v_fma_f32 v101, 0x3fb8aa3b, v98, -v100
	v_rndne_f32_e32 v102, v100
	s_waitcnt_depctr 0xfff
	v_ldexp_f32 v97, v97, v99
	v_fmac_f32_e32 v101, 0x32a5705f, v98
	v_sub_f32_e32 v100, v100, v102
	v_cvt_i32_f32_e32 v99, v102
	s_delay_alu instid0(VALU_DEP_4) | instskip(SKIP_1) | instid1(VALU_DEP_4)
	v_cndmask_b32_e64 v97, 0, v97, s6
	v_cmp_nlt_f32_e64 s6, 0x42b17218, v96
	v_add_f32_e32 v100, v100, v101
	s_delay_alu instid0(VALU_DEP_2) | instskip(NEXT) | instid1(VALU_DEP_2)
	v_cndmask_b32_e64 v144, 0x7f800000, v97, s6
	v_exp_f32_e32 v100, v100
	s_waitcnt_depctr 0xfff
	v_ldexp_f32 v99, v100, v99
	s_delay_alu instid0(VALU_DEP_1)
	v_cndmask_b32_e64 v96, 0, v99, s7
	v_cmp_nlt_f32_e64 s7, 0x42b17218, v98
	ds_bpermute_b32 v98, v223, v144
	v_cndmask_b32_e64 v143, 0x7f800000, v96, s7
	ds_bpermute_b32 v96, v223, v143
	s_waitcnt lgkmcnt(0)
	v_cndmask_b32_e64 v97, v143, v96, s3
	v_cndmask_b32_e32 v96, v143, v96, vcc_lo
	s_delay_alu instid0(VALU_DEP_2) | instskip(NEXT) | instid1(VALU_DEP_2)
	v_cndmask_b32_e64 v99, v97, v144, s5
	v_cndmask_b32_e64 v100, v96, v144, s4
	v_cvt_f16_f32_e32 v97, v97
	v_cvt_f16_f32_e32 v96, v96
	s_delay_alu instid0(VALU_DEP_4) | instskip(NEXT) | instid1(VALU_DEP_4)
	v_cndmask_b32_e64 v99, v99, v98, s3
	v_cndmask_b32_e32 v98, v100, v98, vcc_lo
	s_delay_alu instid0(VALU_DEP_3) | instskip(NEXT) | instid1(VALU_DEP_3)
	v_pack_b32_f16 v96, v97, v96
	v_cvt_f16_f32_e32 v100, v99
	s_delay_alu instid0(VALU_DEP_3) | instskip(NEXT) | instid1(VALU_DEP_1)
	v_cvt_f16_f32_e32 v101, v98
	v_pack_b32_f16 v97, v100, v101
	v_sub_f32_e32 v100, v151, v147
	s_delay_alu instid0(VALU_DEP_1) | instskip(SKIP_1) | instid1(VALU_DEP_2)
	v_mul_f32_e32 v101, 0x3fb8aa3b, v100
	v_cmp_ngt_f32_e64 s6, 0xc2ce8ed0, v100
	v_fma_f32 v102, 0x3fb8aa3b, v100, -v101
	v_rndne_f32_e32 v103, v101
	s_delay_alu instid0(VALU_DEP_1) | instskip(NEXT) | instid1(VALU_DEP_1)
	v_dual_fmac_f32 v102, 0x32a5705f, v100 :: v_dual_sub_f32 v101, v101, v103
	v_add_f32_e32 v101, v101, v102
	v_cvt_i32_f32_e32 v102, v103
	s_delay_alu instid0(VALU_DEP_2) | instskip(SKIP_2) | instid1(VALU_DEP_1)
	v_exp_f32_e32 v101, v101
	s_waitcnt_depctr 0xfff
	v_ldexp_f32 v101, v101, v102
	v_cndmask_b32_e64 v101, 0, v101, s6
	v_cmp_nlt_f32_e64 s6, 0x42b17218, v100
	s_delay_alu instid0(VALU_DEP_1) | instskip(SKIP_4) | instid1(VALU_DEP_2)
	v_cndmask_b32_e64 v151, 0x7f800000, v101, s6
	ds_bpermute_b32 v100, v223, v151
	v_cndmask_b32_e64 v99, v99, v151, s5
	v_cndmask_b32_e64 v98, v98, v151, s4
	s_waitcnt lgkmcnt(0)
	v_cndmask_b32_e64 v99, v99, v100, s3
	s_delay_alu instid0(VALU_DEP_2) | instskip(NEXT) | instid1(VALU_DEP_2)
	v_cndmask_b32_e32 v100, v98, v100, vcc_lo
	v_cvt_f16_f32_e32 v98, v99
	s_delay_alu instid0(VALU_DEP_2) | instskip(NEXT) | instid1(VALU_DEP_1)
	v_cvt_f16_f32_e32 v101, v100
	v_pack_b32_f16 v98, v98, v101
	v_sub_f32_e32 v101, v245, v147
	s_delay_alu instid0(VALU_DEP_1) | instskip(SKIP_1) | instid1(VALU_DEP_2)
	v_mul_f32_e32 v102, 0x3fb8aa3b, v101
	v_cmp_ngt_f32_e64 s6, 0xc2ce8ed0, v101
	v_fma_f32 v103, 0x3fb8aa3b, v101, -v102
	v_rndne_f32_e32 v104, v102
	s_delay_alu instid0(VALU_DEP_1) | instskip(NEXT) | instid1(VALU_DEP_1)
	v_dual_fmac_f32 v103, 0x32a5705f, v101 :: v_dual_sub_f32 v102, v102, v104
	v_add_f32_e32 v102, v102, v103
	v_cvt_i32_f32_e32 v103, v104
	s_delay_alu instid0(VALU_DEP_2) | instskip(SKIP_2) | instid1(VALU_DEP_1)
	v_exp_f32_e32 v102, v102
	s_waitcnt_depctr 0xfff
	v_ldexp_f32 v102, v102, v103
	v_cndmask_b32_e64 v102, 0, v102, s6
	v_cmp_nlt_f32_e64 s6, 0x42b17218, v101
	s_delay_alu instid0(VALU_DEP_1) | instskip(SKIP_4) | instid1(VALU_DEP_2)
	v_cndmask_b32_e64 v183, 0x7f800000, v102, s6
	ds_bpermute_b32 v101, v223, v183
	v_cndmask_b32_e64 v99, v99, v183, s5
	v_cndmask_b32_e64 v100, v100, v183, s4
	s_waitcnt lgkmcnt(0)
	v_cndmask_b32_e64 v102, v99, v101, s3
	s_delay_alu instid0(VALU_DEP_2) | instskip(NEXT) | instid1(VALU_DEP_2)
	v_cndmask_b32_e32 v100, v100, v101, vcc_lo
	v_cvt_f16_f32_e32 v99, v102
	s_delay_alu instid0(VALU_DEP_2) | instskip(NEXT) | instid1(VALU_DEP_1)
	v_cvt_f16_f32_e32 v101, v100
	v_pack_b32_f16 v99, v99, v101
	v_sub_f32_e32 v101, v191, v147
	s_delay_alu instid0(VALU_DEP_1) | instskip(SKIP_1) | instid1(VALU_DEP_2)
	v_mul_f32_e32 v103, 0x3fb8aa3b, v101
	v_cmp_ngt_f32_e64 s6, 0xc2ce8ed0, v101
	v_fma_f32 v104, 0x3fb8aa3b, v101, -v103
	v_rndne_f32_e32 v105, v103
	s_delay_alu instid0(VALU_DEP_2) | instskip(NEXT) | instid1(VALU_DEP_2)
	v_fmac_f32_e32 v104, 0x32a5705f, v101
	v_sub_f32_e32 v103, v103, v105
	s_delay_alu instid0(VALU_DEP_1) | instskip(SKIP_1) | instid1(VALU_DEP_2)
	v_add_f32_e32 v103, v103, v104
	v_cvt_i32_f32_e32 v104, v105
	v_exp_f32_e32 v103, v103
	s_waitcnt_depctr 0xfff
	v_ldexp_f32 v103, v103, v104
	s_delay_alu instid0(VALU_DEP_1) | instskip(SKIP_1) | instid1(VALU_DEP_1)
	v_cndmask_b32_e64 v103, 0, v103, s6
	v_cmp_nlt_f32_e64 s6, 0x42b17218, v101
	v_cndmask_b32_e64 v184, 0x7f800000, v103, s6
	s_delay_alu instid0(VALU_DEP_1) | instskip(SKIP_4) | instid1(VALU_DEP_2)
	v_cndmask_b32_e64 v101, v102, v184, s5
	ds_bpermute_b32 v102, v223, v184
	v_cndmask_b32_e64 v100, v100, v184, s4
	s_waitcnt lgkmcnt(0)
	v_cndmask_b32_e64 v101, v101, v102, s3
	v_cndmask_b32_e32 v102, v100, v102, vcc_lo
	s_delay_alu instid0(VALU_DEP_2) | instskip(NEXT) | instid1(VALU_DEP_2)
	v_cvt_f16_f32_e32 v100, v101
	v_cvt_f16_f32_e32 v103, v102
	s_delay_alu instid0(VALU_DEP_1) | instskip(SKIP_1) | instid1(VALU_DEP_1)
	v_pack_b32_f16 v100, v100, v103
	v_sub_f32_e32 v103, v197, v147
	v_mul_f32_e32 v104, 0x3fb8aa3b, v103
	v_cmp_ngt_f32_e64 s6, 0xc2ce8ed0, v103
	s_delay_alu instid0(VALU_DEP_2) | instskip(SKIP_1) | instid1(VALU_DEP_1)
	v_fma_f32 v105, 0x3fb8aa3b, v103, -v104
	v_rndne_f32_e32 v106, v104
	v_dual_fmac_f32 v105, 0x32a5705f, v103 :: v_dual_sub_f32 v104, v104, v106
	s_delay_alu instid0(VALU_DEP_1) | instskip(SKIP_1) | instid1(VALU_DEP_2)
	v_add_f32_e32 v104, v104, v105
	v_cvt_i32_f32_e32 v105, v106
	v_exp_f32_e32 v104, v104
	s_waitcnt_depctr 0xfff
	v_ldexp_f32 v104, v104, v105
	s_delay_alu instid0(VALU_DEP_1) | instskip(SKIP_1) | instid1(VALU_DEP_1)
	v_cndmask_b32_e64 v104, 0, v104, s6
	v_cmp_nlt_f32_e64 s6, 0x42b17218, v103
	v_cndmask_b32_e64 v185, 0x7f800000, v104, s6
	ds_bpermute_b32 v103, v223, v185
	v_cndmask_b32_e64 v101, v101, v185, s5
	v_cndmask_b32_e64 v102, v102, v185, s4
	s_waitcnt lgkmcnt(0)
	s_delay_alu instid0(VALU_DEP_2) | instskip(NEXT) | instid1(VALU_DEP_2)
	v_cndmask_b32_e64 v104, v101, v103, s3
	v_cndmask_b32_e32 v102, v102, v103, vcc_lo
	s_delay_alu instid0(VALU_DEP_2) | instskip(NEXT) | instid1(VALU_DEP_2)
	v_cvt_f16_f32_e32 v101, v104
	v_cvt_f16_f32_e32 v103, v102
	s_delay_alu instid0(VALU_DEP_1) | instskip(SKIP_1) | instid1(VALU_DEP_1)
	v_pack_b32_f16 v101, v101, v103
	v_sub_f32_e32 v103, v192, v147
	v_mul_f32_e32 v105, 0x3fb8aa3b, v103
	v_cmp_ngt_f32_e64 s6, 0xc2ce8ed0, v103
	s_delay_alu instid0(VALU_DEP_2) | instskip(SKIP_1) | instid1(VALU_DEP_2)
	v_fma_f32 v106, 0x3fb8aa3b, v103, -v105
	v_rndne_f32_e32 v107, v105
	v_fmac_f32_e32 v106, 0x32a5705f, v103
	s_delay_alu instid0(VALU_DEP_2) | instskip(NEXT) | instid1(VALU_DEP_1)
	v_sub_f32_e32 v105, v105, v107
	v_add_f32_e32 v105, v105, v106
	v_cvt_i32_f32_e32 v106, v107
	s_delay_alu instid0(VALU_DEP_2) | instskip(SKIP_2) | instid1(VALU_DEP_1)
	v_exp_f32_e32 v105, v105
	s_waitcnt_depctr 0xfff
	v_ldexp_f32 v105, v105, v106
	v_cndmask_b32_e64 v105, 0, v105, s6
	v_cmp_nlt_f32_e64 s6, 0x42b17218, v103
	s_delay_alu instid0(VALU_DEP_1) | instskip(NEXT) | instid1(VALU_DEP_1)
	v_cndmask_b32_e64 v186, 0x7f800000, v105, s6
	v_cndmask_b32_e64 v103, v104, v186, s5
	ds_bpermute_b32 v104, v223, v186
	v_cndmask_b32_e64 v102, v102, v186, s4
	s_waitcnt lgkmcnt(0)
	v_cndmask_b32_e64 v103, v103, v104, s3
	s_delay_alu instid0(VALU_DEP_2) | instskip(NEXT) | instid1(VALU_DEP_2)
	v_cndmask_b32_e32 v104, v102, v104, vcc_lo
	v_cvt_f16_f32_e32 v102, v103
	s_delay_alu instid0(VALU_DEP_2) | instskip(NEXT) | instid1(VALU_DEP_1)
	v_cvt_f16_f32_e32 v105, v104
	v_pack_b32_f16 v102, v102, v105
	v_sub_f32_e32 v105, v153, v147
	s_delay_alu instid0(VALU_DEP_1) | instskip(SKIP_1) | instid1(VALU_DEP_2)
	v_mul_f32_e32 v106, 0x3fb8aa3b, v105
	v_cmp_ngt_f32_e64 s6, 0xc2ce8ed0, v105
	v_fma_f32 v107, 0x3fb8aa3b, v105, -v106
	v_rndne_f32_e32 v108, v106
	s_delay_alu instid0(VALU_DEP_1) | instskip(NEXT) | instid1(VALU_DEP_1)
	v_dual_fmac_f32 v107, 0x32a5705f, v105 :: v_dual_sub_f32 v106, v106, v108
	v_add_f32_e32 v106, v106, v107
	v_cvt_i32_f32_e32 v107, v108
	s_delay_alu instid0(VALU_DEP_2) | instskip(SKIP_2) | instid1(VALU_DEP_1)
	v_exp_f32_e32 v106, v106
	s_waitcnt_depctr 0xfff
	v_ldexp_f32 v106, v106, v107
	v_cndmask_b32_e64 v106, 0, v106, s6
	v_cmp_nlt_f32_e64 s6, 0x42b17218, v105
	s_delay_alu instid0(VALU_DEP_1) | instskip(SKIP_4) | instid1(VALU_DEP_2)
	v_cndmask_b32_e64 v153, 0x7f800000, v106, s6
	ds_bpermute_b32 v105, v223, v153
	v_cndmask_b32_e64 v103, v103, v153, s5
	v_cndmask_b32_e64 v104, v104, v153, s4
	s_waitcnt lgkmcnt(0)
	v_cndmask_b32_e64 v103, v103, v105, s3
	s_delay_alu instid0(VALU_DEP_2) | instskip(SKIP_1) | instid1(VALU_DEP_3)
	v_dual_cndmask_b32 v104, v104, v105 :: v_dual_add_nc_u32 v105, 0x2800, v210
	v_add_co_u32 v155, vcc_lo, 0x80, v155
	v_cvt_f16_f32_e32 v103, v103
	s_delay_alu instid0(VALU_DEP_3) | instskip(SKIP_2) | instid1(VALU_DEP_3)
	v_cvt_f16_f32_e32 v104, v104
	v_add_co_ci_u32_e32 v156, vcc_lo, 0, v156, vcc_lo
	v_add_co_u32 v161, vcc_lo, 0x80, v161
	v_pack_b32_f16 v103, v103, v104
	v_add_nc_u32_e32 v104, 0x2600, v210
	ds_load_b32 v187, v34 offset:1088
	ds_load_2addr_b32 v[114:115], v104 offset0:84 offset1:152
	ds_load_2addr_b32 v[116:117], v105 offset0:92 offset1:228
	v_add_nc_u32_e32 v104, 0x2e00, v210
	v_add_nc_u32_e32 v105, 0x2400, v210
	ds_load_2addr_b32 v[124:125], v109 offset0:40 offset1:108
	v_add_co_ci_u32_e32 v162, vcc_lo, 0, v162, vcc_lo
	ds_load_2addr_b32 v[118:119], v104 offset0:116 offset1:184
	v_add_nc_u32_e32 v104, 0x2000, v210
	ds_load_2addr_b32 v[122:123], v105 offset0:8 offset1:76
	v_add_co_u32 v225, vcc_lo, v225, s68
	v_add_co_ci_u32_e32 v226, vcc_lo, s69, v226, vcc_lo
	ds_load_2addr_b32 v[120:121], v104 offset0:128 offset1:196
	v_add_co_u32 v228, vcc_lo, v228, s68
	v_add_co_ci_u32_e32 v198, vcc_lo, s69, v198, vcc_lo
	v_add_co_u32 v199, vcc_lo, v199, s68
	s_waitcnt lgkmcnt(5)
	v_perm_b32 v106, v114, v187, 0x5040100
	s_waitcnt lgkmcnt(4)
	v_perm_b32 v107, v116, v115, 0x5040100
	v_perm_b32 v108, v117, v150, 0x5040100
	s_waitcnt lgkmcnt(3)
	v_perm_b32 v109, v125, v124, 0x5040100
	v_add_co_ci_u32_e32 v200, vcc_lo, s69, v200, vcc_lo
	s_waitcnt lgkmcnt(2)
	v_perm_b32 v110, v118, v142, 0x5040100
	v_perm_b32 v111, v244, v119, 0x5040100
	s_waitcnt lgkmcnt(1)
	v_perm_b32 v105, v123, v122, 0x5040100
	v_add_co_u32 v201, vcc_lo, v201, s68
	v_add_co_ci_u32_e32 v202, vcc_lo, s69, v202, vcc_lo
	s_waitcnt lgkmcnt(0)
	v_perm_b32 v104, v121, v120, 0x5040100
	v_add_co_u32 v203, vcc_lo, v203, s68
	v_add_co_ci_u32_e32 v220, vcc_lo, s69, v220, vcc_lo
	s_delay_alu instid0(VALU_DEP_3)
	v_wmma_f16_16x16x16_f16 v[24:31], v[104:111], v[96:103], v[24:31]
	v_add_nc_u32_e32 v104, 0x2600, v149
	v_add_nc_u32_e32 v105, 0x2800, v149
	ds_load_2addr_b32 v[126:127], v104 offset0:84 offset1:152
	ds_load_b32 v188, v252 offset:1088
	ds_load_2addr_b32 v[128:129], v105 offset0:92 offset1:228
	ds_load_b32 v189, v252 offset:2176
	ds_load_b32 v190, v149 offset:12784
	v_add_nc_u32_e32 v104, 0x2e00, v149
	v_add_nc_u32_e32 v105, 0x2400, v149
	;; [unrolled: 1-line block ×3, first 2 shown]
	v_add_co_u32 v222, vcc_lo, v222, s68
	ds_load_2addr_b32 v[130:131], v104 offset0:116 offset1:184
	v_add_nc_u32_e32 v104, 0x2000, v149
	ds_load_2addr_b32 v[134:135], v105 offset0:8 offset1:76
	ds_load_2addr_b32 v[136:137], v109 offset0:40 offset1:108
	v_add_co_ci_u32_e32 v217, vcc_lo, s69, v217, vcc_lo
	ds_load_2addr_b32 v[132:133], v104 offset0:128 offset1:196
	v_add_co_u32 v218, vcc_lo, v218, s68
	v_add_co_ci_u32_e32 v221, vcc_lo, s69, v221, vcc_lo
	s_waitcnt lgkmcnt(7)
	v_perm_b32 v106, v126, v188, 0x5040100
	s_waitcnt lgkmcnt(6)
	v_perm_b32 v107, v128, v127, 0x5040100
	;; [unrolled: 2-line block ×3, first 2 shown]
	v_add_co_u32 v240, vcc_lo, v240, s68
	v_add_co_ci_u32_e32 v227, vcc_lo, s69, v227, vcc_lo
	v_add_co_u32 v154, vcc_lo, v154, s70
	s_waitcnt lgkmcnt(3)
	v_perm_b32 v110, v130, v205, 0x5040100
	v_perm_b32 v111, v190, v131, 0x5040100
	s_waitcnt lgkmcnt(2)
	v_perm_b32 v105, v135, v134, 0x5040100
	s_waitcnt lgkmcnt(1)
	v_perm_b32 v109, v137, v136, 0x5040100
	v_add_co_ci_u32_e32 v215, vcc_lo, s71, v215, vcc_lo
	s_waitcnt lgkmcnt(0)
	v_perm_b32 v104, v133, v132, 0x5040100
	v_add_co_u32 v231, vcc_lo, v231, s70
	v_add_co_ci_u32_e32 v194, vcc_lo, s71, v194, vcc_lo
	s_delay_alu instid0(VALU_DEP_3)
	v_wmma_f16_16x16x16_f16 v[16:23], v[104:111], v[96:103], v[16:23]
	v_add_nc_u32_e32 v104, 0x2600, v237
	v_add_nc_u32_e32 v105, 0x2800, v237
	ds_load_2addr_b32 v[138:139], v104 offset0:84 offset1:152
	ds_load_b32 v191, v213 offset:1088
	ds_load_2addr_b32 v[140:141], v105 offset0:92 offset1:228
	ds_load_b32 v192, v213 offset:2176
	v_add_nc_u32_e32 v104, 0x2e00, v237
	v_add_nc_u32_e32 v105, 0x2400, v237
	;; [unrolled: 1-line block ×3, first 2 shown]
	v_add_co_u32 v206, vcc_lo, v206, s70
	ds_load_2addr_b32 v[163:164], v104 offset0:116 offset1:184
	v_add_nc_u32_e32 v104, 0x2000, v237
	ds_load_2addr_b32 v[167:168], v105 offset0:8 offset1:76
	ds_load_2addr_b32 v[169:170], v109 offset0:40 offset1:108
	v_add_co_ci_u32_e32 v152, vcc_lo, s71, v152, vcc_lo
	ds_load_2addr_b32 v[165:166], v104 offset0:128 offset1:196
	v_add_co_u32 v234, vcc_lo, v234, s70
	v_add_co_ci_u32_e32 v238, vcc_lo, s71, v238, vcc_lo
	v_add_co_u32 v148, vcc_lo, v148, s70
	s_waitcnt lgkmcnt(6)
	v_perm_b32 v106, v138, v191, 0x5040100
	s_waitcnt lgkmcnt(5)
	v_perm_b32 v107, v140, v139, 0x5040100
	;; [unrolled: 2-line block ×3, first 2 shown]
	v_add_co_ci_u32_e32 v230, vcc_lo, s71, v230, vcc_lo
	v_add_co_u32 v232, vcc_lo, v232, s70
	s_waitcnt lgkmcnt(3)
	v_perm_b32 v110, v163, v250, 0x5040100
	v_perm_b32 v111, v145, v164, 0x5040100
	s_waitcnt lgkmcnt(2)
	v_perm_b32 v105, v168, v167, 0x5040100
	s_waitcnt lgkmcnt(1)
	v_perm_b32 v109, v170, v169, 0x5040100
	v_add_co_ci_u32_e32 v233, vcc_lo, s71, v233, vcc_lo
	s_waitcnt lgkmcnt(0)
	v_perm_b32 v104, v166, v165, 0x5040100
	v_add_co_u32 v235, vcc_lo, v235, s70
	v_add_co_ci_u32_e32 v204, vcc_lo, s71, v204, vcc_lo
	s_delay_alu instid0(VALU_DEP_3)
	v_wmma_f16_16x16x16_f16 v[8:15], v[104:111], v[96:103], v[8:15]
	v_add_nc_u32_e32 v104, 0x2000, v239
	v_add_nc_u32_e32 v107, 0x2800, v239
	;; [unrolled: 1-line block ×6, first 2 shown]
	ds_load_2addr_b32 v[171:172], v104 offset0:128 offset1:196
	ds_load_2addr_b32 v[173:174], v105 offset0:8 offset1:76
	ds_load_b32 v193, v211 offset:1088
	ds_load_2addr_b32 v[175:176], v106 offset0:84 offset1:152
	ds_load_2addr_b32 v[177:178], v107 offset0:92 offset1:228
	ds_load_b32 v197, v211 offset:2176
	ds_load_b32 v207, v211 offset:3264
	ds_load_2addr_b32 v[179:180], v109 offset0:40 offset1:108
	ds_load_2addr_b32 v[181:182], v110 offset0:116 offset1:184
	v_add_co_u32 v216, vcc_lo, v216, s70
	v_add_co_ci_u32_e32 v195, vcc_lo, s71, v195, vcc_lo
	s_waitcnt lgkmcnt(8)
	v_perm_b32 v104, v172, v171, 0x5040100
	s_waitcnt lgkmcnt(7)
	v_perm_b32 v105, v174, v173, 0x5040100
	s_waitcnt lgkmcnt(5)
	v_perm_b32 v106, v175, v193, 0x5040100
	s_waitcnt lgkmcnt(4)
	v_perm_b32 v107, v177, v176, 0x5040100
	s_waitcnt lgkmcnt(3)
	v_perm_b32 v108, v178, v197, 0x5040100
	s_waitcnt lgkmcnt(1)
	v_perm_b32 v109, v180, v179, 0x5040100
	s_waitcnt lgkmcnt(0)
	v_perm_b32 v110, v181, v207, 0x5040100
	v_perm_b32 v111, v208, v182, 0x5040100
	s_delay_alu instid0(VALU_DEP_1)
	v_wmma_f16_16x16x16_f16 v[0:7], v[104:111], v[96:103], v[0:7]
	v_perm_b32 v106, v114, v187, 0x7060302
	v_perm_b32 v107, v116, v115, 0x7060302
	;; [unrolled: 1-line block ×8, first 2 shown]
	scratch_load_b32 v187, off, off offset:4 ; 4-byte Folded Reload
	v_mov_b32_e32 v244, v246
	v_wmma_f16_16x16x16_f16 v[24:31], v[104:111], v[96:103], v[24:31] op_sel:[0,0,1]
	v_perm_b32 v106, v126, v188, 0x7060302
	scratch_load_b32 v188, off, off offset:8 ; 4-byte Folded Reload
	v_perm_b32 v107, v128, v127, 0x7060302
	v_perm_b32 v108, v129, v189, 0x7060302
	;; [unrolled: 1-line block ×7, first 2 shown]
	scratch_load_b32 v205, off, off offset:16 ; 4-byte Folded Reload
	v_dual_mov_b32 v128, v42 :: v_dual_mov_b32 v127, v41
	v_mov_b32_e32 v126, v40
	v_wmma_f16_16x16x16_f16 v[16:23], v[104:111], v[96:103], v[16:23] op_sel:[0,0,1]
	v_perm_b32 v106, v138, v191, 0x7060302
	v_perm_b32 v107, v140, v139, 0x7060302
	;; [unrolled: 1-line block ×8, first 2 shown]
	v_dual_mov_b32 v125, v39 :: v_dual_mov_b32 v124, v38
	v_dual_mov_b32 v123, v37 :: v_dual_mov_b32 v122, v36
	s_delay_alu instid0(VALU_DEP_3)
	v_wmma_f16_16x16x16_f16 v[8:15], v[104:111], v[96:103], v[8:15] op_sel:[0,0,1]
	v_perm_b32 v106, v175, v193, 0x7060302
	v_perm_b32 v107, v177, v176, 0x7060302
	v_perm_b32 v108, v178, v197, 0x7060302
	v_perm_b32 v110, v181, v207, 0x7060302
	scratch_load_b32 v207, off, off offset:20 ; 4-byte Folded Reload
	v_perm_b32 v111, v208, v182, 0x7060302
	scratch_load_b32 v208, off, off offset:24 ; 4-byte Folded Reload
	v_perm_b32 v104, v172, v171, 0x7060302
	v_perm_b32 v105, v174, v173, 0x7060302
	;; [unrolled: 1-line block ×3, first 2 shown]
	v_mov_b32_e32 v121, v35
	v_dual_mov_b32 v35, v43 :: v_dual_mov_b32 v136, v58
	v_mov_b32_e32 v36, v44
	s_delay_alu instid0(VALU_DEP_4) | instskip(SKIP_2) | instid1(VALU_DEP_2)
	v_wmma_f16_16x16x16_f16 v[0:7], v[104:111], v[96:103], v[0:7] op_sel:[0,0,1]
	v_dual_add_f32 v96, v229, v236 :: v_dual_mov_b32 v97, v146
	v_dual_mov_b32 v37, v45 :: v_dual_mov_b32 v38, v46
	v_dual_mov_b32 v39, v47 :: v_dual_add_f32 v96, v113, v96
	v_dual_mov_b32 v40, v48 :: v_dual_mov_b32 v41, v49
	v_dual_mov_b32 v42, v50 :: v_dual_mov_b32 v135, v57
	s_delay_alu instid0(VALU_DEP_3) | instskip(SKIP_2) | instid1(VALU_DEP_3)
	v_add_f32_e32 v96, v157, v96
	v_dual_mov_b32 v134, v56 :: v_dual_mov_b32 v133, v55
	v_dual_mov_b32 v132, v54 :: v_dual_mov_b32 v131, v53
	v_add_f32_e32 v96, v158, v96
	v_dual_mov_b32 v130, v52 :: v_dual_mov_b32 v129, v51
	v_dual_mov_b32 v236, v249 :: v_dual_mov_b32 v229, v247
	s_delay_alu instid0(VALU_DEP_3) | instskip(NEXT) | instid1(VALU_DEP_1)
	v_add_f32_e32 v96, v159, v96
	v_add_f32_e32 v96, v160, v96
	s_delay_alu instid0(VALU_DEP_1) | instskip(NEXT) | instid1(VALU_DEP_1)
	v_add_f32_e32 v96, v112, v96
	v_add_f32_e32 v96, v143, v96
	s_delay_alu instid0(VALU_DEP_1) | instskip(NEXT) | instid1(VALU_DEP_1)
	;; [unrolled: 3-line block ×5, first 2 shown]
	v_add_f32_e32 v146, v153, v96
	v_fmac_f32_e32 v146, v97, v196
	s_clause 0x1
	scratch_load_b32 v196, off, off offset:12
	scratch_load_b32 v150, off, off
	s_waitcnt vmcnt(0)
	s_barrier
	buffer_gl0_inv
	s_cbranch_scc1 .LBB24_181
; %bb.182:                              ;   in Loop: Header=BB24_12 Depth=1
	s_clause 0x1f
	scratch_load_b32 v222, off, off offset:276
	scratch_load_b32 v204, off, off offset:196
	;; [unrolled: 1-line block ×13, first 2 shown]
	scratch_load_b64 v[234:235], off, off offset:332
	scratch_load_b64 v[245:246], off, off offset:340
	;; [unrolled: 1-line block ×16, first 2 shown]
	scratch_load_b32 v206, off, off offset:364
	scratch_load_b32 v148, off, off offset:212
	;; [unrolled: 1-line block ×3, first 2 shown]
	s_clause 0x6
	scratch_load_b32 v182, off, off offset:220
	scratch_load_b32 v183, off, off offset:224
	;; [unrolled: 1-line block ×7, first 2 shown]
	v_mov_b32_e32 v240, v33
	s_clause 0x4
	scratch_load_b32 v151, off, off offset:256
	scratch_load_b32 v152, off, off offset:252
	scratch_load_b128 v[75:78], off, off offset:124
	scratch_load_b128 v[79:82], off, off offset:140
	scratch_load_b64 v[32:33], off, off offset:260
	v_dual_mov_b32 v238, 0 :: v_dual_mov_b32 v193, v85
	v_mov_b32_e32 v230, v34
.LBB24_183:                             ;   in Loop: Header=BB24_12 Depth=1
	s_lshl_b32 s64, s14, 6
	s_waitcnt vmcnt(14)
	v_lshlrev_b32_e32 v97, 1, v206
	s_lshl_b64 s[4:5], s[64:65], 1
	v_dual_mov_b32 v119, s43 :: v_dual_add_nc_u32 v120, v241, v229
	s_waitcnt vmcnt(3)
	v_add_co_u32 v96, vcc_lo, v152, s4
	v_add_co_ci_u32_e32 v98, vcc_lo, s5, v151, vcc_lo
	v_mov_b32_e32 v118, s42
	s_delay_alu instid0(VALU_DEP_3)
	v_add_co_u32 v100, vcc_lo, v96, v97
	s_waitcnt vmcnt(0)
	v_lshlrev_b64 v[96:97], 1, v[32:33]
	v_add_co_ci_u32_e32 v101, vcc_lo, 0, v98, vcc_lo
	v_lshlrev_b64 v[98:99], 1, v[83:84]
	s_mul_i32 s3, s13, s64
	s_mul_hi_u32 s5, s12, s64
	s_delay_alu instid0(VALU_DEP_3) | instskip(SKIP_1) | instid1(VALU_DEP_3)
	v_add_co_u32 v96, vcc_lo, v100, v96
	v_add_co_ci_u32_e32 v97, vcc_lo, v101, v97, vcc_lo
	v_add_co_u32 v98, vcc_lo, v100, v98
	v_add_co_ci_u32_e32 v99, vcc_lo, v101, v99, vcc_lo
	s_clause 0x1
	global_load_b32 v96, v[96:97], off
	global_load_b32 v97, v[98:99], off
	v_dual_mov_b32 v117, s41 :: v_dual_add_nc_u32 v98, v242, v251
	s_mul_i32 s4, s12, s64
	s_add_i32 s5, s5, s3
	s_delay_alu instid0(VALU_DEP_1)
	v_dual_mov_b32 v115, s39 :: v_dual_add_nc_u32 v98, 0x4400, v98
	s_lshl_b64 s[4:5], s[4:5], 2
	v_dual_mov_b32 v116, s40 :: v_dual_mov_b32 v113, s37
	s_add_u32 s3, s97, s4
	s_addc_u32 s4, s98, s5
	v_mov_b32_e32 v114, s38
	v_mov_b32_e32 v112, s36
	s_mul_hi_u32 s5, s10, s64
	s_waitcnt vmcnt(0)
	ds_store_2addr_b32 v98, v96, v97 offset1:144
	v_add_co_u32 v96, vcc_lo, s3, v165
	v_add_co_ci_u32_e32 v97, vcc_lo, s4, v166, vcc_lo
	s_delay_alu instid0(VALU_DEP_2) | instskip(NEXT) | instid1(VALU_DEP_2)
	v_add_co_u32 v96, vcc_lo, v96, v254
	v_add_co_ci_u32_e32 v97, vcc_lo, 0, v97, vcc_lo
	v_add_co_u32 v98, vcc_lo, s3, v167
	v_add_co_ci_u32_e32 v99, vcc_lo, s4, v168, vcc_lo
	s_delay_alu instid0(VALU_DEP_2) | instskip(NEXT) | instid1(VALU_DEP_2)
	v_add_co_u32 v100, vcc_lo, v98, v254
	v_add_co_ci_u32_e32 v101, vcc_lo, 0, v99, vcc_lo
	s_clause 0x1
	global_load_b128 v[96:99], v[96:97], off
	global_load_b128 v[100:103], v[100:101], off
	s_waitcnt vmcnt(1)
	ds_store_b128 v236, v[96:99]
	s_waitcnt vmcnt(0)
	ds_store_b128 v150, v[100:103]
	v_add_co_u32 v96, vcc_lo, s3, v169
	v_add_co_ci_u32_e32 v97, vcc_lo, s4, v170, vcc_lo
	s_delay_alu instid0(VALU_DEP_2) | instskip(NEXT) | instid1(VALU_DEP_2)
	v_add_co_u32 v96, vcc_lo, v96, v254
	v_add_co_ci_u32_e32 v97, vcc_lo, 0, v97, vcc_lo
	v_add_co_u32 v98, vcc_lo, s3, v171
	v_add_co_ci_u32_e32 v99, vcc_lo, s4, v172, vcc_lo
	s_delay_alu instid0(VALU_DEP_2) | instskip(NEXT) | instid1(VALU_DEP_2)
	v_add_co_u32 v100, vcc_lo, v98, v254
	v_add_co_ci_u32_e32 v101, vcc_lo, 0, v99, vcc_lo
	s_clause 0x1
	global_load_b128 v[96:99], v[96:97], off
	global_load_b128 v[100:103], v[100:101], off
	s_waitcnt vmcnt(1)
	ds_store_b128 v187, v[96:99]
	s_waitcnt vmcnt(0)
	ds_store_b128 v188, v[100:103]
	;; [unrolled: 17-line block ×3, first 2 shown]
	v_add_co_u32 v96, vcc_lo, s3, v177
	v_add_co_ci_u32_e32 v97, vcc_lo, s4, v178, vcc_lo
	s_delay_alu instid0(VALU_DEP_2) | instskip(NEXT) | instid1(VALU_DEP_2)
	v_add_co_u32 v96, vcc_lo, v96, v254
	v_add_co_ci_u32_e32 v97, vcc_lo, 0, v97, vcc_lo
	v_add_co_u32 v98, vcc_lo, s3, v179
	v_add_co_ci_u32_e32 v99, vcc_lo, s4, v180, vcc_lo
	s_mul_i32 s3, s11, s64
	s_delay_alu instid0(VALU_DEP_2) | instskip(NEXT) | instid1(VALU_DEP_2)
	v_add_co_u32 v100, vcc_lo, v98, v254
	v_add_co_ci_u32_e32 v101, vcc_lo, 0, v99, vcc_lo
	s_clause 0x1
	global_load_b128 v[96:99], v[96:97], off
	global_load_b128 v[100:103], v[100:101], off
	v_cmp_lt_i32_e32 vcc_lo, v86, v87
	s_mul_i32 s4, s10, s64
	s_add_i32 s5, s5, s3
	v_add_nc_u32_e32 v87, 0x800, v210
	s_lshl_b64 s[4:5], s[4:5], 2
	s_waitcnt vmcnt(1)
	ds_store_b128 v207, v[96:99]
	s_waitcnt vmcnt(0)
	ds_store_b128 v208, v[100:103]
	s_waitcnt lgkmcnt(0)
	s_waitcnt_vscnt null, 0x0
	s_barrier
	buffer_gl0_inv
	ds_load_b128 v[96:99], v120
	ds_load_b128 v[100:103], v120 offset:16
	ds_load_b128 v[104:107], v120 offset:8704
	;; [unrolled: 1-line block ×3, first 2 shown]
	s_add_u32 s3, s95, s4
	s_addc_u32 s4, s96, s5
	v_cmp_eq_u32_e64 s5, 1, v244
	s_cmp_lg_u64 s[72:73], 0
	s_waitcnt lgkmcnt(2)
	v_wmma_f32_16x16x16_f16 v[151:158], v[96:103], v[59:66], v[112:119]
	s_waitcnt lgkmcnt(0)
	v_wmma_f32_16x16x16_f16 v[96:103], v[104:111], v[59:66], v[112:119]
	ds_load_b128 v[56:59], v120 offset:32
	ds_load_b128 v[60:63], v120 offset:48
	s_waitcnt lgkmcnt(0)
	v_wmma_f32_16x16x16_f16 v[151:158], v[56:63], v[35:42], v[151:158]
	ds_load_b128 v[56:59], v120 offset:8736
	ds_load_b128 v[60:63], v120 offset:8752
	;; [unrolled: 4-line block ×3, first 2 shown]
	s_clause 0x1
	scratch_load_b128 v[32:35], off, off offset:156
	scratch_load_b128 v[36:39], off, off offset:172
	s_waitcnt vmcnt(0) lgkmcnt(0)
	v_wmma_f32_16x16x16_f16 v[151:158], v[40:47], v[32:39], v[151:158]
	ds_load_b128 v[40:43], v120 offset:8768
	ds_load_b128 v[44:47], v120 offset:8784
	s_waitcnt lgkmcnt(0)
	v_wmma_f32_16x16x16_f16 v[96:103], v[40:47], v[32:39], v[96:103]
	ds_load_b128 v[40:43], v120 offset:96
	ds_load_b128 v[44:47], v120 offset:112
	s_waitcnt lgkmcnt(0)
	v_wmma_f32_16x16x16_f16 v[151:158], v[40:47], v[121:128], v[151:158]
	ds_load_b128 v[40:43], v120 offset:8800
	ds_load_b128 v[44:47], v120 offset:8816
	;; [unrolled: 1-line block ×4, first 2 shown]
	s_waitcnt lgkmcnt(2)
	v_wmma_f32_16x16x16_f16 v[96:103], v[40:47], v[121:128], v[96:103]
	s_waitcnt lgkmcnt(0)
	v_wmma_f32_16x16x16_f16 v[151:158], v[32:39], v[129:136], v[151:158]
	ds_load_b128 v[32:35], v120 offset:8832
	ds_load_b128 v[36:39], v120 offset:8848
	s_waitcnt lgkmcnt(0)
	v_wmma_f32_16x16x16_f16 v[96:103], v[32:39], v[129:136], v[96:103]
	ds_load_b128 v[32:35], v120 offset:160
	ds_load_b128 v[36:39], v120 offset:176
	;; [unrolled: 4-line block ×7, first 2 shown]
	s_waitcnt lgkmcnt(0)
	s_barrier
	buffer_gl0_inv
	v_wmma_f32_16x16x16_f16 v[96:103], v[32:39], v[88:95], v[96:103]
	ds_load_u16 v32, v209 offset:17408
	ds_load_u16 v33, v209 offset:17412
	;; [unrolled: 1-line block ×16, first 2 shown]
	v_add_nc_u32_e32 v89, 0x400, v210
	v_add_nc_u32_e32 v88, 0xc00, v210
	s_waitcnt lgkmcnt(15)
	v_cvt_f32_f16_e32 v32, v32
	s_waitcnt lgkmcnt(14)
	v_cvt_f32_f16_e32 v33, v33
	s_waitcnt lgkmcnt(13)
	v_cvt_f32_f16_e32 v34, v34
	s_waitcnt lgkmcnt(12)
	v_cvt_f32_f16_e32 v35, v35
	s_waitcnt lgkmcnt(11)
	v_cvt_f32_f16_e32 v36, v36
	s_waitcnt lgkmcnt(10)
	v_cvt_f32_f16_e32 v37, v37
	s_waitcnt lgkmcnt(9)
	v_cvt_f32_f16_e32 v38, v38
	v_dual_add_f32 v32, v151, v32 :: v_dual_add_f32 v33, v152, v33
	s_waitcnt lgkmcnt(7)
	v_cvt_f32_f16_e32 v40, v40
	v_add_f32_e32 v37, v156, v37
	s_waitcnt lgkmcnt(6)
	v_cvt_f32_f16_e32 v41, v41
	s_waitcnt lgkmcnt(3)
	v_cvt_f32_f16_e32 v44, v44
	;; [unrolled: 2-line block ×3, first 2 shown]
	v_cvt_f32_f16_e32 v39, v39
	v_dual_add_f32 v34, v153, v34 :: v_dual_add_f32 v35, v154, v35
	v_dual_add_f32 v36, v155, v36 :: v_dual_add_f32 v77, v97, v41
	v_dual_add_f32 v38, v157, v38 :: v_dual_add_f32 v73, v100, v44
	v_cvt_f32_f16_e32 v42, v42
	v_cvt_f32_f16_e32 v45, v45
	v_add_f32_e32 v76, v96, v40
	v_dual_add_f32 v70, v103, v47 :: v_dual_add_f32 v41, 0x40051340, v33
	v_dual_add_f32 v40, 0x40051340, v32 :: v_dual_add_f32 v39, v158, v39
	s_delay_alu instid0(VALU_DEP_4) | instskip(SKIP_1) | instid1(VALU_DEP_3)
	v_dual_add_f32 v75, v98, v42 :: v_dual_add_f32 v72, v101, v45
	v_add_f32_e32 v42, 0x40051340, v35
	v_max3_f32 v40, v147, v40, v41
	v_add_f32_e32 v41, 0x40051340, v34
	v_cvt_f32_f16_e32 v43, v43
	v_cvt_f32_f16_e32 v46, v46
	s_delay_alu instid0(VALU_DEP_3) | instskip(SKIP_1) | instid1(VALU_DEP_3)
	v_max3_f32 v40, v40, v41, v42
	v_dual_add_f32 v41, 0x40051340, v36 :: v_dual_add_f32 v42, 0x40051340, v37
	v_dual_add_f32 v74, v99, v43 :: v_dual_add_f32 v71, v102, v46
	s_delay_alu instid0(VALU_DEP_2) | instskip(SKIP_1) | instid1(VALU_DEP_1)
	v_max3_f32 v40, v40, v41, v42
	v_dual_add_f32 v41, 0x40051340, v38 :: v_dual_add_f32 v42, 0x40051340, v39
	v_max3_f32 v40, v40, v41, v42
	v_dual_add_f32 v41, 0x40051340, v76 :: v_dual_add_f32 v42, 0x40051340, v77
	s_delay_alu instid0(VALU_DEP_1) | instskip(SKIP_1) | instid1(VALU_DEP_1)
	v_max3_f32 v40, v40, v41, v42
	v_dual_add_f32 v41, 0x40051340, v75 :: v_dual_add_f32 v42, 0x40051340, v74
	v_max3_f32 v40, v40, v41, v42
	v_dual_add_f32 v41, 0x40051340, v73 :: v_dual_add_f32 v42, 0x40051340, v72
	s_delay_alu instid0(VALU_DEP_1) | instskip(SKIP_1) | instid1(VALU_DEP_1)
	v_max3_f32 v40, v40, v41, v42
	v_dual_add_f32 v41, 0x40051340, v71 :: v_dual_add_f32 v42, 0x40051340, v70
	v_max3_f32 v40, v40, v41, v42
	v_cndmask_b32_e32 v41, v193, v86, vcc_lo
	s_delay_alu instid0(VALU_DEP_1) | instskip(SKIP_3) | instid1(VALU_DEP_1)
	v_lshlrev_b32_e32 v68, 2, v41
	ds_bpermute_b32 v41, v68, v40
	s_waitcnt lgkmcnt(0)
	v_max_f32_e32 v41, v41, v41
	v_max_f32_e32 v69, v40, v41
	s_delay_alu instid0(VALU_DEP_1) | instskip(NEXT) | instid1(VALU_DEP_1)
	v_sub_f32_e32 v40, v147, v69
	v_mul_f32_e32 v41, 0x3fb8aa3b, v40
	s_delay_alu instid0(VALU_DEP_1) | instskip(SKIP_1) | instid1(VALU_DEP_1)
	v_fma_f32 v42, 0x3fb8aa3b, v40, -v41
	v_rndne_f32_e32 v43, v41
	v_dual_sub_f32 v41, v41, v43 :: v_dual_fmac_f32 v42, 0x32a5705f, v40
	v_sub_f32_e32 v33, v33, v69
	v_cmp_ngt_f32_e32 vcc_lo, 0xc2ce8ed0, v40
	v_sub_f32_e32 v32, v32, v69
	v_sub_f32_e32 v35, v35, v69
	v_add_f32_e32 v41, v41, v42
	v_cvt_i32_f32_e32 v42, v43
	v_sub_f32_e32 v34, v34, v69
	v_sub_f32_e32 v36, v36, v69
	;; [unrolled: 1-line block ×3, first 2 shown]
	v_exp_f32_e32 v41, v41
	v_sub_f32_e32 v39, v39, v69
	v_cmp_ngt_f32_e64 s6, 0xc2ce8ed0, v34
	v_sub_f32_e32 v38, v38, v69
	s_waitcnt_depctr 0xfff
	v_ldexp_f32 v41, v41, v42
	s_delay_alu instid0(VALU_DEP_1) | instskip(SKIP_1) | instid1(VALU_DEP_2)
	v_cndmask_b32_e32 v41, 0, v41, vcc_lo
	v_cmp_nlt_f32_e32 vcc_lo, 0x42b17218, v40
	v_cndmask_b32_e32 v41, 0x7f800000, v41, vcc_lo
	v_cmp_le_f32_e32 vcc_lo, 0xc1a00000, v40
	s_delay_alu instid0(VALU_DEP_2) | instskip(NEXT) | instid1(VALU_DEP_1)
	v_cndmask_b32_e32 v78, 0, v41, vcc_lo
	v_cvt_f16_f32_e32 v40, v78
	s_delay_alu instid0(VALU_DEP_1)
	v_pk_mul_f16 v24, v40, v24 op_sel_hi:[0,1]
	v_pk_mul_f16 v25, v40, v25 op_sel_hi:[0,1]
	;; [unrolled: 1-line block ×32, first 2 shown]
	v_add_co_u32 v40, vcc_lo, s3, v234
	v_add_co_ci_u32_e32 v41, vcc_lo, s4, v235, vcc_lo
	s_delay_alu instid0(VALU_DEP_2) | instskip(NEXT) | instid1(VALU_DEP_2)
	v_add_co_u32 v40, vcc_lo, v40, v254
	v_add_co_ci_u32_e32 v41, vcc_lo, 0, v41, vcc_lo
	v_add_co_u32 v42, vcc_lo, s3, v245
	v_add_co_ci_u32_e32 v43, vcc_lo, s4, v246, vcc_lo
	s_delay_alu instid0(VALU_DEP_2) | instskip(NEXT) | instid1(VALU_DEP_2)
	v_add_co_u32 v44, vcc_lo, v42, v254
	v_add_co_ci_u32_e32 v45, vcc_lo, 0, v43, vcc_lo
	s_clause 0x1
	global_load_b128 v[40:43], v[40:41], off
	global_load_b128 v[44:47], v[44:45], off
	s_waitcnt vmcnt(1)
	ds_store_b128 v236, v[40:43]
	s_waitcnt vmcnt(0)
	ds_store_b128 v150, v[44:47]
	v_add_co_u32 v40, vcc_lo, s3, v247
	v_add_co_ci_u32_e32 v41, vcc_lo, s4, v248, vcc_lo
	s_delay_alu instid0(VALU_DEP_2) | instskip(NEXT) | instid1(VALU_DEP_2)
	v_add_co_u32 v40, vcc_lo, v40, v254
	v_add_co_ci_u32_e32 v41, vcc_lo, 0, v41, vcc_lo
	v_add_co_u32 v42, vcc_lo, s3, v249
	v_add_co_ci_u32_e32 v43, vcc_lo, s4, v250, vcc_lo
	s_delay_alu instid0(VALU_DEP_2) | instskip(NEXT) | instid1(VALU_DEP_2)
	v_add_co_u32 v44, vcc_lo, v42, v254
	v_add_co_ci_u32_e32 v45, vcc_lo, 0, v43, vcc_lo
	s_clause 0x1
	global_load_b128 v[40:43], v[40:41], off
	global_load_b128 v[44:47], v[44:45], off
	s_waitcnt vmcnt(1)
	ds_store_b128 v187, v[40:43]
	s_waitcnt vmcnt(0)
	ds_store_b128 v188, v[44:47]
	;; [unrolled: 17-line block ×3, first 2 shown]
	v_add_co_u32 v40, vcc_lo, s3, v142
	v_add_co_ci_u32_e32 v41, vcc_lo, s4, v143, vcc_lo
	s_delay_alu instid0(VALU_DEP_2) | instskip(NEXT) | instid1(VALU_DEP_2)
	v_add_co_u32 v40, vcc_lo, v40, v254
	v_add_co_ci_u32_e32 v41, vcc_lo, 0, v41, vcc_lo
	v_add_co_u32 v42, vcc_lo, s3, v144
	v_add_co_ci_u32_e32 v43, vcc_lo, s4, v145, vcc_lo
	v_cmp_eq_u32_e64 s4, 0, v244
	s_delay_alu instid0(VALU_DEP_3) | instskip(NEXT) | instid1(VALU_DEP_3)
	v_add_co_u32 v44, vcc_lo, v42, v254
	v_add_co_ci_u32_e32 v45, vcc_lo, 0, v43, vcc_lo
	s_clause 0x1
	global_load_b128 v[40:43], v[40:41], off
	global_load_b128 v[44:47], v[44:45], off
	s_waitcnt vmcnt(1)
	ds_store_b128 v207, v[40:43]
	s_waitcnt vmcnt(0)
	ds_store_b128 v208, v[44:47]
	v_mul_f32_e32 v40, 0x3fb8aa3b, v33
	v_cmp_ngt_f32_e32 vcc_lo, 0xc2ce8ed0, v33
	s_waitcnt lgkmcnt(0)
	s_barrier
	buffer_gl0_inv
	v_fma_f32 v41, 0x3fb8aa3b, v33, -v40
	v_rndne_f32_e32 v42, v40
	s_delay_alu instid0(VALU_DEP_1) | instskip(SKIP_1) | instid1(VALU_DEP_2)
	v_dual_fmac_f32 v41, 0x32a5705f, v33 :: v_dual_sub_f32 v40, v40, v42
	v_cvt_i32_f32_e32 v42, v42
	v_dual_add_f32 v40, v40, v41 :: v_dual_mul_f32 v41, 0x3fb8aa3b, v32
	s_delay_alu instid0(VALU_DEP_1) | instskip(SKIP_1) | instid1(VALU_DEP_1)
	v_fma_f32 v43, 0x3fb8aa3b, v32, -v41
	v_rndne_f32_e32 v44, v41
	v_sub_f32_e32 v41, v41, v44
	s_delay_alu instid0(VALU_DEP_3)
	v_fmac_f32_e32 v43, 0x32a5705f, v32
	v_exp_f32_e32 v40, v40
	v_cmp_ngt_f32_e64 s3, 0xc2ce8ed0, v32
	s_waitcnt_depctr 0xfff
	v_ldexp_f32 v40, v40, v42
	v_cvt_i32_f32_e32 v42, v44
	s_delay_alu instid0(VALU_DEP_2) | instskip(SKIP_1) | instid1(VALU_DEP_2)
	v_cndmask_b32_e32 v40, 0, v40, vcc_lo
	v_cmp_nlt_f32_e32 vcc_lo, 0x42b17218, v33
	v_dual_add_f32 v41, v41, v43 :: v_dual_cndmask_b32 v80, 0x7f800000, v40
	s_delay_alu instid0(VALU_DEP_1) | instskip(SKIP_3) | instid1(VALU_DEP_1)
	v_exp_f32_e32 v41, v41
	v_cmp_eq_u32_e32 vcc_lo, 1, v240
	ds_bpermute_b32 v40, v68, v80
	v_ldexp_f32 v41, v41, v42
	v_cndmask_b32_e64 v33, 0, v41, s3
	v_cmp_nlt_f32_e64 s3, 0x42b17218, v32
	s_delay_alu instid0(VALU_DEP_1)
	v_cndmask_b32_e64 v79, 0x7f800000, v33, s3
	v_cmp_eq_u32_e64 s3, 0, v240
	ds_bpermute_b32 v32, v68, v79
	s_waitcnt lgkmcnt(0)
	v_cndmask_b32_e64 v33, v79, v32, s3
	v_cndmask_b32_e32 v32, v79, v32, vcc_lo
	s_delay_alu instid0(VALU_DEP_2) | instskip(NEXT) | instid1(VALU_DEP_2)
	v_cndmask_b32_e64 v41, v33, v80, s4
	v_cndmask_b32_e64 v42, v32, v80, s5
	v_cvt_f16_f32_e32 v33, v33
	v_cvt_f16_f32_e32 v32, v32
	s_delay_alu instid0(VALU_DEP_4) | instskip(NEXT) | instid1(VALU_DEP_4)
	v_cndmask_b32_e64 v41, v41, v40, s3
	v_cndmask_b32_e32 v40, v42, v40, vcc_lo
	s_delay_alu instid0(VALU_DEP_3) | instskip(NEXT) | instid1(VALU_DEP_3)
	v_pack_b32_f16 v32, v33, v32
	v_cvt_f16_f32_e32 v42, v41
	s_delay_alu instid0(VALU_DEP_3) | instskip(NEXT) | instid1(VALU_DEP_1)
	v_cvt_f16_f32_e32 v43, v40
	v_pack_b32_f16 v33, v42, v43
	v_mul_f32_e32 v42, 0x3fb8aa3b, v34
	s_delay_alu instid0(VALU_DEP_1) | instskip(SKIP_1) | instid1(VALU_DEP_1)
	v_fma_f32 v43, 0x3fb8aa3b, v34, -v42
	v_rndne_f32_e32 v44, v42
	v_dual_fmac_f32 v43, 0x32a5705f, v34 :: v_dual_sub_f32 v42, v42, v44
	s_delay_alu instid0(VALU_DEP_1) | instskip(SKIP_1) | instid1(VALU_DEP_2)
	v_add_f32_e32 v42, v42, v43
	v_cvt_i32_f32_e32 v43, v44
	v_exp_f32_e32 v42, v42
	s_waitcnt_depctr 0xfff
	v_ldexp_f32 v42, v42, v43
	s_delay_alu instid0(VALU_DEP_1) | instskip(SKIP_1) | instid1(VALU_DEP_1)
	v_cndmask_b32_e64 v42, 0, v42, s6
	v_cmp_nlt_f32_e64 s6, 0x42b17218, v34
	v_cndmask_b32_e64 v81, 0x7f800000, v42, s6
	v_cmp_ngt_f32_e64 s6, 0xc2ce8ed0, v35
	s_delay_alu instid0(VALU_DEP_2) | instskip(SKIP_4) | instid1(VALU_DEP_2)
	v_cndmask_b32_e64 v34, v41, v81, s4
	ds_bpermute_b32 v41, v68, v81
	v_cndmask_b32_e64 v40, v40, v81, s5
	s_waitcnt lgkmcnt(0)
	v_cndmask_b32_e64 v42, v34, v41, s3
	v_cndmask_b32_e32 v40, v40, v41, vcc_lo
	s_delay_alu instid0(VALU_DEP_2) | instskip(NEXT) | instid1(VALU_DEP_2)
	v_cvt_f16_f32_e32 v34, v42
	v_cvt_f16_f32_e32 v41, v40
	s_delay_alu instid0(VALU_DEP_1) | instskip(SKIP_1) | instid1(VALU_DEP_1)
	v_pack_b32_f16 v34, v34, v41
	v_mul_f32_e32 v41, 0x3fb8aa3b, v35
	v_fma_f32 v43, 0x3fb8aa3b, v35, -v41
	v_rndne_f32_e32 v44, v41
	s_delay_alu instid0(VALU_DEP_2) | instskip(NEXT) | instid1(VALU_DEP_2)
	v_fmac_f32_e32 v43, 0x32a5705f, v35
	v_sub_f32_e32 v41, v41, v44
	s_delay_alu instid0(VALU_DEP_1) | instskip(SKIP_1) | instid1(VALU_DEP_2)
	v_add_f32_e32 v41, v41, v43
	v_cvt_i32_f32_e32 v43, v44
	v_exp_f32_e32 v41, v41
	s_waitcnt_depctr 0xfff
	v_ldexp_f32 v41, v41, v43
	s_delay_alu instid0(VALU_DEP_1) | instskip(SKIP_1) | instid1(VALU_DEP_1)
	v_cndmask_b32_e64 v41, 0, v41, s6
	v_cmp_nlt_f32_e64 s6, 0x42b17218, v35
	v_cndmask_b32_e64 v82, 0x7f800000, v41, s6
	ds_bpermute_b32 v41, v68, v82
	v_cndmask_b32_e64 v35, v42, v82, s4
	v_cndmask_b32_e64 v40, v40, v82, s5
	s_waitcnt lgkmcnt(0)
	s_delay_alu instid0(VALU_DEP_2) | instskip(NEXT) | instid1(VALU_DEP_2)
	v_cndmask_b32_e64 v42, v35, v41, s3
	v_cndmask_b32_e32 v40, v40, v41, vcc_lo
	s_delay_alu instid0(VALU_DEP_2) | instskip(NEXT) | instid1(VALU_DEP_2)
	v_cvt_f16_f32_e32 v35, v42
	v_cvt_f16_f32_e32 v41, v40
	s_delay_alu instid0(VALU_DEP_1) | instskip(SKIP_1) | instid1(VALU_DEP_1)
	v_pack_b32_f16 v35, v35, v41
	v_mul_f32_e32 v41, 0x3fb8aa3b, v36
	v_fma_f32 v43, 0x3fb8aa3b, v36, -v41
	v_rndne_f32_e32 v44, v41
	s_delay_alu instid0(VALU_DEP_1) | instskip(NEXT) | instid1(VALU_DEP_3)
	v_sub_f32_e32 v41, v41, v44
	v_fmac_f32_e32 v43, 0x32a5705f, v36
	v_cmp_ngt_f32_e64 s6, 0xc2ce8ed0, v36
	s_delay_alu instid0(VALU_DEP_2) | instskip(SKIP_1) | instid1(VALU_DEP_2)
	v_add_f32_e32 v41, v41, v43
	v_cvt_i32_f32_e32 v43, v44
	v_exp_f32_e32 v41, v41
	s_waitcnt_depctr 0xfff
	v_ldexp_f32 v41, v41, v43
	s_delay_alu instid0(VALU_DEP_1) | instskip(SKIP_1) | instid1(VALU_DEP_1)
	v_cndmask_b32_e64 v41, 0, v41, s6
	v_cmp_nlt_f32_e64 s6, 0x42b17218, v36
	v_cndmask_b32_e64 v83, 0x7f800000, v41, s6
	v_cmp_ngt_f32_e64 s6, 0xc2ce8ed0, v37
	ds_bpermute_b32 v41, v68, v83
	v_cndmask_b32_e64 v36, v42, v83, s4
	v_cndmask_b32_e64 v40, v40, v83, s5
	s_waitcnt lgkmcnt(0)
	s_delay_alu instid0(VALU_DEP_2) | instskip(NEXT) | instid1(VALU_DEP_2)
	v_cndmask_b32_e64 v42, v36, v41, s3
	v_cndmask_b32_e32 v40, v40, v41, vcc_lo
	s_delay_alu instid0(VALU_DEP_2) | instskip(NEXT) | instid1(VALU_DEP_2)
	v_cvt_f16_f32_e32 v36, v42
	v_cvt_f16_f32_e32 v41, v40
	s_delay_alu instid0(VALU_DEP_1) | instskip(SKIP_1) | instid1(VALU_DEP_1)
	v_pack_b32_f16 v36, v36, v41
	v_mul_f32_e32 v41, 0x3fb8aa3b, v37
	v_fma_f32 v43, 0x3fb8aa3b, v37, -v41
	v_rndne_f32_e32 v44, v41
	s_delay_alu instid0(VALU_DEP_2) | instskip(NEXT) | instid1(VALU_DEP_2)
	v_fmac_f32_e32 v43, 0x32a5705f, v37
	v_sub_f32_e32 v41, v41, v44
	s_delay_alu instid0(VALU_DEP_1) | instskip(SKIP_1) | instid1(VALU_DEP_2)
	v_add_f32_e32 v41, v41, v43
	v_cvt_i32_f32_e32 v43, v44
	v_exp_f32_e32 v41, v41
	s_waitcnt_depctr 0xfff
	v_ldexp_f32 v41, v41, v43
	s_delay_alu instid0(VALU_DEP_1) | instskip(SKIP_1) | instid1(VALU_DEP_1)
	v_cndmask_b32_e64 v41, 0, v41, s6
	v_cmp_nlt_f32_e64 s6, 0x42b17218, v37
	v_cndmask_b32_e64 v84, 0x7f800000, v41, s6
	v_cmp_ngt_f32_e64 s6, 0xc2ce8ed0, v38
	ds_bpermute_b32 v41, v68, v84
	v_cndmask_b32_e64 v37, v42, v84, s4
	v_cndmask_b32_e64 v40, v40, v84, s5
	s_waitcnt lgkmcnt(0)
	s_delay_alu instid0(VALU_DEP_2) | instskip(NEXT) | instid1(VALU_DEP_2)
	v_cndmask_b32_e64 v42, v37, v41, s3
	v_cndmask_b32_e32 v40, v40, v41, vcc_lo
	s_delay_alu instid0(VALU_DEP_2) | instskip(NEXT) | instid1(VALU_DEP_2)
	v_cvt_f16_f32_e32 v37, v42
	v_cvt_f16_f32_e32 v41, v40
	s_delay_alu instid0(VALU_DEP_1) | instskip(SKIP_1) | instid1(VALU_DEP_1)
	v_pack_b32_f16 v37, v37, v41
	v_mul_f32_e32 v41, 0x3fb8aa3b, v38
	v_fma_f32 v43, 0x3fb8aa3b, v38, -v41
	v_rndne_f32_e32 v44, v41
	s_delay_alu instid0(VALU_DEP_2) | instskip(NEXT) | instid1(VALU_DEP_2)
	v_fmac_f32_e32 v43, 0x32a5705f, v38
	v_sub_f32_e32 v41, v41, v44
	s_delay_alu instid0(VALU_DEP_1) | instskip(SKIP_1) | instid1(VALU_DEP_2)
	v_add_f32_e32 v41, v41, v43
	v_cvt_i32_f32_e32 v43, v44
	v_exp_f32_e32 v41, v41
	s_waitcnt_depctr 0xfff
	v_ldexp_f32 v41, v41, v43
	s_delay_alu instid0(VALU_DEP_1) | instskip(SKIP_1) | instid1(VALU_DEP_1)
	v_cndmask_b32_e64 v41, 0, v41, s6
	v_cmp_nlt_f32_e64 s6, 0x42b17218, v38
	v_cndmask_b32_e64 v85, 0x7f800000, v41, s6
	v_cmp_ngt_f32_e64 s6, 0xc2ce8ed0, v39
	ds_bpermute_b32 v41, v68, v85
	v_cndmask_b32_e64 v38, v42, v85, s4
	v_cndmask_b32_e64 v40, v40, v85, s5
	s_waitcnt lgkmcnt(0)
	s_delay_alu instid0(VALU_DEP_2) | instskip(NEXT) | instid1(VALU_DEP_2)
	v_cndmask_b32_e64 v42, v38, v41, s3
	v_cndmask_b32_e32 v40, v40, v41, vcc_lo
	s_delay_alu instid0(VALU_DEP_2) | instskip(NEXT) | instid1(VALU_DEP_2)
	v_cvt_f16_f32_e32 v38, v42
	v_cvt_f16_f32_e32 v41, v40
	s_delay_alu instid0(VALU_DEP_1) | instskip(SKIP_1) | instid1(VALU_DEP_1)
	v_pack_b32_f16 v38, v38, v41
	v_mul_f32_e32 v41, 0x3fb8aa3b, v39
	v_fma_f32 v43, 0x3fb8aa3b, v39, -v41
	v_rndne_f32_e32 v44, v41
	s_delay_alu instid0(VALU_DEP_2) | instskip(NEXT) | instid1(VALU_DEP_2)
	v_fmac_f32_e32 v43, 0x32a5705f, v39
	v_sub_f32_e32 v41, v41, v44
	s_delay_alu instid0(VALU_DEP_1) | instskip(SKIP_1) | instid1(VALU_DEP_2)
	v_add_f32_e32 v41, v41, v43
	v_cvt_i32_f32_e32 v43, v44
	v_exp_f32_e32 v41, v41
	s_waitcnt_depctr 0xfff
	v_ldexp_f32 v41, v41, v43
	s_delay_alu instid0(VALU_DEP_1) | instskip(SKIP_1) | instid1(VALU_DEP_1)
	v_cndmask_b32_e64 v41, 0, v41, s6
	v_cmp_nlt_f32_e64 s6, 0x42b17218, v39
	v_cndmask_b32_e64 v86, 0x7f800000, v41, s6
	ds_bpermute_b32 v41, v68, v86
	v_cndmask_b32_e64 v39, v42, v86, s4
	v_cndmask_b32_e64 v40, v40, v86, s5
	s_waitcnt lgkmcnt(0)
	s_delay_alu instid0(VALU_DEP_2) | instskip(NEXT) | instid1(VALU_DEP_2)
	v_cndmask_b32_e64 v39, v39, v41, s3
	v_cndmask_b32_e32 v40, v40, v41, vcc_lo
	s_delay_alu instid0(VALU_DEP_2) | instskip(NEXT) | instid1(VALU_DEP_2)
	v_cvt_f16_f32_e32 v39, v39
	v_cvt_f16_f32_e32 v40, v40
	s_delay_alu instid0(VALU_DEP_1)
	v_pack_b32_f16 v39, v39, v40
	ds_load_2addr_b32 v[40:41], v210 offset1:16
	ds_load_2addr_b32 v[42:43], v210 offset0:68 offset1:84
	ds_load_2addr_b32 v[44:45], v210 offset0:136 offset1:152
	;; [unrolled: 1-line block ×13, first 2 shown]
	s_waitcnt lgkmcnt(12)
	v_perm_b32 v90, v42, v40, 0x5040100
	s_waitcnt lgkmcnt(10)
	v_perm_b32 v91, v46, v44, 0x5040100
	;; [unrolled: 2-line block ×8, first 2 shown]
	v_perm_b32 v98, v61, v59, 0x5040100
	s_delay_alu instid0(VALU_DEP_2)
	v_wmma_f16_16x16x16_f16 v[24:31], v[90:97], v[32:39], v[24:31]
	ds_load_b32 v90, v149 offset:2176
	ds_load_b32 v91, v149 offset:3264
	;; [unrolled: 1-line block ×4, first 2 shown]
	ds_load_2addr_b32 v[101:102], v89 offset0:100 offset1:116
	ds_load_2addr_b32 v[103:104], v89 offset0:168 offset1:184
	ds_load_2addr_b32 v[105:106], v89 offset0:236 offset1:252
	v_add_nc_u32_e32 v89, 0x1000, v210
	ds_load_2addr_b32 v[107:108], v88 offset0:132 offset1:148
	ds_load_2addr_b32 v[109:110], v89 offset0:12 offset1:28
	;; [unrolled: 1-line block ×7, first 2 shown]
	ds_load_b32 v89, v237 offset:1088
	ds_load_b32 v126, v237 offset:2176
	;; [unrolled: 1-line block ×5, first 2 shown]
	ds_load_2addr_b32 v[121:122], v87 offset0:132 offset1:148
	ds_load_2addr_b32 v[123:124], v87 offset0:200 offset1:216
	;; [unrolled: 1-line block ×3, first 2 shown]
	ds_load_b32 v130, v239 offset:1088
	ds_load_b32 v131, v239 offset:2176
	;; [unrolled: 1-line block ×8, first 2 shown]
	v_perm_b32 v93, v43, v41, 0x5040100
	v_perm_b32 v94, v47, v45, 0x5040100
	s_waitcnt lgkmcnt(29)
	v_perm_b32 v97, v55, v90, 0x5040100
	s_waitcnt lgkmcnt(25)
	;; [unrolled: 2-line block ×5, first 2 shown]
	v_perm_b32 v100, v109, v111, 0x5040100
	s_delay_alu instid0(VALU_DEP_1)
	v_wmma_f16_16x16x16_f16 v[16:23], v[93:100], v[32:39], v[16:23]
	s_waitcnt lgkmcnt(18)
	v_perm_b32 v93, v115, v113, 0x5040100
	s_waitcnt lgkmcnt(16)
	v_perm_b32 v94, v119, v117, 0x5040100
	;; [unrolled: 2-line block ×3, first 2 shown]
	v_perm_b32 v96, v106, v104, 0x5040100
	s_waitcnt lgkmcnt(10)
	v_perm_b32 v97, v121, v126, 0x5040100
	s_waitcnt lgkmcnt(8)
	v_perm_b32 v98, v87, v123, 0x5040100
	v_perm_b32 v99, v108, v127, 0x5040100
	;; [unrolled: 1-line block ×3, first 2 shown]
	s_delay_alu instid0(VALU_DEP_1)
	v_wmma_f16_16x16x16_f16 v[8:15], v[93:100], v[32:39], v[8:15]
	v_perm_b32 v93, v116, v114, 0x5040100
	v_perm_b32 v94, v120, v118, 0x5040100
	s_waitcnt lgkmcnt(7)
	v_perm_b32 v95, v48, v130, 0x5040100
	v_perm_b32 v96, v52, v50, 0x5040100
	s_waitcnt lgkmcnt(6)
	v_perm_b32 v97, v122, v131, 0x5040100
	v_perm_b32 v98, v88, v124, 0x5040100
	s_waitcnt lgkmcnt(5)
	v_perm_b32 v99, v62, v132, 0x5040100
	s_waitcnt lgkmcnt(2)
	v_perm_b32 v100, v135, v64, 0x5040100
	s_delay_alu instid0(VALU_DEP_1)
	v_wmma_f16_16x16x16_f16 v[0:7], v[93:100], v[32:39], v[0:7]
	v_perm_b32 v93, v42, v40, 0x7060302
	v_perm_b32 v94, v46, v44, 0x7060302
	;; [unrolled: 1-line block ×14, first 2 shown]
	v_wmma_f16_16x16x16_f16 v[16:23], v[40:47], v[32:39], v[16:23] op_sel:[0,0,1]
	v_perm_b32 v43, v106, v104, 0x7060302
	v_perm_b32 v47, v110, v112, 0x7060302
	;; [unrolled: 1-line block ×10, first 2 shown]
	s_delay_alu instid0(VALU_DEP_3)
	v_wmma_f16_16x16x16_f16 v[8:15], v[40:47], v[32:39], v[8:15] op_sel:[0,0,1]
	v_perm_b32 v40, v116, v114, 0x7060302
	v_perm_b32 v41, v120, v118, 0x7060302
	;; [unrolled: 1-line block ×8, first 2 shown]
	v_wmma_f16_16x16x16_f16 v[24:31], v[93:100], v[32:39], v[24:31] op_sel:[0,0,1]
	s_delay_alu instid0(VALU_DEP_2) | instskip(SKIP_2) | instid1(VALU_DEP_2)
	v_wmma_f16_16x16x16_f16 v[0:7], v[40:47], v[32:39], v[0:7] op_sel:[0,0,1]
	v_dual_sub_f32 v32, v77, v69 :: v_dual_add_nc_u32 v45, 0x2c00, v210
	v_add_nc_u32_e32 v46, 0x2e00, v210
	v_mul_f32_e32 v33, 0x3fb8aa3b, v32
	v_cmp_ngt_f32_e64 s6, 0xc2ce8ed0, v32
	s_delay_alu instid0(VALU_DEP_2) | instskip(SKIP_1) | instid1(VALU_DEP_1)
	v_fma_f32 v34, 0x3fb8aa3b, v32, -v33
	v_rndne_f32_e32 v35, v33
	v_dual_fmac_f32 v34, 0x32a5705f, v32 :: v_dual_sub_f32 v33, v33, v35
	v_cvt_i32_f32_e32 v35, v35
	s_delay_alu instid0(VALU_DEP_2) | instskip(NEXT) | instid1(VALU_DEP_1)
	v_dual_add_f32 v33, v33, v34 :: v_dual_sub_f32 v34, v76, v69
	v_exp_f32_e32 v33, v33
	s_delay_alu instid0(VALU_DEP_1) | instskip(SKIP_1) | instid1(VALU_DEP_2)
	v_mul_f32_e32 v36, 0x3fb8aa3b, v34
	v_cmp_ngt_f32_e64 s7, 0xc2ce8ed0, v34
	v_fma_f32 v37, 0x3fb8aa3b, v34, -v36
	v_rndne_f32_e32 v38, v36
	s_waitcnt_depctr 0xfff
	v_ldexp_f32 v33, v33, v35
	v_fmac_f32_e32 v37, 0x32a5705f, v34
	v_sub_f32_e32 v36, v36, v38
	s_delay_alu instid0(VALU_DEP_3) | instskip(SKIP_1) | instid1(VALU_DEP_3)
	v_cndmask_b32_e64 v33, 0, v33, s6
	v_cmp_nlt_f32_e64 s6, 0x42b17218, v32
	v_add_f32_e32 v36, v36, v37
	s_delay_alu instid0(VALU_DEP_2) | instskip(NEXT) | instid1(VALU_DEP_2)
	v_cndmask_b32_e64 v108, 0x7f800000, v33, s6
	v_exp_f32_e32 v35, v36
	v_cvt_i32_f32_e32 v36, v38
	s_waitcnt_depctr 0xfff
	v_ldexp_f32 v35, v35, v36
	s_delay_alu instid0(VALU_DEP_1)
	v_cndmask_b32_e64 v32, 0, v35, s7
	v_cmp_nlt_f32_e64 s7, 0x42b17218, v34
	ds_bpermute_b32 v34, v68, v108
	v_cndmask_b32_e64 v107, 0x7f800000, v32, s7
	ds_bpermute_b32 v32, v68, v107
	s_waitcnt lgkmcnt(0)
	v_cndmask_b32_e64 v33, v107, v32, s3
	v_cndmask_b32_e32 v32, v107, v32, vcc_lo
	s_delay_alu instid0(VALU_DEP_2) | instskip(NEXT) | instid1(VALU_DEP_2)
	v_cndmask_b32_e64 v35, v33, v108, s4
	v_cndmask_b32_e64 v36, v32, v108, s5
	v_cvt_f16_f32_e32 v33, v33
	v_cvt_f16_f32_e32 v32, v32
	s_delay_alu instid0(VALU_DEP_4) | instskip(NEXT) | instid1(VALU_DEP_4)
	v_cndmask_b32_e64 v35, v35, v34, s3
	v_cndmask_b32_e32 v34, v36, v34, vcc_lo
	s_delay_alu instid0(VALU_DEP_3) | instskip(NEXT) | instid1(VALU_DEP_3)
	v_pack_b32_f16 v32, v33, v32
	v_cvt_f16_f32_e32 v36, v35
	s_delay_alu instid0(VALU_DEP_3) | instskip(NEXT) | instid1(VALU_DEP_1)
	v_cvt_f16_f32_e32 v37, v34
	v_pack_b32_f16 v33, v36, v37
	v_sub_f32_e32 v36, v75, v69
	s_delay_alu instid0(VALU_DEP_1) | instskip(SKIP_1) | instid1(VALU_DEP_2)
	v_mul_f32_e32 v37, 0x3fb8aa3b, v36
	v_cmp_ngt_f32_e64 s6, 0xc2ce8ed0, v36
	v_fma_f32 v38, 0x3fb8aa3b, v36, -v37
	v_rndne_f32_e32 v39, v37
	s_delay_alu instid0(VALU_DEP_1) | instskip(NEXT) | instid1(VALU_DEP_1)
	v_dual_fmac_f32 v38, 0x32a5705f, v36 :: v_dual_sub_f32 v37, v37, v39
	v_add_f32_e32 v37, v37, v38
	v_cvt_i32_f32_e32 v38, v39
	s_delay_alu instid0(VALU_DEP_2) | instskip(SKIP_2) | instid1(VALU_DEP_1)
	v_exp_f32_e32 v37, v37
	s_waitcnt_depctr 0xfff
	v_ldexp_f32 v37, v37, v38
	v_cndmask_b32_e64 v37, 0, v37, s6
	v_cmp_nlt_f32_e64 s6, 0x42b17218, v36
	s_delay_alu instid0(VALU_DEP_1) | instskip(SKIP_4) | instid1(VALU_DEP_2)
	v_cndmask_b32_e64 v109, 0x7f800000, v37, s6
	ds_bpermute_b32 v36, v68, v109
	v_cndmask_b32_e64 v35, v35, v109, s4
	v_cndmask_b32_e64 v34, v34, v109, s5
	s_waitcnt lgkmcnt(0)
	v_cndmask_b32_e64 v35, v35, v36, s3
	s_delay_alu instid0(VALU_DEP_2) | instskip(NEXT) | instid1(VALU_DEP_2)
	v_cndmask_b32_e32 v36, v34, v36, vcc_lo
	v_cvt_f16_f32_e32 v34, v35
	s_delay_alu instid0(VALU_DEP_2) | instskip(NEXT) | instid1(VALU_DEP_1)
	v_cvt_f16_f32_e32 v37, v36
	v_pack_b32_f16 v34, v34, v37
	v_sub_f32_e32 v37, v74, v69
	s_delay_alu instid0(VALU_DEP_1) | instskip(SKIP_1) | instid1(VALU_DEP_2)
	v_mul_f32_e32 v38, 0x3fb8aa3b, v37
	v_cmp_ngt_f32_e64 s6, 0xc2ce8ed0, v37
	v_fma_f32 v39, 0x3fb8aa3b, v37, -v38
	v_rndne_f32_e32 v40, v38
	s_delay_alu instid0(VALU_DEP_1) | instskip(NEXT) | instid1(VALU_DEP_1)
	v_dual_fmac_f32 v39, 0x32a5705f, v37 :: v_dual_sub_f32 v38, v38, v40
	v_add_f32_e32 v38, v38, v39
	v_cvt_i32_f32_e32 v39, v40
	s_delay_alu instid0(VALU_DEP_2) | instskip(SKIP_2) | instid1(VALU_DEP_1)
	v_exp_f32_e32 v38, v38
	s_waitcnt_depctr 0xfff
	v_ldexp_f32 v38, v38, v39
	v_cndmask_b32_e64 v38, 0, v38, s6
	v_cmp_nlt_f32_e64 s6, 0x42b17218, v37
	s_delay_alu instid0(VALU_DEP_1) | instskip(SKIP_4) | instid1(VALU_DEP_2)
	v_cndmask_b32_e64 v110, 0x7f800000, v38, s6
	ds_bpermute_b32 v37, v68, v110
	v_cndmask_b32_e64 v35, v35, v110, s4
	v_cndmask_b32_e64 v36, v36, v110, s5
	s_waitcnt lgkmcnt(0)
	v_cndmask_b32_e64 v38, v35, v37, s3
	s_delay_alu instid0(VALU_DEP_2) | instskip(NEXT) | instid1(VALU_DEP_2)
	v_cndmask_b32_e32 v36, v36, v37, vcc_lo
	v_cvt_f16_f32_e32 v35, v38
	s_delay_alu instid0(VALU_DEP_2) | instskip(NEXT) | instid1(VALU_DEP_1)
	v_cvt_f16_f32_e32 v37, v36
	v_pack_b32_f16 v35, v35, v37
	v_sub_f32_e32 v37, v73, v69
	s_delay_alu instid0(VALU_DEP_1) | instskip(SKIP_1) | instid1(VALU_DEP_2)
	v_mul_f32_e32 v39, 0x3fb8aa3b, v37
	v_cmp_ngt_f32_e64 s6, 0xc2ce8ed0, v37
	v_fma_f32 v40, 0x3fb8aa3b, v37, -v39
	v_rndne_f32_e32 v41, v39
	s_delay_alu instid0(VALU_DEP_2) | instskip(NEXT) | instid1(VALU_DEP_2)
	v_fmac_f32_e32 v40, 0x32a5705f, v37
	v_sub_f32_e32 v39, v39, v41
	s_delay_alu instid0(VALU_DEP_1) | instskip(SKIP_1) | instid1(VALU_DEP_2)
	v_add_f32_e32 v39, v39, v40
	v_cvt_i32_f32_e32 v40, v41
	v_exp_f32_e32 v39, v39
	s_waitcnt_depctr 0xfff
	v_ldexp_f32 v39, v39, v40
	s_delay_alu instid0(VALU_DEP_1) | instskip(SKIP_1) | instid1(VALU_DEP_1)
	v_cndmask_b32_e64 v39, 0, v39, s6
	v_cmp_nlt_f32_e64 s6, 0x42b17218, v37
	v_cndmask_b32_e64 v111, 0x7f800000, v39, s6
	s_delay_alu instid0(VALU_DEP_1) | instskip(SKIP_4) | instid1(VALU_DEP_2)
	v_cndmask_b32_e64 v37, v38, v111, s4
	ds_bpermute_b32 v38, v68, v111
	v_cndmask_b32_e64 v36, v36, v111, s5
	s_waitcnt lgkmcnt(0)
	v_cndmask_b32_e64 v37, v37, v38, s3
	v_cndmask_b32_e32 v38, v36, v38, vcc_lo
	s_delay_alu instid0(VALU_DEP_2) | instskip(NEXT) | instid1(VALU_DEP_2)
	v_cvt_f16_f32_e32 v36, v37
	v_cvt_f16_f32_e32 v39, v38
	s_delay_alu instid0(VALU_DEP_1) | instskip(SKIP_1) | instid1(VALU_DEP_1)
	v_pack_b32_f16 v36, v36, v39
	v_sub_f32_e32 v39, v72, v69
	v_mul_f32_e32 v40, 0x3fb8aa3b, v39
	v_cmp_ngt_f32_e64 s6, 0xc2ce8ed0, v39
	s_delay_alu instid0(VALU_DEP_2) | instskip(SKIP_1) | instid1(VALU_DEP_1)
	v_fma_f32 v41, 0x3fb8aa3b, v39, -v40
	v_rndne_f32_e32 v42, v40
	v_dual_fmac_f32 v41, 0x32a5705f, v39 :: v_dual_sub_f32 v40, v40, v42
	s_delay_alu instid0(VALU_DEP_1) | instskip(SKIP_1) | instid1(VALU_DEP_2)
	v_add_f32_e32 v40, v40, v41
	v_cvt_i32_f32_e32 v41, v42
	v_exp_f32_e32 v40, v40
	s_waitcnt_depctr 0xfff
	v_ldexp_f32 v40, v40, v41
	s_delay_alu instid0(VALU_DEP_1) | instskip(SKIP_1) | instid1(VALU_DEP_1)
	v_cndmask_b32_e64 v40, 0, v40, s6
	v_cmp_nlt_f32_e64 s6, 0x42b17218, v39
	v_cndmask_b32_e64 v112, 0x7f800000, v40, s6
	ds_bpermute_b32 v39, v68, v112
	v_cndmask_b32_e64 v37, v37, v112, s4
	v_cndmask_b32_e64 v38, v38, v112, s5
	s_waitcnt lgkmcnt(0)
	s_delay_alu instid0(VALU_DEP_2) | instskip(NEXT) | instid1(VALU_DEP_2)
	v_cndmask_b32_e64 v40, v37, v39, s3
	v_cndmask_b32_e32 v38, v38, v39, vcc_lo
	s_delay_alu instid0(VALU_DEP_2) | instskip(NEXT) | instid1(VALU_DEP_2)
	v_cvt_f16_f32_e32 v37, v40
	v_cvt_f16_f32_e32 v39, v38
	s_delay_alu instid0(VALU_DEP_1) | instskip(SKIP_1) | instid1(VALU_DEP_1)
	v_pack_b32_f16 v37, v37, v39
	v_sub_f32_e32 v39, v71, v69
	v_mul_f32_e32 v41, 0x3fb8aa3b, v39
	v_cmp_ngt_f32_e64 s6, 0xc2ce8ed0, v39
	s_delay_alu instid0(VALU_DEP_2) | instskip(SKIP_1) | instid1(VALU_DEP_2)
	v_fma_f32 v42, 0x3fb8aa3b, v39, -v41
	v_rndne_f32_e32 v43, v41
	v_fmac_f32_e32 v42, 0x32a5705f, v39
	s_delay_alu instid0(VALU_DEP_2) | instskip(NEXT) | instid1(VALU_DEP_1)
	v_sub_f32_e32 v41, v41, v43
	v_add_f32_e32 v41, v41, v42
	v_cvt_i32_f32_e32 v42, v43
	s_delay_alu instid0(VALU_DEP_2) | instskip(SKIP_2) | instid1(VALU_DEP_1)
	v_exp_f32_e32 v41, v41
	s_waitcnt_depctr 0xfff
	v_ldexp_f32 v41, v41, v42
	v_cndmask_b32_e64 v41, 0, v41, s6
	v_cmp_nlt_f32_e64 s6, 0x42b17218, v39
	s_delay_alu instid0(VALU_DEP_1) | instskip(NEXT) | instid1(VALU_DEP_1)
	v_cndmask_b32_e64 v113, 0x7f800000, v41, s6
	v_cndmask_b32_e64 v39, v40, v113, s4
	ds_bpermute_b32 v40, v68, v113
	v_cndmask_b32_e64 v38, v38, v113, s5
	s_waitcnt lgkmcnt(0)
	v_cndmask_b32_e64 v39, v39, v40, s3
	s_delay_alu instid0(VALU_DEP_2) | instskip(NEXT) | instid1(VALU_DEP_2)
	v_cndmask_b32_e32 v40, v38, v40, vcc_lo
	v_cvt_f16_f32_e32 v38, v39
	s_delay_alu instid0(VALU_DEP_2) | instskip(NEXT) | instid1(VALU_DEP_1)
	v_cvt_f16_f32_e32 v41, v40
	v_pack_b32_f16 v38, v38, v41
	v_sub_f32_e32 v41, v70, v69
	s_delay_alu instid0(VALU_DEP_1) | instskip(SKIP_1) | instid1(VALU_DEP_2)
	v_mul_f32_e32 v42, 0x3fb8aa3b, v41
	v_cmp_ngt_f32_e64 s6, 0xc2ce8ed0, v41
	v_fma_f32 v43, 0x3fb8aa3b, v41, -v42
	v_rndne_f32_e32 v44, v42
	s_delay_alu instid0(VALU_DEP_1) | instskip(NEXT) | instid1(VALU_DEP_1)
	v_dual_fmac_f32 v43, 0x32a5705f, v41 :: v_dual_sub_f32 v42, v42, v44
	v_add_f32_e32 v42, v42, v43
	v_cvt_i32_f32_e32 v43, v44
	s_delay_alu instid0(VALU_DEP_2) | instskip(SKIP_3) | instid1(VALU_DEP_2)
	v_exp_f32_e32 v42, v42
	s_waitcnt_depctr 0xfff
	v_ldexp_f32 v42, v42, v43
	v_add_nc_u32_e32 v43, 0x2800, v210
	v_cndmask_b32_e64 v42, 0, v42, s6
	v_cmp_nlt_f32_e64 s6, 0x42b17218, v41
	s_delay_alu instid0(VALU_DEP_1)
	v_cndmask_b32_e64 v114, 0x7f800000, v42, s6
	v_add_nc_u32_e32 v42, 0x2600, v210
	ds_bpermute_b32 v41, v68, v114
	v_cndmask_b32_e64 v39, v39, v114, s4
	v_cndmask_b32_e64 v40, v40, v114, s5
	s_waitcnt lgkmcnt(0)
	s_delay_alu instid0(VALU_DEP_2) | instskip(NEXT) | instid1(VALU_DEP_2)
	v_cndmask_b32_e64 v39, v39, v41, s3
	v_dual_cndmask_b32 v40, v40, v41 :: v_dual_add_nc_u32 v41, 0x2400, v210
	s_cselect_b32 s3, -1, 0
	s_delay_alu instid0(VALU_DEP_2) | instskip(NEXT) | instid1(VALU_DEP_2)
	v_cvt_f16_f32_e32 v39, v39
	v_cvt_f16_f32_e32 v40, v40
	s_and_b32 s4, s0, s3
	s_delay_alu instid0(VALU_DEP_1)
	v_pack_b32_f16 v39, v39, v40
	v_add_nc_u32_e32 v40, 0x2000, v210
	ds_load_2addr_b32 v[48:49], v40 offset0:128 offset1:196
	ds_load_2addr_b32 v[50:51], v41 offset0:8 offset1:76
	ds_load_b32 v115, v230 offset:1088
	ds_load_2addr_b32 v[52:53], v42 offset0:84 offset1:152
	ds_load_2addr_b32 v[54:55], v43 offset0:92 offset1:228
	;; [unrolled: 1-line block ×4, first 2 shown]
	s_waitcnt lgkmcnt(6)
	v_perm_b32 v40, v49, v48, 0x5040100
	s_waitcnt lgkmcnt(5)
	v_perm_b32 v41, v51, v50, 0x5040100
	s_waitcnt lgkmcnt(3)
	v_perm_b32 v42, v52, v115, 0x5040100
	s_waitcnt lgkmcnt(2)
	v_perm_b32 v43, v54, v53, 0x5040100
	v_perm_b32 v44, v55, v136, 0x5040100
	s_waitcnt lgkmcnt(1)
	v_perm_b32 v45, v57, v56, 0x5040100
	s_waitcnt lgkmcnt(0)
	v_perm_b32 v46, v58, v125, 0x5040100
	v_perm_b32 v47, v137, v59, 0x5040100
	s_delay_alu instid0(VALU_DEP_1)
	v_wmma_f16_16x16x16_f16 v[24:31], v[40:47], v[32:39], v[24:31]
	v_add_nc_u32_e32 v40, 0x2000, v149
	v_add_nc_u32_e32 v42, 0x2600, v149
	;; [unrolled: 1-line block ×6, first 2 shown]
	ds_load_2addr_b32 v[60:61], v40 offset0:128 offset1:196
	ds_load_2addr_b32 v[62:63], v41 offset0:8 offset1:76
	;; [unrolled: 1-line block ×3, first 2 shown]
	ds_load_b32 v116, v252 offset:1088
	ds_load_b32 v117, v252 offset:2176
	ds_load_b32 v118, v149 offset:12784
	ds_load_2addr_b32 v[66:67], v43 offset0:92 offset1:228
	ds_load_2addr_b32 v[70:71], v45 offset0:40 offset1:108
	ds_load_2addr_b32 v[72:73], v46 offset0:116 offset1:184
	s_waitcnt lgkmcnt(8)
	v_perm_b32 v40, v61, v60, 0x5040100
	s_waitcnt lgkmcnt(7)
	v_perm_b32 v41, v63, v62, 0x5040100
	;; [unrolled: 2-line block ×4, first 2 shown]
	v_perm_b32 v44, v67, v117, 0x5040100
	s_waitcnt lgkmcnt(1)
	v_perm_b32 v45, v71, v70, 0x5040100
	s_waitcnt lgkmcnt(0)
	v_perm_b32 v46, v72, v129, 0x5040100
	v_perm_b32 v47, v118, v73, 0x5040100
	s_delay_alu instid0(VALU_DEP_1)
	v_wmma_f16_16x16x16_f16 v[16:23], v[40:47], v[32:39], v[16:23]
	v_add_nc_u32_e32 v40, 0x2000, v237
	v_add_nc_u32_e32 v42, 0x2600, v237
	;; [unrolled: 1-line block ×6, first 2 shown]
	ds_load_2addr_b32 v[74:75], v40 offset0:128 offset1:196
	ds_load_2addr_b32 v[76:77], v41 offset0:8 offset1:76
	;; [unrolled: 1-line block ×3, first 2 shown]
	ds_load_b32 v119, v212 offset:1088
	ds_load_b32 v120, v212 offset:2176
	ds_load_2addr_b32 v[89:90], v43 offset0:92 offset1:228
	ds_load_2addr_b32 v[91:92], v45 offset0:40 offset1:108
	;; [unrolled: 1-line block ×3, first 2 shown]
	s_waitcnt lgkmcnt(7)
	v_perm_b32 v40, v75, v74, 0x5040100
	s_waitcnt lgkmcnt(6)
	v_perm_b32 v41, v77, v76, 0x5040100
	;; [unrolled: 2-line block ×4, first 2 shown]
	v_perm_b32 v44, v90, v120, 0x5040100
	s_waitcnt lgkmcnt(1)
	v_perm_b32 v45, v92, v91, 0x5040100
	s_waitcnt lgkmcnt(0)
	v_perm_b32 v46, v93, v134, 0x5040100
	v_perm_b32 v47, v128, v94, 0x5040100
	s_delay_alu instid0(VALU_DEP_1)
	v_wmma_f16_16x16x16_f16 v[8:15], v[40:47], v[32:39], v[8:15]
	v_add_nc_u32_e32 v40, 0x2000, v239
	v_add_nc_u32_e32 v43, 0x2800, v239
	;; [unrolled: 1-line block ×6, first 2 shown]
	ds_load_2addr_b32 v[95:96], v40 offset0:128 offset1:196
	ds_load_2addr_b32 v[97:98], v41 offset0:8 offset1:76
	ds_load_b32 v121, v211 offset:1088
	ds_load_2addr_b32 v[99:100], v42 offset0:84 offset1:152
	ds_load_2addr_b32 v[101:102], v43 offset0:92 offset1:228
	ds_load_b32 v122, v211 offset:2176
	ds_load_b32 v123, v211 offset:3264
	ds_load_2addr_b32 v[103:104], v45 offset0:40 offset1:108
	ds_load_2addr_b32 v[105:106], v46 offset0:116 offset1:184
	s_waitcnt lgkmcnt(0)
	s_barrier
	buffer_gl0_inv
	v_perm_b32 v40, v96, v95, 0x5040100
	v_perm_b32 v41, v98, v97, 0x5040100
	;; [unrolled: 1-line block ×8, first 2 shown]
	s_delay_alu instid0(VALU_DEP_1)
	v_wmma_f16_16x16x16_f16 v[0:7], v[40:47], v[32:39], v[0:7]
	v_perm_b32 v42, v52, v115, 0x7060302
	v_perm_b32 v43, v54, v53, 0x7060302
	v_perm_b32 v44, v55, v136, 0x7060302
	v_perm_b32 v46, v58, v125, 0x7060302
	v_perm_b32 v47, v137, v59, 0x7060302
	v_perm_b32 v40, v49, v48, 0x7060302
	v_perm_b32 v41, v51, v50, 0x7060302
	v_perm_b32 v45, v57, v56, 0x7060302
	s_delay_alu instid0(VALU_DEP_1)
	v_wmma_f16_16x16x16_f16 v[24:31], v[40:47], v[32:39], v[24:31] op_sel:[0,0,1]
	v_perm_b32 v42, v64, v116, 0x7060302
	v_perm_b32 v43, v66, v65, 0x7060302
	v_perm_b32 v44, v67, v117, 0x7060302
	v_perm_b32 v46, v72, v129, 0x7060302
	v_perm_b32 v47, v118, v73, 0x7060302
	v_perm_b32 v40, v61, v60, 0x7060302
	v_perm_b32 v41, v63, v62, 0x7060302
	v_perm_b32 v45, v71, v70, 0x7060302
	s_delay_alu instid0(VALU_DEP_1)
	v_wmma_f16_16x16x16_f16 v[16:23], v[40:47], v[32:39], v[16:23] op_sel:[0,0,1]
	;; [unrolled: 10-line block ×3, first 2 shown]
	v_perm_b32 v42, v99, v121, 0x7060302
	v_perm_b32 v43, v101, v100, 0x7060302
	;; [unrolled: 1-line block ×8, first 2 shown]
	s_delay_alu instid0(VALU_DEP_1) | instskip(SKIP_1) | instid1(VALU_DEP_1)
	v_wmma_f16_16x16x16_f16 v[0:7], v[40:47], v[32:39], v[0:7] op_sel:[0,0,1]
	v_add_f32_e32 v32, v79, v80
	v_add_f32_e32 v32, v81, v32
	s_delay_alu instid0(VALU_DEP_1) | instskip(NEXT) | instid1(VALU_DEP_1)
	v_add_f32_e32 v32, v82, v32
	v_add_f32_e32 v32, v83, v32
	s_delay_alu instid0(VALU_DEP_1) | instskip(NEXT) | instid1(VALU_DEP_1)
	;; [unrolled: 3-line block ×7, first 2 shown]
	v_add_f32_e32 v32, v114, v32
	v_fmac_f32_e32 v32, v146, v78
	ds_bpermute_b32 v33, v68, v32
	s_waitcnt lgkmcnt(0)
	v_add_f32_e32 v32, v32, v33
	s_and_saveexec_b32 s3, s4
	s_cbranch_execz .LBB24_185
; %bb.184:                              ;   in Loop: Header=BB24_12 Depth=1
	scratch_load_b32 v33, off, off offset:208 ; 4-byte Folded Reload
	v_max_f32_e32 v34, v69, v69
	s_waitcnt vmcnt(0)
	v_lshlrev_b32_e32 v33, 2, v33
	global_load_b32 v33, v33, s[72:73]
	s_waitcnt vmcnt(0)
	v_max_f32_e32 v35, v33, v33
	s_delay_alu instid0(VALU_DEP_1) | instskip(NEXT) | instid1(VALU_DEP_1)
	v_max_f32_e32 v34, v34, v35
	v_sub_f32_e32 v35, v69, v34
	v_mov_b32_e32 v69, v34
	s_delay_alu instid0(VALU_DEP_2) | instskip(NEXT) | instid1(VALU_DEP_1)
	v_dual_sub_f32 v33, v33, v34 :: v_dual_mul_f32 v36, 0x3fb8aa3b, v35
	v_fma_f32 v37, 0x3fb8aa3b, v35, -v36
	v_rndne_f32_e32 v38, v36
	s_delay_alu instid0(VALU_DEP_1) | instskip(SKIP_1) | instid1(VALU_DEP_2)
	v_dual_fmac_f32 v37, 0x32a5705f, v35 :: v_dual_sub_f32 v36, v36, v38
	v_cvt_i32_f32_e32 v38, v38
	v_add_f32_e32 v36, v36, v37
	v_cmp_ngt_f32_e32 vcc_lo, 0xc2ce8ed0, v35
	s_delay_alu instid0(VALU_DEP_2) | instskip(SKIP_2) | instid1(VALU_DEP_1)
	v_exp_f32_e32 v36, v36
	s_waitcnt_depctr 0xfff
	v_ldexp_f32 v36, v36, v38
	v_dual_mul_f32 v39, 0x3fb8aa3b, v33 :: v_dual_cndmask_b32 v36, 0, v36
	s_delay_alu instid0(VALU_DEP_1) | instskip(SKIP_2) | instid1(VALU_DEP_2)
	v_fma_f32 v40, 0x3fb8aa3b, v33, -v39
	v_rndne_f32_e32 v41, v39
	v_cmp_nlt_f32_e32 vcc_lo, 0x42b17218, v35
	v_dual_sub_f32 v37, v39, v41 :: v_dual_cndmask_b32 v36, 0x7f800000, v36
	s_delay_alu instid0(VALU_DEP_4) | instskip(SKIP_2) | instid1(VALU_DEP_3)
	v_fmac_f32_e32 v40, 0x32a5705f, v33
	v_cvt_i32_f32_e32 v38, v41
	v_cmp_ngt_f32_e32 vcc_lo, 0xc2ce8ed0, v33
	v_add_f32_e32 v37, v37, v40
	s_delay_alu instid0(VALU_DEP_1) | instskip(SKIP_2) | instid1(VALU_DEP_1)
	v_exp_f32_e32 v37, v37
	s_waitcnt_depctr 0xfff
	v_ldexp_f32 v37, v37, v38
	v_cndmask_b32_e32 v37, 0, v37, vcc_lo
	v_cmp_le_f32_e32 vcc_lo, 0xc1a00000, v35
	v_cndmask_b32_e32 v35, 0, v36, vcc_lo
	v_cmp_nlt_f32_e32 vcc_lo, 0x42b17218, v33
	s_delay_alu instid0(VALU_DEP_2) | instskip(SKIP_1) | instid1(VALU_DEP_2)
	v_cvt_f16_f32_e32 v36, v35
	v_cndmask_b32_e32 v33, 0x7f800000, v37, vcc_lo
	v_pk_mul_f16 v24, v36, v24 op_sel_hi:[0,1]
	s_delay_alu instid0(VALU_DEP_2)
	v_fmac_f32_e32 v33, v32, v35
	v_pk_mul_f16 v25, v36, v25 op_sel_hi:[0,1]
	v_pk_mul_f16 v26, v36, v26 op_sel_hi:[0,1]
	;; [unrolled: 1-line block ×4, first 2 shown]
	v_mov_b32_e32 v32, v33
	v_pk_mul_f16 v29, v36, v29 op_sel_hi:[0,1]
	v_pk_mul_f16 v30, v36, v30 op_sel_hi:[0,1]
	;; [unrolled: 1-line block ×27, first 2 shown]
.LBB24_185:                             ;   in Loop: Header=BB24_12 Depth=1
	s_or_b32 exec_lo, exec_lo, s3
	s_and_saveexec_b32 s3, s2
	s_cbranch_execz .LBB24_187
; %bb.186:                              ;   in Loop: Header=BB24_12 Depth=1
	v_add_nc_u32_e32 v33, 0, v227
	ds_store_2addr_b32 v33, v69, v32 offset0:64 offset1:65
.LBB24_187:                             ;   in Loop: Header=BB24_12 Depth=1
	s_or_b32 exec_lo, exec_lo, s3
	s_waitcnt lgkmcnt(0)
	s_barrier
	buffer_gl0_inv
	s_and_saveexec_b32 s3, s1
	s_delay_alu instid0(SALU_CYCLE_1)
	s_xor_b32 s3, exec_lo, s3
	s_cbranch_execz .LBB24_189
; %bb.188:                              ;   in Loop: Header=BB24_12 Depth=1
	s_barrier
	buffer_gl0_inv
                                        ; implicit-def: $vgpr68
.LBB24_189:                             ;   in Loop: Header=BB24_12 Depth=1
	s_and_not1_saveexec_b32 s3, s3
	s_cbranch_execz .LBB24_191
; %bb.190:                              ;   in Loop: Header=BB24_12 Depth=1
	v_add_nc_u32_e32 v36, 0, v228
	ds_load_b64 v[32:33], v36 offset:256
	s_waitcnt lgkmcnt(0)
	s_barrier
	buffer_gl0_inv
	ds_bpermute_b32 v34, v68, v32
	s_waitcnt lgkmcnt(0)
	v_dual_max_f32 v35, v32, v32 :: v_dual_max_f32 v34, v34, v34
	s_delay_alu instid0(VALU_DEP_1) | instskip(NEXT) | instid1(VALU_DEP_1)
	v_max_f32_e32 v34, v35, v34
	v_sub_f32_e32 v32, v32, v34
	s_delay_alu instid0(VALU_DEP_1) | instskip(SKIP_1) | instid1(VALU_DEP_2)
	v_mul_f32_e32 v34, 0x3fb8aa3b, v32
	v_cmp_ngt_f32_e32 vcc_lo, 0xc2ce8ed0, v32
	v_fma_f32 v35, 0x3fb8aa3b, v32, -v34
	v_rndne_f32_e32 v37, v34
	s_delay_alu instid0(VALU_DEP_1) | instskip(NEXT) | instid1(VALU_DEP_1)
	v_dual_fmac_f32 v35, 0x32a5705f, v32 :: v_dual_sub_f32 v34, v34, v37
	v_add_f32_e32 v34, v34, v35
	v_cvt_i32_f32_e32 v35, v37
	s_delay_alu instid0(VALU_DEP_2) | instskip(SKIP_2) | instid1(VALU_DEP_1)
	v_exp_f32_e32 v34, v34
	s_waitcnt_depctr 0xfff
	v_ldexp_f32 v34, v34, v35
	v_cndmask_b32_e32 v34, 0, v34, vcc_lo
	v_cmp_nlt_f32_e32 vcc_lo, 0x42b17218, v32
	s_delay_alu instid0(VALU_DEP_2) | instskip(NEXT) | instid1(VALU_DEP_1)
	v_cndmask_b32_e32 v34, 0x7f800000, v34, vcc_lo
	v_mul_f32_e32 v32, v33, v34
	ds_bpermute_b32 v35, v68, v32
	s_waitcnt lgkmcnt(0)
	v_fmac_f32_e32 v35, v33, v34
	ds_store_b64 v36, v[34:35] offset:256
.LBB24_191:                             ;   in Loop: Header=BB24_12 Depth=1
	s_or_b32 exec_lo, exec_lo, s3
	ds_store_2addr_b32 v232, v24, v25 offset1:2
	ds_store_2addr_b32 v232, v26, v27 offset0:4 offset1:6
	ds_store_2addr_b32 v232, v28, v29 offset0:8 offset1:10
	;; [unrolled: 1-line block ×15, first 2 shown]
	s_waitcnt lgkmcnt(0)
	s_barrier
	buffer_gl0_inv
	s_and_saveexec_b32 s7, s0
	s_cbranch_execz .LBB24_10
; %bb.192:                              ;   in Loop: Header=BB24_12 Depth=1
	s_clause 0x1
	scratch_load_b32 v0, off, off offset:248
	scratch_load_b64 v[1:2], off, off offset:188
	s_waitcnt vmcnt(1)
	v_add_nc_u32_e32 v0, s74, v0
	s_waitcnt vmcnt(0)
	v_or_b32_e32 v1, s94, v1
	s_delay_alu instid0(VALU_DEP_1) | instskip(SKIP_2) | instid1(VALU_DEP_3)
	v_cmp_gt_i32_e64 s3, s33, v1
	v_mov_b32_e32 v1, 0x47
	v_cmp_gt_i32_e32 vcc_lo, s8, v0
	s_and_b32 s4, vcc_lo, s3
	s_delay_alu instid0(SALU_CYCLE_1)
	s_and_saveexec_b32 s14, s4
	s_cbranch_execz .LBB24_194
; %bb.193:                              ;   in Loop: Header=BB24_12 Depth=1
	s_clause 0x1
	scratch_load_b32 v1, off, off offset:280
	scratch_load_b32 v6, off, off offset:284
	s_waitcnt vmcnt(1)
	v_add_nc_u32_e32 v5, 0, v1
	s_waitcnt vmcnt(0)
	ds_load_2addr_b32 v[1:2], v6 offset1:32
	ds_load_2addr_b32 v[3:4], v5 offset0:64 offset1:65
	ds_load_b32 v6, v6 offset:4352
	ds_load_b32 v5, v5 offset:4608
	s_clause 0x1
	scratch_load_b32 v7, off, off offset:288
	scratch_load_b64 v[12:13], off, off offset:188
	s_waitcnt lgkmcnt(2)
	v_fma_mix_f32 v8, v3, v1, 0 op_sel_hi:[0,1,0]
	v_fma_mix_f32 v1, v3, v1, 0 op_sel:[0,1,0] op_sel_hi:[0,1,0]
	v_fma_mix_f32 v9, v3, v2, 0 op_sel_hi:[0,1,0]
	v_fma_mix_f32 v2, v3, v2, 0 op_sel:[0,1,0] op_sel_hi:[0,1,0]
	s_waitcnt lgkmcnt(0)
	v_fma_mix_f32 v3, v5, v6, v8 op_sel_hi:[0,1,0]
	v_fma_mix_f32 v6, v5, v6, v1 op_sel:[0,1,0] op_sel_hi:[0,1,0]
	s_delay_alu instid0(VALU_DEP_2) | instskip(NEXT) | instid1(VALU_DEP_2)
	v_div_scale_f32 v15, vcc_lo, v3, v4, v3
	v_div_scale_f32 v16, s4, v6, v4, v6
	s_waitcnt vmcnt(1)
	ds_load_b32 v7, v7 offset:4352
	s_waitcnt lgkmcnt(0)
	v_fma_mix_f32 v8, v5, v7, v9 op_sel_hi:[0,1,0]
	v_fma_mix_f32 v9, v5, v7, v2 op_sel:[0,1,0] op_sel_hi:[0,1,0]
	v_div_scale_f32 v5, null, v4, v4, v3
	v_div_scale_f32 v7, null, v4, v4, v6
	s_waitcnt vmcnt(0)
	v_mad_u64_u32 v[1:2], null, v0, s9, v[12:13]
	v_div_scale_f32 v10, null, v4, v4, v8
	v_rcp_f32_e32 v2, v5
	v_rcp_f32_e32 v12, v7
	v_div_scale_f32 v11, null, v4, v4, v9
	s_delay_alu instid0(VALU_DEP_2) | instskip(SKIP_1) | instid1(VALU_DEP_2)
	v_rcp_f32_e32 v13, v10
	v_div_scale_f32 v17, s5, v8, v4, v8
	v_rcp_f32_e32 v14, v11
	v_div_scale_f32 v21, s6, v9, v4, v9
	v_fma_f32 v0, -v5, v2, 1.0
	s_delay_alu instid0(TRANS32_DEP_3)
	v_fma_f32 v18, -v7, v12, 1.0
	s_waitcnt_depctr 0xfff
	v_fma_f32 v19, -v10, v13, 1.0
	v_fmac_f32_e32 v2, v0, v2
	v_fmac_f32_e32 v12, v18, v12
	v_fma_f32 v20, -v11, v14, 1.0
	v_lshl_add_u32 v0, v1, 6, v222
	v_fmac_f32_e32 v13, v19, v13
	s_delay_alu instid0(VALU_DEP_4) | instskip(NEXT) | instid1(VALU_DEP_4)
	v_dual_mul_f32 v18, v15, v2 :: v_dual_mul_f32 v19, v16, v12
	v_fmac_f32_e32 v14, v20, v14
	s_delay_alu instid0(VALU_DEP_4) | instskip(NEXT) | instid1(VALU_DEP_3)
	v_ashrrev_i32_e32 v1, 31, v0
	v_fma_f32 v23, -v5, v18, v15
	s_delay_alu instid0(VALU_DEP_4) | instskip(SKIP_3) | instid1(VALU_DEP_4)
	v_fma_f32 v24, -v7, v19, v16
	v_mul_f32_e32 v20, v17, v13
	v_mul_f32_e32 v22, v21, v14
	v_lshlrev_b64 v[0:1], 3, v[0:1]
	v_dual_fmac_f32 v18, v23, v2 :: v_dual_fmac_f32 v19, v24, v12
	s_delay_alu instid0(VALU_DEP_4) | instskip(NEXT) | instid1(VALU_DEP_4)
	v_fma_f32 v25, -v10, v20, v17
	v_fma_f32 v26, -v11, v22, v21
	s_delay_alu instid0(VALU_DEP_3) | instskip(NEXT) | instid1(VALU_DEP_4)
	v_fma_f32 v5, -v5, v18, v15
	v_fma_f32 v7, -v7, v19, v16
	s_delay_alu instid0(VALU_DEP_4) | instskip(NEXT) | instid1(VALU_DEP_4)
	v_fmac_f32_e32 v20, v25, v13
	v_fmac_f32_e32 v22, v26, v14
	s_delay_alu instid0(VALU_DEP_4) | instskip(SKIP_1) | instid1(VALU_DEP_3)
	v_div_fmas_f32 v2, v5, v2, v18
	s_mov_b32 vcc_lo, s4
	v_fma_f32 v10, -v10, v20, v17
	s_delay_alu instid0(VALU_DEP_3)
	v_fma_f32 v11, -v11, v22, v21
	v_div_fmas_f32 v5, v7, v12, v19
	s_mov_b32 vcc_lo, s5
	v_div_fixup_f32 v2, v2, v4, v3
	v_div_fmas_f32 v7, v10, v13, v20
	s_mov_b32 vcc_lo, s6
	v_div_fixup_f32 v3, v5, v4, v6
	v_div_fmas_f32 v10, v11, v14, v22
	v_add_co_u32 v5, vcc_lo, s83, v0
	v_add_co_ci_u32_e32 v6, vcc_lo, s67, v1, vcc_lo
	v_mov_b32_e32 v1, 0
	v_div_fixup_f32 v7, v7, v4, v8
	v_div_fixup_f32 v8, v10, v4, v9
	s_clause 0x1
	global_store_b64 v[5:6], v[2:3], off
	global_store_b64 v[5:6], v[7:8], off offset:256
.LBB24_194:                             ;   in Loop: Header=BB24_12 Depth=1
	s_or_b32 exec_lo, exec_lo, s14
	s_mov_b32 s4, -1
	s_mov_b32 s5, exec_lo
	v_cmpx_gt_i32_e32 0x47, v1
; %bb.195:                              ;   in Loop: Header=BB24_12 Depth=1
	v_cmp_eq_u32_e32 vcc_lo, 0, v1
	s_or_not1_b32 s4, vcc_lo, exec_lo
; %bb.196:                              ;   in Loop: Header=BB24_12 Depth=1
	s_or_b32 exec_lo, exec_lo, s5
	s_delay_alu instid0(SALU_CYCLE_1)
	s_and_b32 exec_lo, exec_lo, s4
	s_cbranch_execz .LBB24_10
; %bb.197:                              ;   in Loop: Header=BB24_12 Depth=1
	s_clause 0x1
	scratch_load_b32 v0, off, off offset:292
	scratch_load_b64 v[1:2], off, off offset:268
	s_waitcnt vmcnt(1)
	v_add_nc_u32_e32 v0, s74, v0
	s_waitcnt vmcnt(0)
	v_or_b32_e32 v1, s94, v1
	s_delay_alu instid0(VALU_DEP_1) | instskip(SKIP_2) | instid1(VALU_DEP_3)
	v_cmp_gt_i32_e64 s4, s33, v1
	v_mov_b32_e32 v1, 0x47
	v_cmp_gt_i32_e32 vcc_lo, s8, v0
	s_and_b32 s4, vcc_lo, s4
	s_delay_alu instid0(SALU_CYCLE_1)
	s_and_saveexec_b32 s14, s4
	s_cbranch_execz .LBB24_199
; %bb.198:                              ;   in Loop: Header=BB24_12 Depth=1
	s_clause 0x1
	scratch_load_b32 v1, off, off offset:512
	scratch_load_b32 v6, off, off offset:516
	s_waitcnt vmcnt(1)
	v_add_nc_u32_e32 v5, 0, v1
	s_waitcnt vmcnt(0)
	ds_load_2addr_b32 v[1:2], v6 offset1:32
	ds_load_2addr_b32 v[3:4], v5 offset0:64 offset1:65
	ds_load_b32 v6, v6 offset:4352
	ds_load_b32 v5, v5 offset:4608
	s_clause 0x1
	scratch_load_b32 v7, off, off offset:520
	scratch_load_b64 v[12:13], off, off offset:268
	s_waitcnt lgkmcnt(2)
	v_fma_mix_f32 v8, v3, v1, 0 op_sel_hi:[0,1,0]
	v_fma_mix_f32 v1, v3, v1, 0 op_sel:[0,1,0] op_sel_hi:[0,1,0]
	v_fma_mix_f32 v9, v3, v2, 0 op_sel_hi:[0,1,0]
	v_fma_mix_f32 v2, v3, v2, 0 op_sel:[0,1,0] op_sel_hi:[0,1,0]
	s_waitcnt lgkmcnt(0)
	v_fma_mix_f32 v3, v5, v6, v8 op_sel_hi:[0,1,0]
	v_fma_mix_f32 v6, v5, v6, v1 op_sel:[0,1,0] op_sel_hi:[0,1,0]
	s_delay_alu instid0(VALU_DEP_2) | instskip(NEXT) | instid1(VALU_DEP_2)
	v_div_scale_f32 v15, vcc_lo, v3, v4, v3
	v_div_scale_f32 v16, s4, v6, v4, v6
	s_waitcnt vmcnt(1)
	ds_load_b32 v7, v7 offset:4352
	s_waitcnt lgkmcnt(0)
	v_fma_mix_f32 v8, v5, v7, v9 op_sel_hi:[0,1,0]
	v_fma_mix_f32 v9, v5, v7, v2 op_sel:[0,1,0] op_sel_hi:[0,1,0]
	v_div_scale_f32 v5, null, v4, v4, v3
	v_div_scale_f32 v7, null, v4, v4, v6
	s_waitcnt vmcnt(0)
	v_mad_u64_u32 v[1:2], null, v0, s9, v[12:13]
	v_div_scale_f32 v10, null, v4, v4, v8
	v_rcp_f32_e32 v2, v5
	v_rcp_f32_e32 v12, v7
	v_div_scale_f32 v11, null, v4, v4, v9
	s_delay_alu instid0(VALU_DEP_2) | instskip(SKIP_1) | instid1(VALU_DEP_2)
	v_rcp_f32_e32 v13, v10
	v_div_scale_f32 v17, s5, v8, v4, v8
	v_rcp_f32_e32 v14, v11
	v_div_scale_f32 v21, s6, v9, v4, v9
	v_fma_f32 v0, -v5, v2, 1.0
	s_delay_alu instid0(TRANS32_DEP_3)
	v_fma_f32 v18, -v7, v12, 1.0
	s_waitcnt_depctr 0xfff
	v_fma_f32 v19, -v10, v13, 1.0
	v_fmac_f32_e32 v2, v0, v2
	v_fmac_f32_e32 v12, v18, v12
	v_fma_f32 v20, -v11, v14, 1.0
	v_lshl_add_u32 v0, v1, 6, v222
	v_fmac_f32_e32 v13, v19, v13
	s_delay_alu instid0(VALU_DEP_4) | instskip(NEXT) | instid1(VALU_DEP_4)
	v_dual_mul_f32 v18, v15, v2 :: v_dual_mul_f32 v19, v16, v12
	v_fmac_f32_e32 v14, v20, v14
	s_delay_alu instid0(VALU_DEP_4) | instskip(NEXT) | instid1(VALU_DEP_3)
	v_ashrrev_i32_e32 v1, 31, v0
	v_fma_f32 v23, -v5, v18, v15
	s_delay_alu instid0(VALU_DEP_4) | instskip(SKIP_3) | instid1(VALU_DEP_4)
	v_fma_f32 v24, -v7, v19, v16
	v_mul_f32_e32 v20, v17, v13
	v_mul_f32_e32 v22, v21, v14
	v_lshlrev_b64 v[0:1], 3, v[0:1]
	v_dual_fmac_f32 v18, v23, v2 :: v_dual_fmac_f32 v19, v24, v12
	s_delay_alu instid0(VALU_DEP_4) | instskip(NEXT) | instid1(VALU_DEP_4)
	v_fma_f32 v25, -v10, v20, v17
	v_fma_f32 v26, -v11, v22, v21
	s_delay_alu instid0(VALU_DEP_3) | instskip(NEXT) | instid1(VALU_DEP_4)
	v_fma_f32 v5, -v5, v18, v15
	v_fma_f32 v7, -v7, v19, v16
	s_delay_alu instid0(VALU_DEP_4) | instskip(NEXT) | instid1(VALU_DEP_4)
	v_fmac_f32_e32 v20, v25, v13
	v_fmac_f32_e32 v22, v26, v14
	s_delay_alu instid0(VALU_DEP_4) | instskip(SKIP_1) | instid1(VALU_DEP_3)
	v_div_fmas_f32 v2, v5, v2, v18
	s_mov_b32 vcc_lo, s4
	v_fma_f32 v10, -v10, v20, v17
	s_delay_alu instid0(VALU_DEP_3)
	v_fma_f32 v11, -v11, v22, v21
	v_div_fmas_f32 v5, v7, v12, v19
	s_mov_b32 vcc_lo, s5
	v_div_fixup_f32 v2, v2, v4, v3
	v_div_fmas_f32 v7, v10, v13, v20
	s_mov_b32 vcc_lo, s6
	v_div_fixup_f32 v3, v5, v4, v6
	v_div_fmas_f32 v10, v11, v14, v22
	v_add_co_u32 v5, vcc_lo, s83, v0
	v_add_co_ci_u32_e32 v6, vcc_lo, s67, v1, vcc_lo
	v_mov_b32_e32 v1, 0
	v_div_fixup_f32 v7, v7, v4, v8
	v_div_fixup_f32 v8, v10, v4, v9
	s_clause 0x1
	global_store_b64 v[5:6], v[2:3], off
	global_store_b64 v[5:6], v[7:8], off offset:256
.LBB24_199:                             ;   in Loop: Header=BB24_12 Depth=1
	s_or_b32 exec_lo, exec_lo, s14
	s_mov_b32 s4, -1
	s_mov_b32 s5, exec_lo
	v_cmpx_gt_i32_e32 0x47, v1
; %bb.200:                              ;   in Loop: Header=BB24_12 Depth=1
	v_cmp_eq_u32_e32 vcc_lo, 0, v1
	s_or_not1_b32 s4, vcc_lo, exec_lo
; %bb.201:                              ;   in Loop: Header=BB24_12 Depth=1
	s_or_b32 exec_lo, exec_lo, s5
	s_delay_alu instid0(SALU_CYCLE_1)
	s_and_b32 exec_lo, exec_lo, s4
	s_cbranch_execz .LBB24_10
; %bb.202:                              ;   in Loop: Header=BB24_12 Depth=1
	scratch_load_b32 v0, off, off offset:524 ; 4-byte Folded Reload
	s_waitcnt vmcnt(0)
	v_dual_mov_b32 v1, 0x47 :: v_dual_add_nc_u32 v0, s74, v0
	s_delay_alu instid0(VALU_DEP_1) | instskip(SKIP_1) | instid1(SALU_CYCLE_1)
	v_cmp_gt_i32_e32 vcc_lo, s8, v0
	s_and_b32 s4, vcc_lo, s3
	s_and_saveexec_b32 s14, s4
	s_cbranch_execz .LBB24_204
; %bb.203:                              ;   in Loop: Header=BB24_12 Depth=1
	s_clause 0x1
	scratch_load_b32 v1, off, off offset:536
	scratch_load_b32 v6, off, off offset:540
	s_waitcnt vmcnt(1)
	v_add_nc_u32_e32 v5, 0, v1
	s_waitcnt vmcnt(0)
	ds_load_2addr_b32 v[1:2], v6 offset1:32
	ds_load_2addr_b32 v[3:4], v5 offset0:64 offset1:65
	ds_load_b32 v6, v6 offset:4352
	ds_load_b32 v5, v5 offset:4608
	s_clause 0x1
	scratch_load_b32 v7, off, off offset:544
	scratch_load_b64 v[12:13], off, off offset:188
	s_waitcnt lgkmcnt(2)
	v_fma_mix_f32 v8, v3, v1, 0 op_sel_hi:[0,1,0]
	v_fma_mix_f32 v1, v3, v1, 0 op_sel:[0,1,0] op_sel_hi:[0,1,0]
	v_fma_mix_f32 v9, v3, v2, 0 op_sel_hi:[0,1,0]
	v_fma_mix_f32 v2, v3, v2, 0 op_sel:[0,1,0] op_sel_hi:[0,1,0]
	s_waitcnt lgkmcnt(0)
	v_fma_mix_f32 v3, v5, v6, v8 op_sel_hi:[0,1,0]
	v_fma_mix_f32 v6, v5, v6, v1 op_sel:[0,1,0] op_sel_hi:[0,1,0]
	s_delay_alu instid0(VALU_DEP_2) | instskip(NEXT) | instid1(VALU_DEP_2)
	v_div_scale_f32 v15, vcc_lo, v3, v4, v3
	v_div_scale_f32 v16, s4, v6, v4, v6
	s_waitcnt vmcnt(1)
	ds_load_b32 v7, v7 offset:4352
	s_waitcnt lgkmcnt(0)
	v_fma_mix_f32 v8, v5, v7, v9 op_sel_hi:[0,1,0]
	v_fma_mix_f32 v9, v5, v7, v2 op_sel:[0,1,0] op_sel_hi:[0,1,0]
	v_div_scale_f32 v5, null, v4, v4, v3
	v_div_scale_f32 v7, null, v4, v4, v6
	s_waitcnt vmcnt(0)
	v_mad_u64_u32 v[1:2], null, v0, s9, v[12:13]
	v_div_scale_f32 v10, null, v4, v4, v8
	v_rcp_f32_e32 v2, v5
	v_rcp_f32_e32 v12, v7
	v_div_scale_f32 v11, null, v4, v4, v9
	s_delay_alu instid0(VALU_DEP_2) | instskip(SKIP_1) | instid1(VALU_DEP_2)
	v_rcp_f32_e32 v13, v10
	v_div_scale_f32 v17, s5, v8, v4, v8
	v_rcp_f32_e32 v14, v11
	v_div_scale_f32 v21, s6, v9, v4, v9
	v_fma_f32 v0, -v5, v2, 1.0
	s_delay_alu instid0(TRANS32_DEP_3)
	v_fma_f32 v18, -v7, v12, 1.0
	s_waitcnt_depctr 0xfff
	v_fma_f32 v19, -v10, v13, 1.0
	v_fmac_f32_e32 v2, v0, v2
	v_fmac_f32_e32 v12, v18, v12
	v_fma_f32 v20, -v11, v14, 1.0
	v_lshl_add_u32 v0, v1, 6, v222
	v_fmac_f32_e32 v13, v19, v13
	s_delay_alu instid0(VALU_DEP_4) | instskip(NEXT) | instid1(VALU_DEP_4)
	v_dual_mul_f32 v18, v15, v2 :: v_dual_mul_f32 v19, v16, v12
	v_fmac_f32_e32 v14, v20, v14
	s_delay_alu instid0(VALU_DEP_4) | instskip(NEXT) | instid1(VALU_DEP_3)
	v_ashrrev_i32_e32 v1, 31, v0
	v_fma_f32 v23, -v5, v18, v15
	s_delay_alu instid0(VALU_DEP_4) | instskip(SKIP_3) | instid1(VALU_DEP_4)
	v_fma_f32 v24, -v7, v19, v16
	v_mul_f32_e32 v20, v17, v13
	v_mul_f32_e32 v22, v21, v14
	v_lshlrev_b64 v[0:1], 3, v[0:1]
	v_dual_fmac_f32 v18, v23, v2 :: v_dual_fmac_f32 v19, v24, v12
	s_delay_alu instid0(VALU_DEP_4) | instskip(NEXT) | instid1(VALU_DEP_4)
	v_fma_f32 v25, -v10, v20, v17
	v_fma_f32 v26, -v11, v22, v21
	s_delay_alu instid0(VALU_DEP_3) | instskip(NEXT) | instid1(VALU_DEP_4)
	v_fma_f32 v5, -v5, v18, v15
	v_fma_f32 v7, -v7, v19, v16
	s_delay_alu instid0(VALU_DEP_4) | instskip(NEXT) | instid1(VALU_DEP_4)
	v_fmac_f32_e32 v20, v25, v13
	v_fmac_f32_e32 v22, v26, v14
	s_delay_alu instid0(VALU_DEP_4) | instskip(SKIP_1) | instid1(VALU_DEP_3)
	v_div_fmas_f32 v2, v5, v2, v18
	s_mov_b32 vcc_lo, s4
	v_fma_f32 v10, -v10, v20, v17
	s_delay_alu instid0(VALU_DEP_3)
	v_fma_f32 v11, -v11, v22, v21
	v_div_fmas_f32 v5, v7, v12, v19
	s_mov_b32 vcc_lo, s5
	v_div_fixup_f32 v2, v2, v4, v3
	v_div_fmas_f32 v7, v10, v13, v20
	s_mov_b32 vcc_lo, s6
	v_div_fixup_f32 v3, v5, v4, v6
	v_div_fmas_f32 v10, v11, v14, v22
	v_add_co_u32 v5, vcc_lo, s83, v0
	v_add_co_ci_u32_e32 v6, vcc_lo, s67, v1, vcc_lo
	v_mov_b32_e32 v1, 0
	v_div_fixup_f32 v7, v7, v4, v8
	v_div_fixup_f32 v8, v10, v4, v9
	s_clause 0x1
	global_store_b64 v[5:6], v[2:3], off
	global_store_b64 v[5:6], v[7:8], off offset:256
.LBB24_204:                             ;   in Loop: Header=BB24_12 Depth=1
	s_or_b32 exec_lo, exec_lo, s14
	s_mov_b32 s4, -1
	s_mov_b32 s5, exec_lo
	v_cmpx_gt_i32_e32 0x47, v1
; %bb.205:                              ;   in Loop: Header=BB24_12 Depth=1
	v_cmp_eq_u32_e32 vcc_lo, 0, v1
	s_or_not1_b32 s4, vcc_lo, exec_lo
; %bb.206:                              ;   in Loop: Header=BB24_12 Depth=1
	s_or_b32 exec_lo, exec_lo, s5
	s_delay_alu instid0(SALU_CYCLE_1)
	s_and_b32 exec_lo, exec_lo, s4
	s_cbranch_execz .LBB24_10
; %bb.207:                              ;   in Loop: Header=BB24_12 Depth=1
	s_clause 0x1
	scratch_load_b32 v0, off, off offset:548
	scratch_load_b64 v[1:2], off, off offset:528
	s_waitcnt vmcnt(1)
	v_add_nc_u32_e32 v0, s74, v0
	s_waitcnt vmcnt(0)
	v_or_b32_e32 v1, s94, v1
	s_delay_alu instid0(VALU_DEP_1) | instskip(SKIP_2) | instid1(VALU_DEP_3)
	v_cmp_gt_i32_e64 s4, s33, v1
	v_mov_b32_e32 v1, 0x47
	v_cmp_gt_i32_e32 vcc_lo, s8, v0
	s_and_b32 s4, vcc_lo, s4
	s_delay_alu instid0(SALU_CYCLE_1)
	s_and_saveexec_b32 s14, s4
	s_cbranch_execz .LBB24_209
; %bb.208:                              ;   in Loop: Header=BB24_12 Depth=1
	s_clause 0x1
	scratch_load_b32 v1, off, off offset:560
	scratch_load_b32 v6, off, off offset:564
	s_waitcnt vmcnt(1)
	v_add_nc_u32_e32 v5, 0, v1
	s_waitcnt vmcnt(0)
	ds_load_2addr_b32 v[1:2], v6 offset1:32
	ds_load_2addr_b32 v[3:4], v5 offset0:64 offset1:65
	ds_load_b32 v6, v6 offset:4352
	ds_load_b32 v5, v5 offset:4608
	s_clause 0x1
	scratch_load_b32 v7, off, off offset:568
	scratch_load_b64 v[12:13], off, off offset:528
	s_waitcnt lgkmcnt(2)
	v_fma_mix_f32 v8, v3, v1, 0 op_sel_hi:[0,1,0]
	v_fma_mix_f32 v1, v3, v1, 0 op_sel:[0,1,0] op_sel_hi:[0,1,0]
	v_fma_mix_f32 v9, v3, v2, 0 op_sel_hi:[0,1,0]
	v_fma_mix_f32 v2, v3, v2, 0 op_sel:[0,1,0] op_sel_hi:[0,1,0]
	s_waitcnt lgkmcnt(0)
	v_fma_mix_f32 v3, v5, v6, v8 op_sel_hi:[0,1,0]
	v_fma_mix_f32 v6, v5, v6, v1 op_sel:[0,1,0] op_sel_hi:[0,1,0]
	s_delay_alu instid0(VALU_DEP_2) | instskip(NEXT) | instid1(VALU_DEP_2)
	v_div_scale_f32 v15, vcc_lo, v3, v4, v3
	v_div_scale_f32 v16, s4, v6, v4, v6
	s_waitcnt vmcnt(1)
	ds_load_b32 v7, v7 offset:4352
	s_waitcnt lgkmcnt(0)
	v_fma_mix_f32 v8, v5, v7, v9 op_sel_hi:[0,1,0]
	v_fma_mix_f32 v9, v5, v7, v2 op_sel:[0,1,0] op_sel_hi:[0,1,0]
	v_div_scale_f32 v5, null, v4, v4, v3
	v_div_scale_f32 v7, null, v4, v4, v6
	s_waitcnt vmcnt(0)
	v_mad_u64_u32 v[1:2], null, v0, s9, v[12:13]
	v_div_scale_f32 v10, null, v4, v4, v8
	v_rcp_f32_e32 v2, v5
	v_rcp_f32_e32 v12, v7
	v_div_scale_f32 v11, null, v4, v4, v9
	s_delay_alu instid0(VALU_DEP_2) | instskip(SKIP_1) | instid1(VALU_DEP_2)
	v_rcp_f32_e32 v13, v10
	v_div_scale_f32 v17, s5, v8, v4, v8
	v_rcp_f32_e32 v14, v11
	v_div_scale_f32 v21, s6, v9, v4, v9
	v_fma_f32 v0, -v5, v2, 1.0
	s_delay_alu instid0(TRANS32_DEP_3)
	v_fma_f32 v18, -v7, v12, 1.0
	s_waitcnt_depctr 0xfff
	v_fma_f32 v19, -v10, v13, 1.0
	v_fmac_f32_e32 v2, v0, v2
	v_fmac_f32_e32 v12, v18, v12
	v_fma_f32 v20, -v11, v14, 1.0
	v_lshl_add_u32 v0, v1, 6, v222
	v_fmac_f32_e32 v13, v19, v13
	s_delay_alu instid0(VALU_DEP_4) | instskip(NEXT) | instid1(VALU_DEP_4)
	v_dual_mul_f32 v18, v15, v2 :: v_dual_mul_f32 v19, v16, v12
	v_fmac_f32_e32 v14, v20, v14
	s_delay_alu instid0(VALU_DEP_4) | instskip(NEXT) | instid1(VALU_DEP_3)
	v_ashrrev_i32_e32 v1, 31, v0
	v_fma_f32 v23, -v5, v18, v15
	s_delay_alu instid0(VALU_DEP_4) | instskip(SKIP_3) | instid1(VALU_DEP_4)
	v_fma_f32 v24, -v7, v19, v16
	v_mul_f32_e32 v20, v17, v13
	v_mul_f32_e32 v22, v21, v14
	v_lshlrev_b64 v[0:1], 3, v[0:1]
	v_dual_fmac_f32 v18, v23, v2 :: v_dual_fmac_f32 v19, v24, v12
	s_delay_alu instid0(VALU_DEP_4) | instskip(NEXT) | instid1(VALU_DEP_4)
	v_fma_f32 v25, -v10, v20, v17
	v_fma_f32 v26, -v11, v22, v21
	s_delay_alu instid0(VALU_DEP_3) | instskip(NEXT) | instid1(VALU_DEP_4)
	v_fma_f32 v5, -v5, v18, v15
	v_fma_f32 v7, -v7, v19, v16
	s_delay_alu instid0(VALU_DEP_4) | instskip(NEXT) | instid1(VALU_DEP_4)
	v_fmac_f32_e32 v20, v25, v13
	v_fmac_f32_e32 v22, v26, v14
	s_delay_alu instid0(VALU_DEP_4) | instskip(SKIP_1) | instid1(VALU_DEP_3)
	v_div_fmas_f32 v2, v5, v2, v18
	s_mov_b32 vcc_lo, s4
	v_fma_f32 v10, -v10, v20, v17
	s_delay_alu instid0(VALU_DEP_3)
	v_fma_f32 v11, -v11, v22, v21
	v_div_fmas_f32 v5, v7, v12, v19
	s_mov_b32 vcc_lo, s5
	v_div_fixup_f32 v2, v2, v4, v3
	v_div_fmas_f32 v7, v10, v13, v20
	s_mov_b32 vcc_lo, s6
	v_div_fixup_f32 v3, v5, v4, v6
	v_div_fmas_f32 v10, v11, v14, v22
	v_add_co_u32 v5, vcc_lo, s83, v0
	v_add_co_ci_u32_e32 v6, vcc_lo, s67, v1, vcc_lo
	v_mov_b32_e32 v1, 0
	v_div_fixup_f32 v7, v7, v4, v8
	v_div_fixup_f32 v8, v10, v4, v9
	s_clause 0x1
	global_store_b64 v[5:6], v[2:3], off
	global_store_b64 v[5:6], v[7:8], off offset:256
.LBB24_209:                             ;   in Loop: Header=BB24_12 Depth=1
	s_or_b32 exec_lo, exec_lo, s14
	s_mov_b32 s4, -1
	s_mov_b32 s5, exec_lo
	v_cmpx_gt_i32_e32 0x47, v1
; %bb.210:                              ;   in Loop: Header=BB24_12 Depth=1
	v_cmp_eq_u32_e32 vcc_lo, 0, v1
	s_or_not1_b32 s4, vcc_lo, exec_lo
; %bb.211:                              ;   in Loop: Header=BB24_12 Depth=1
	s_or_b32 exec_lo, exec_lo, s5
	s_delay_alu instid0(SALU_CYCLE_1)
	s_and_b32 exec_lo, exec_lo, s4
	s_cbranch_execz .LBB24_10
; %bb.212:                              ;   in Loop: Header=BB24_12 Depth=1
	scratch_load_b32 v0, off, off offset:572 ; 4-byte Folded Reload
	s_waitcnt vmcnt(0)
	v_dual_mov_b32 v1, 0x47 :: v_dual_add_nc_u32 v0, s74, v0
	s_delay_alu instid0(VALU_DEP_1) | instskip(SKIP_1) | instid1(SALU_CYCLE_1)
	v_cmp_gt_i32_e32 vcc_lo, s8, v0
	s_and_b32 s4, vcc_lo, s3
	s_and_saveexec_b32 s14, s4
	s_cbranch_execz .LBB24_214
; %bb.213:                              ;   in Loop: Header=BB24_12 Depth=1
	s_clause 0x1
	scratch_load_b32 v1, off, off offset:608
	scratch_load_b32 v6, off, off offset:612
	s_waitcnt vmcnt(1)
	v_add_nc_u32_e32 v5, 0, v1
	s_waitcnt vmcnt(0)
	ds_load_2addr_b32 v[1:2], v6 offset1:32
	ds_load_2addr_b32 v[3:4], v5 offset0:64 offset1:65
	ds_load_b32 v6, v6 offset:4352
	ds_load_b32 v5, v5 offset:4608
	s_clause 0x1
	scratch_load_b32 v7, off, off offset:616
	scratch_load_b64 v[12:13], off, off offset:188
	s_waitcnt lgkmcnt(2)
	v_fma_mix_f32 v8, v3, v1, 0 op_sel_hi:[0,1,0]
	v_fma_mix_f32 v1, v3, v1, 0 op_sel:[0,1,0] op_sel_hi:[0,1,0]
	v_fma_mix_f32 v9, v3, v2, 0 op_sel_hi:[0,1,0]
	v_fma_mix_f32 v2, v3, v2, 0 op_sel:[0,1,0] op_sel_hi:[0,1,0]
	s_waitcnt lgkmcnt(0)
	v_fma_mix_f32 v3, v5, v6, v8 op_sel_hi:[0,1,0]
	v_fma_mix_f32 v6, v5, v6, v1 op_sel:[0,1,0] op_sel_hi:[0,1,0]
	s_delay_alu instid0(VALU_DEP_2) | instskip(NEXT) | instid1(VALU_DEP_2)
	v_div_scale_f32 v15, vcc_lo, v3, v4, v3
	v_div_scale_f32 v16, s4, v6, v4, v6
	s_waitcnt vmcnt(1)
	ds_load_b32 v7, v7 offset:4352
	s_waitcnt lgkmcnt(0)
	v_fma_mix_f32 v8, v5, v7, v9 op_sel_hi:[0,1,0]
	v_fma_mix_f32 v9, v5, v7, v2 op_sel:[0,1,0] op_sel_hi:[0,1,0]
	v_div_scale_f32 v5, null, v4, v4, v3
	v_div_scale_f32 v7, null, v4, v4, v6
	s_waitcnt vmcnt(0)
	v_mad_u64_u32 v[1:2], null, v0, s9, v[12:13]
	v_div_scale_f32 v10, null, v4, v4, v8
	v_rcp_f32_e32 v2, v5
	v_rcp_f32_e32 v12, v7
	v_div_scale_f32 v11, null, v4, v4, v9
	s_delay_alu instid0(VALU_DEP_2) | instskip(SKIP_1) | instid1(VALU_DEP_2)
	v_rcp_f32_e32 v13, v10
	v_div_scale_f32 v17, s5, v8, v4, v8
	v_rcp_f32_e32 v14, v11
	v_div_scale_f32 v21, s6, v9, v4, v9
	v_fma_f32 v0, -v5, v2, 1.0
	s_delay_alu instid0(TRANS32_DEP_3)
	v_fma_f32 v18, -v7, v12, 1.0
	s_waitcnt_depctr 0xfff
	v_fma_f32 v19, -v10, v13, 1.0
	v_fmac_f32_e32 v2, v0, v2
	v_fmac_f32_e32 v12, v18, v12
	v_fma_f32 v20, -v11, v14, 1.0
	v_lshl_add_u32 v0, v1, 6, v222
	v_fmac_f32_e32 v13, v19, v13
	s_delay_alu instid0(VALU_DEP_4) | instskip(NEXT) | instid1(VALU_DEP_4)
	v_dual_mul_f32 v18, v15, v2 :: v_dual_mul_f32 v19, v16, v12
	v_fmac_f32_e32 v14, v20, v14
	s_delay_alu instid0(VALU_DEP_4) | instskip(NEXT) | instid1(VALU_DEP_3)
	v_ashrrev_i32_e32 v1, 31, v0
	v_fma_f32 v23, -v5, v18, v15
	s_delay_alu instid0(VALU_DEP_4) | instskip(SKIP_3) | instid1(VALU_DEP_4)
	v_fma_f32 v24, -v7, v19, v16
	v_mul_f32_e32 v20, v17, v13
	v_mul_f32_e32 v22, v21, v14
	v_lshlrev_b64 v[0:1], 3, v[0:1]
	v_dual_fmac_f32 v18, v23, v2 :: v_dual_fmac_f32 v19, v24, v12
	s_delay_alu instid0(VALU_DEP_4) | instskip(NEXT) | instid1(VALU_DEP_4)
	v_fma_f32 v25, -v10, v20, v17
	v_fma_f32 v26, -v11, v22, v21
	s_delay_alu instid0(VALU_DEP_3) | instskip(NEXT) | instid1(VALU_DEP_4)
	v_fma_f32 v5, -v5, v18, v15
	v_fma_f32 v7, -v7, v19, v16
	s_delay_alu instid0(VALU_DEP_4) | instskip(NEXT) | instid1(VALU_DEP_4)
	v_fmac_f32_e32 v20, v25, v13
	v_fmac_f32_e32 v22, v26, v14
	s_delay_alu instid0(VALU_DEP_4) | instskip(SKIP_1) | instid1(VALU_DEP_3)
	v_div_fmas_f32 v2, v5, v2, v18
	s_mov_b32 vcc_lo, s4
	v_fma_f32 v10, -v10, v20, v17
	s_delay_alu instid0(VALU_DEP_3)
	v_fma_f32 v11, -v11, v22, v21
	v_div_fmas_f32 v5, v7, v12, v19
	s_mov_b32 vcc_lo, s5
	v_div_fixup_f32 v2, v2, v4, v3
	v_div_fmas_f32 v7, v10, v13, v20
	s_mov_b32 vcc_lo, s6
	v_div_fixup_f32 v3, v5, v4, v6
	v_div_fmas_f32 v10, v11, v14, v22
	v_add_co_u32 v5, vcc_lo, s83, v0
	v_add_co_ci_u32_e32 v6, vcc_lo, s67, v1, vcc_lo
	v_mov_b32_e32 v1, 0
	v_div_fixup_f32 v7, v7, v4, v8
	v_div_fixup_f32 v8, v10, v4, v9
	s_clause 0x1
	global_store_b64 v[5:6], v[2:3], off
	global_store_b64 v[5:6], v[7:8], off offset:256
.LBB24_214:                             ;   in Loop: Header=BB24_12 Depth=1
	s_or_b32 exec_lo, exec_lo, s14
	s_mov_b32 s4, -1
	s_mov_b32 s5, exec_lo
	v_cmpx_gt_i32_e32 0x47, v1
; %bb.215:                              ;   in Loop: Header=BB24_12 Depth=1
	v_cmp_eq_u32_e32 vcc_lo, 0, v1
	s_or_not1_b32 s4, vcc_lo, exec_lo
; %bb.216:                              ;   in Loop: Header=BB24_12 Depth=1
	s_or_b32 exec_lo, exec_lo, s5
	s_delay_alu instid0(SALU_CYCLE_1)
	s_and_b32 exec_lo, exec_lo, s4
	s_cbranch_execz .LBB24_10
; %bb.217:                              ;   in Loop: Header=BB24_12 Depth=1
	s_clause 0x1
	scratch_load_b32 v0, off, off offset:620
	scratch_load_b64 v[1:2], off, off offset:600
	s_waitcnt vmcnt(1)
	v_add_nc_u32_e32 v0, s74, v0
	s_waitcnt vmcnt(0)
	v_or_b32_e32 v1, s94, v1
	s_delay_alu instid0(VALU_DEP_1) | instskip(SKIP_2) | instid1(VALU_DEP_3)
	v_cmp_gt_i32_e64 s4, s33, v1
	v_mov_b32_e32 v1, 0x47
	v_cmp_gt_i32_e32 vcc_lo, s8, v0
	s_and_b32 s4, vcc_lo, s4
	s_delay_alu instid0(SALU_CYCLE_1)
	s_and_saveexec_b32 s14, s4
	s_cbranch_execz .LBB24_219
; %bb.218:                              ;   in Loop: Header=BB24_12 Depth=1
	s_clause 0x1
	scratch_load_b32 v1, off, off offset:624
	scratch_load_b32 v6, off, off offset:628
	s_waitcnt vmcnt(1)
	v_add_nc_u32_e32 v5, 0, v1
	s_waitcnt vmcnt(0)
	ds_load_2addr_b32 v[1:2], v6 offset1:32
	ds_load_2addr_b32 v[3:4], v5 offset0:64 offset1:65
	ds_load_b32 v6, v6 offset:4352
	ds_load_b32 v5, v5 offset:4608
	s_clause 0x1
	scratch_load_b32 v7, off, off offset:632
	scratch_load_b64 v[12:13], off, off offset:600
	s_waitcnt lgkmcnt(2)
	v_fma_mix_f32 v8, v3, v1, 0 op_sel_hi:[0,1,0]
	v_fma_mix_f32 v1, v3, v1, 0 op_sel:[0,1,0] op_sel_hi:[0,1,0]
	v_fma_mix_f32 v9, v3, v2, 0 op_sel_hi:[0,1,0]
	v_fma_mix_f32 v2, v3, v2, 0 op_sel:[0,1,0] op_sel_hi:[0,1,0]
	s_waitcnt lgkmcnt(0)
	v_fma_mix_f32 v3, v5, v6, v8 op_sel_hi:[0,1,0]
	v_fma_mix_f32 v6, v5, v6, v1 op_sel:[0,1,0] op_sel_hi:[0,1,0]
	s_delay_alu instid0(VALU_DEP_2) | instskip(NEXT) | instid1(VALU_DEP_2)
	v_div_scale_f32 v15, vcc_lo, v3, v4, v3
	v_div_scale_f32 v16, s4, v6, v4, v6
	s_waitcnt vmcnt(1)
	ds_load_b32 v7, v7 offset:4352
	s_waitcnt lgkmcnt(0)
	v_fma_mix_f32 v8, v5, v7, v9 op_sel_hi:[0,1,0]
	v_fma_mix_f32 v9, v5, v7, v2 op_sel:[0,1,0] op_sel_hi:[0,1,0]
	v_div_scale_f32 v5, null, v4, v4, v3
	v_div_scale_f32 v7, null, v4, v4, v6
	s_waitcnt vmcnt(0)
	v_mad_u64_u32 v[1:2], null, v0, s9, v[12:13]
	v_div_scale_f32 v10, null, v4, v4, v8
	v_rcp_f32_e32 v2, v5
	v_rcp_f32_e32 v12, v7
	v_div_scale_f32 v11, null, v4, v4, v9
	s_delay_alu instid0(VALU_DEP_2) | instskip(SKIP_1) | instid1(VALU_DEP_2)
	v_rcp_f32_e32 v13, v10
	v_div_scale_f32 v17, s5, v8, v4, v8
	v_rcp_f32_e32 v14, v11
	v_div_scale_f32 v21, s6, v9, v4, v9
	v_fma_f32 v0, -v5, v2, 1.0
	s_delay_alu instid0(TRANS32_DEP_3)
	v_fma_f32 v18, -v7, v12, 1.0
	s_waitcnt_depctr 0xfff
	v_fma_f32 v19, -v10, v13, 1.0
	v_fmac_f32_e32 v2, v0, v2
	v_fmac_f32_e32 v12, v18, v12
	v_fma_f32 v20, -v11, v14, 1.0
	v_lshl_add_u32 v0, v1, 6, v222
	v_fmac_f32_e32 v13, v19, v13
	s_delay_alu instid0(VALU_DEP_4) | instskip(NEXT) | instid1(VALU_DEP_4)
	v_dual_mul_f32 v18, v15, v2 :: v_dual_mul_f32 v19, v16, v12
	v_fmac_f32_e32 v14, v20, v14
	s_delay_alu instid0(VALU_DEP_4) | instskip(NEXT) | instid1(VALU_DEP_3)
	v_ashrrev_i32_e32 v1, 31, v0
	v_fma_f32 v23, -v5, v18, v15
	s_delay_alu instid0(VALU_DEP_4) | instskip(SKIP_3) | instid1(VALU_DEP_4)
	v_fma_f32 v24, -v7, v19, v16
	v_mul_f32_e32 v20, v17, v13
	v_mul_f32_e32 v22, v21, v14
	v_lshlrev_b64 v[0:1], 3, v[0:1]
	v_dual_fmac_f32 v18, v23, v2 :: v_dual_fmac_f32 v19, v24, v12
	s_delay_alu instid0(VALU_DEP_4) | instskip(NEXT) | instid1(VALU_DEP_4)
	v_fma_f32 v25, -v10, v20, v17
	v_fma_f32 v26, -v11, v22, v21
	s_delay_alu instid0(VALU_DEP_3) | instskip(NEXT) | instid1(VALU_DEP_4)
	v_fma_f32 v5, -v5, v18, v15
	v_fma_f32 v7, -v7, v19, v16
	s_delay_alu instid0(VALU_DEP_4) | instskip(NEXT) | instid1(VALU_DEP_4)
	v_fmac_f32_e32 v20, v25, v13
	v_fmac_f32_e32 v22, v26, v14
	s_delay_alu instid0(VALU_DEP_4) | instskip(SKIP_1) | instid1(VALU_DEP_3)
	v_div_fmas_f32 v2, v5, v2, v18
	s_mov_b32 vcc_lo, s4
	v_fma_f32 v10, -v10, v20, v17
	s_delay_alu instid0(VALU_DEP_3)
	v_fma_f32 v11, -v11, v22, v21
	v_div_fmas_f32 v5, v7, v12, v19
	s_mov_b32 vcc_lo, s5
	v_div_fixup_f32 v2, v2, v4, v3
	v_div_fmas_f32 v7, v10, v13, v20
	s_mov_b32 vcc_lo, s6
	v_div_fixup_f32 v3, v5, v4, v6
	v_div_fmas_f32 v10, v11, v14, v22
	v_add_co_u32 v5, vcc_lo, s83, v0
	v_add_co_ci_u32_e32 v6, vcc_lo, s67, v1, vcc_lo
	v_mov_b32_e32 v1, 0
	v_div_fixup_f32 v7, v7, v4, v8
	v_div_fixup_f32 v8, v10, v4, v9
	s_clause 0x1
	global_store_b64 v[5:6], v[2:3], off
	global_store_b64 v[5:6], v[7:8], off offset:256
.LBB24_219:                             ;   in Loop: Header=BB24_12 Depth=1
	s_or_b32 exec_lo, exec_lo, s14
	s_mov_b32 s4, -1
	s_mov_b32 s5, exec_lo
	v_cmpx_gt_i32_e32 0x47, v1
; %bb.220:                              ;   in Loop: Header=BB24_12 Depth=1
	v_cmp_eq_u32_e32 vcc_lo, 0, v1
	s_or_not1_b32 s4, vcc_lo, exec_lo
; %bb.221:                              ;   in Loop: Header=BB24_12 Depth=1
	s_or_b32 exec_lo, exec_lo, s5
	s_delay_alu instid0(SALU_CYCLE_1)
	s_and_b32 exec_lo, exec_lo, s4
	s_cbranch_execz .LBB24_10
; %bb.222:                              ;   in Loop: Header=BB24_12 Depth=1
	scratch_load_b32 v0, off, off offset:636 ; 4-byte Folded Reload
	s_waitcnt vmcnt(0)
	v_dual_mov_b32 v1, 0x47 :: v_dual_add_nc_u32 v0, s74, v0
	s_delay_alu instid0(VALU_DEP_1) | instskip(SKIP_1) | instid1(SALU_CYCLE_1)
	v_cmp_gt_i32_e32 vcc_lo, s8, v0
	s_and_b32 s4, vcc_lo, s3
	s_and_saveexec_b32 s14, s4
	s_cbranch_execz .LBB24_224
; %bb.223:                              ;   in Loop: Header=BB24_12 Depth=1
	s_clause 0x1
	scratch_load_b32 v1, off, off offset:648
	scratch_load_b32 v6, off, off offset:652
	s_waitcnt vmcnt(1)
	v_add_nc_u32_e32 v5, 0, v1
	s_waitcnt vmcnt(0)
	ds_load_2addr_b32 v[1:2], v6 offset1:32
	ds_load_2addr_b32 v[3:4], v5 offset0:64 offset1:65
	ds_load_b32 v6, v6 offset:4352
	ds_load_b32 v5, v5 offset:4608
	s_clause 0x1
	scratch_load_b32 v7, off, off offset:656
	scratch_load_b64 v[12:13], off, off offset:188
	s_waitcnt lgkmcnt(2)
	v_fma_mix_f32 v8, v3, v1, 0 op_sel_hi:[0,1,0]
	v_fma_mix_f32 v1, v3, v1, 0 op_sel:[0,1,0] op_sel_hi:[0,1,0]
	v_fma_mix_f32 v9, v3, v2, 0 op_sel_hi:[0,1,0]
	v_fma_mix_f32 v2, v3, v2, 0 op_sel:[0,1,0] op_sel_hi:[0,1,0]
	s_waitcnt lgkmcnt(0)
	v_fma_mix_f32 v3, v5, v6, v8 op_sel_hi:[0,1,0]
	v_fma_mix_f32 v6, v5, v6, v1 op_sel:[0,1,0] op_sel_hi:[0,1,0]
	s_delay_alu instid0(VALU_DEP_2) | instskip(NEXT) | instid1(VALU_DEP_2)
	v_div_scale_f32 v15, vcc_lo, v3, v4, v3
	v_div_scale_f32 v16, s4, v6, v4, v6
	s_waitcnt vmcnt(1)
	ds_load_b32 v7, v7 offset:4352
	s_waitcnt lgkmcnt(0)
	v_fma_mix_f32 v8, v5, v7, v9 op_sel_hi:[0,1,0]
	v_fma_mix_f32 v9, v5, v7, v2 op_sel:[0,1,0] op_sel_hi:[0,1,0]
	v_div_scale_f32 v5, null, v4, v4, v3
	v_div_scale_f32 v7, null, v4, v4, v6
	s_waitcnt vmcnt(0)
	v_mad_u64_u32 v[1:2], null, v0, s9, v[12:13]
	v_div_scale_f32 v10, null, v4, v4, v8
	v_rcp_f32_e32 v2, v5
	v_rcp_f32_e32 v12, v7
	v_div_scale_f32 v11, null, v4, v4, v9
	s_delay_alu instid0(VALU_DEP_2) | instskip(SKIP_1) | instid1(VALU_DEP_2)
	v_rcp_f32_e32 v13, v10
	v_div_scale_f32 v17, s5, v8, v4, v8
	v_rcp_f32_e32 v14, v11
	v_div_scale_f32 v21, s6, v9, v4, v9
	v_fma_f32 v0, -v5, v2, 1.0
	s_delay_alu instid0(TRANS32_DEP_3)
	v_fma_f32 v18, -v7, v12, 1.0
	s_waitcnt_depctr 0xfff
	v_fma_f32 v19, -v10, v13, 1.0
	v_fmac_f32_e32 v2, v0, v2
	v_fmac_f32_e32 v12, v18, v12
	v_fma_f32 v20, -v11, v14, 1.0
	v_lshl_add_u32 v0, v1, 6, v222
	v_fmac_f32_e32 v13, v19, v13
	s_delay_alu instid0(VALU_DEP_4) | instskip(NEXT) | instid1(VALU_DEP_4)
	v_dual_mul_f32 v18, v15, v2 :: v_dual_mul_f32 v19, v16, v12
	v_fmac_f32_e32 v14, v20, v14
	s_delay_alu instid0(VALU_DEP_4) | instskip(NEXT) | instid1(VALU_DEP_3)
	v_ashrrev_i32_e32 v1, 31, v0
	v_fma_f32 v23, -v5, v18, v15
	s_delay_alu instid0(VALU_DEP_4) | instskip(SKIP_3) | instid1(VALU_DEP_4)
	v_fma_f32 v24, -v7, v19, v16
	v_mul_f32_e32 v20, v17, v13
	v_mul_f32_e32 v22, v21, v14
	v_lshlrev_b64 v[0:1], 3, v[0:1]
	v_dual_fmac_f32 v18, v23, v2 :: v_dual_fmac_f32 v19, v24, v12
	s_delay_alu instid0(VALU_DEP_4) | instskip(NEXT) | instid1(VALU_DEP_4)
	v_fma_f32 v25, -v10, v20, v17
	v_fma_f32 v26, -v11, v22, v21
	s_delay_alu instid0(VALU_DEP_3) | instskip(NEXT) | instid1(VALU_DEP_4)
	v_fma_f32 v5, -v5, v18, v15
	v_fma_f32 v7, -v7, v19, v16
	s_delay_alu instid0(VALU_DEP_4) | instskip(NEXT) | instid1(VALU_DEP_4)
	v_fmac_f32_e32 v20, v25, v13
	v_fmac_f32_e32 v22, v26, v14
	s_delay_alu instid0(VALU_DEP_4) | instskip(SKIP_1) | instid1(VALU_DEP_3)
	v_div_fmas_f32 v2, v5, v2, v18
	s_mov_b32 vcc_lo, s4
	v_fma_f32 v10, -v10, v20, v17
	s_delay_alu instid0(VALU_DEP_3)
	v_fma_f32 v11, -v11, v22, v21
	v_div_fmas_f32 v5, v7, v12, v19
	s_mov_b32 vcc_lo, s5
	v_div_fixup_f32 v2, v2, v4, v3
	v_div_fmas_f32 v7, v10, v13, v20
	s_mov_b32 vcc_lo, s6
	v_div_fixup_f32 v3, v5, v4, v6
	v_div_fmas_f32 v10, v11, v14, v22
	v_add_co_u32 v5, vcc_lo, s83, v0
	v_add_co_ci_u32_e32 v6, vcc_lo, s67, v1, vcc_lo
	v_mov_b32_e32 v1, 0
	v_div_fixup_f32 v7, v7, v4, v8
	v_div_fixup_f32 v8, v10, v4, v9
	s_clause 0x1
	global_store_b64 v[5:6], v[2:3], off
	global_store_b64 v[5:6], v[7:8], off offset:256
.LBB24_224:                             ;   in Loop: Header=BB24_12 Depth=1
	s_or_b32 exec_lo, exec_lo, s14
	s_mov_b32 s4, -1
	s_mov_b32 s5, exec_lo
	v_cmpx_gt_i32_e32 0x47, v1
; %bb.225:                              ;   in Loop: Header=BB24_12 Depth=1
	v_cmp_eq_u32_e32 vcc_lo, 0, v1
	s_or_not1_b32 s4, vcc_lo, exec_lo
; %bb.226:                              ;   in Loop: Header=BB24_12 Depth=1
	s_or_b32 exec_lo, exec_lo, s5
	s_delay_alu instid0(SALU_CYCLE_1)
	s_and_b32 exec_lo, exec_lo, s4
	s_cbranch_execz .LBB24_10
; %bb.227:                              ;   in Loop: Header=BB24_12 Depth=1
	s_clause 0x1
	scratch_load_b32 v0, off, off offset:660
	scratch_load_b64 v[1:2], off, off offset:640
	s_waitcnt vmcnt(1)
	v_add_nc_u32_e32 v0, s74, v0
	s_waitcnt vmcnt(0)
	v_or_b32_e32 v1, s94, v1
	s_delay_alu instid0(VALU_DEP_1) | instskip(SKIP_2) | instid1(VALU_DEP_3)
	v_cmp_gt_i32_e64 s4, s33, v1
	v_mov_b32_e32 v1, 0x47
	v_cmp_gt_i32_e32 vcc_lo, s8, v0
	s_and_b32 s4, vcc_lo, s4
	s_delay_alu instid0(SALU_CYCLE_1)
	s_and_saveexec_b32 s14, s4
	s_cbranch_execz .LBB24_229
; %bb.228:                              ;   in Loop: Header=BB24_12 Depth=1
	s_clause 0x1
	scratch_load_b32 v1, off, off offset:664
	scratch_load_b32 v6, off, off offset:668
	s_waitcnt vmcnt(1)
	v_add_nc_u32_e32 v5, 0, v1
	s_waitcnt vmcnt(0)
	ds_load_2addr_b32 v[1:2], v6 offset1:32
	ds_load_2addr_b32 v[3:4], v5 offset0:64 offset1:65
	ds_load_b32 v6, v6 offset:4352
	ds_load_b32 v5, v5 offset:4608
	s_clause 0x1
	scratch_load_b32 v7, off, off offset:672
	scratch_load_b64 v[12:13], off, off offset:640
	s_waitcnt lgkmcnt(2)
	v_fma_mix_f32 v8, v3, v1, 0 op_sel_hi:[0,1,0]
	v_fma_mix_f32 v1, v3, v1, 0 op_sel:[0,1,0] op_sel_hi:[0,1,0]
	v_fma_mix_f32 v9, v3, v2, 0 op_sel_hi:[0,1,0]
	v_fma_mix_f32 v2, v3, v2, 0 op_sel:[0,1,0] op_sel_hi:[0,1,0]
	s_waitcnt lgkmcnt(0)
	v_fma_mix_f32 v3, v5, v6, v8 op_sel_hi:[0,1,0]
	v_fma_mix_f32 v6, v5, v6, v1 op_sel:[0,1,0] op_sel_hi:[0,1,0]
	s_delay_alu instid0(VALU_DEP_2) | instskip(NEXT) | instid1(VALU_DEP_2)
	v_div_scale_f32 v15, vcc_lo, v3, v4, v3
	v_div_scale_f32 v16, s4, v6, v4, v6
	s_waitcnt vmcnt(1)
	ds_load_b32 v7, v7 offset:4352
	s_waitcnt lgkmcnt(0)
	v_fma_mix_f32 v8, v5, v7, v9 op_sel_hi:[0,1,0]
	v_fma_mix_f32 v9, v5, v7, v2 op_sel:[0,1,0] op_sel_hi:[0,1,0]
	v_div_scale_f32 v5, null, v4, v4, v3
	v_div_scale_f32 v7, null, v4, v4, v6
	s_waitcnt vmcnt(0)
	v_mad_u64_u32 v[1:2], null, v0, s9, v[12:13]
	v_div_scale_f32 v10, null, v4, v4, v8
	v_rcp_f32_e32 v2, v5
	v_rcp_f32_e32 v12, v7
	v_div_scale_f32 v11, null, v4, v4, v9
	s_delay_alu instid0(VALU_DEP_2) | instskip(SKIP_1) | instid1(VALU_DEP_2)
	v_rcp_f32_e32 v13, v10
	v_div_scale_f32 v17, s5, v8, v4, v8
	v_rcp_f32_e32 v14, v11
	v_div_scale_f32 v21, s6, v9, v4, v9
	v_fma_f32 v0, -v5, v2, 1.0
	s_delay_alu instid0(TRANS32_DEP_3)
	v_fma_f32 v18, -v7, v12, 1.0
	s_waitcnt_depctr 0xfff
	v_fma_f32 v19, -v10, v13, 1.0
	v_fmac_f32_e32 v2, v0, v2
	v_fmac_f32_e32 v12, v18, v12
	v_fma_f32 v20, -v11, v14, 1.0
	v_lshl_add_u32 v0, v1, 6, v222
	v_fmac_f32_e32 v13, v19, v13
	s_delay_alu instid0(VALU_DEP_4) | instskip(NEXT) | instid1(VALU_DEP_4)
	v_dual_mul_f32 v18, v15, v2 :: v_dual_mul_f32 v19, v16, v12
	v_fmac_f32_e32 v14, v20, v14
	s_delay_alu instid0(VALU_DEP_4) | instskip(NEXT) | instid1(VALU_DEP_3)
	v_ashrrev_i32_e32 v1, 31, v0
	v_fma_f32 v23, -v5, v18, v15
	s_delay_alu instid0(VALU_DEP_4) | instskip(SKIP_3) | instid1(VALU_DEP_4)
	v_fma_f32 v24, -v7, v19, v16
	v_mul_f32_e32 v20, v17, v13
	v_mul_f32_e32 v22, v21, v14
	v_lshlrev_b64 v[0:1], 3, v[0:1]
	v_dual_fmac_f32 v18, v23, v2 :: v_dual_fmac_f32 v19, v24, v12
	s_delay_alu instid0(VALU_DEP_4) | instskip(NEXT) | instid1(VALU_DEP_4)
	v_fma_f32 v25, -v10, v20, v17
	v_fma_f32 v26, -v11, v22, v21
	s_delay_alu instid0(VALU_DEP_3) | instskip(NEXT) | instid1(VALU_DEP_4)
	v_fma_f32 v5, -v5, v18, v15
	v_fma_f32 v7, -v7, v19, v16
	s_delay_alu instid0(VALU_DEP_4) | instskip(NEXT) | instid1(VALU_DEP_4)
	v_fmac_f32_e32 v20, v25, v13
	v_fmac_f32_e32 v22, v26, v14
	s_delay_alu instid0(VALU_DEP_4) | instskip(SKIP_1) | instid1(VALU_DEP_3)
	v_div_fmas_f32 v2, v5, v2, v18
	s_mov_b32 vcc_lo, s4
	v_fma_f32 v10, -v10, v20, v17
	s_delay_alu instid0(VALU_DEP_3)
	v_fma_f32 v11, -v11, v22, v21
	v_div_fmas_f32 v5, v7, v12, v19
	s_mov_b32 vcc_lo, s5
	v_div_fixup_f32 v2, v2, v4, v3
	v_div_fmas_f32 v7, v10, v13, v20
	s_mov_b32 vcc_lo, s6
	v_div_fixup_f32 v3, v5, v4, v6
	v_div_fmas_f32 v10, v11, v14, v22
	v_add_co_u32 v5, vcc_lo, s83, v0
	v_add_co_ci_u32_e32 v6, vcc_lo, s67, v1, vcc_lo
	v_mov_b32_e32 v1, 0
	v_div_fixup_f32 v7, v7, v4, v8
	v_div_fixup_f32 v8, v10, v4, v9
	s_clause 0x1
	global_store_b64 v[5:6], v[2:3], off
	global_store_b64 v[5:6], v[7:8], off offset:256
.LBB24_229:                             ;   in Loop: Header=BB24_12 Depth=1
	s_or_b32 exec_lo, exec_lo, s14
	s_mov_b32 s4, -1
	s_mov_b32 s5, exec_lo
	v_cmpx_gt_i32_e32 0x47, v1
; %bb.230:                              ;   in Loop: Header=BB24_12 Depth=1
	v_cmp_eq_u32_e32 vcc_lo, 0, v1
	s_or_not1_b32 s4, vcc_lo, exec_lo
; %bb.231:                              ;   in Loop: Header=BB24_12 Depth=1
	s_or_b32 exec_lo, exec_lo, s5
	s_delay_alu instid0(SALU_CYCLE_1)
	s_and_b32 exec_lo, exec_lo, s4
	s_cbranch_execz .LBB24_10
; %bb.232:                              ;   in Loop: Header=BB24_12 Depth=1
	scratch_load_b32 v0, off, off offset:676 ; 4-byte Folded Reload
	s_waitcnt vmcnt(0)
	v_dual_mov_b32 v1, 0x47 :: v_dual_add_nc_u32 v0, s74, v0
	s_delay_alu instid0(VALU_DEP_1) | instskip(SKIP_1) | instid1(SALU_CYCLE_1)
	v_cmp_gt_i32_e32 vcc_lo, s8, v0
	s_and_b32 s4, vcc_lo, s3
	s_and_saveexec_b32 s14, s4
	s_cbranch_execz .LBB24_234
; %bb.233:                              ;   in Loop: Header=BB24_12 Depth=1
	s_clause 0x1
	scratch_load_b32 v1, off, off offset:688
	scratch_load_b32 v6, off, off offset:692
	s_waitcnt vmcnt(1)
	v_add_nc_u32_e32 v5, 0, v1
	s_waitcnt vmcnt(0)
	ds_load_2addr_b32 v[1:2], v6 offset1:32
	ds_load_2addr_b32 v[3:4], v5 offset0:64 offset1:65
	ds_load_b32 v6, v6 offset:4352
	ds_load_b32 v5, v5 offset:4608
	s_clause 0x1
	scratch_load_b32 v7, off, off offset:696
	scratch_load_b64 v[12:13], off, off offset:188
	s_waitcnt lgkmcnt(2)
	v_fma_mix_f32 v8, v3, v1, 0 op_sel_hi:[0,1,0]
	v_fma_mix_f32 v1, v3, v1, 0 op_sel:[0,1,0] op_sel_hi:[0,1,0]
	v_fma_mix_f32 v9, v3, v2, 0 op_sel_hi:[0,1,0]
	v_fma_mix_f32 v2, v3, v2, 0 op_sel:[0,1,0] op_sel_hi:[0,1,0]
	s_waitcnt lgkmcnt(0)
	v_fma_mix_f32 v3, v5, v6, v8 op_sel_hi:[0,1,0]
	v_fma_mix_f32 v6, v5, v6, v1 op_sel:[0,1,0] op_sel_hi:[0,1,0]
	s_delay_alu instid0(VALU_DEP_2) | instskip(NEXT) | instid1(VALU_DEP_2)
	v_div_scale_f32 v15, vcc_lo, v3, v4, v3
	v_div_scale_f32 v16, s4, v6, v4, v6
	s_waitcnt vmcnt(1)
	ds_load_b32 v7, v7 offset:4352
	s_waitcnt lgkmcnt(0)
	v_fma_mix_f32 v8, v5, v7, v9 op_sel_hi:[0,1,0]
	v_fma_mix_f32 v9, v5, v7, v2 op_sel:[0,1,0] op_sel_hi:[0,1,0]
	v_div_scale_f32 v5, null, v4, v4, v3
	v_div_scale_f32 v7, null, v4, v4, v6
	s_waitcnt vmcnt(0)
	v_mad_u64_u32 v[1:2], null, v0, s9, v[12:13]
	v_div_scale_f32 v10, null, v4, v4, v8
	v_rcp_f32_e32 v2, v5
	v_rcp_f32_e32 v12, v7
	v_div_scale_f32 v11, null, v4, v4, v9
	s_delay_alu instid0(VALU_DEP_2) | instskip(SKIP_1) | instid1(VALU_DEP_2)
	v_rcp_f32_e32 v13, v10
	v_div_scale_f32 v17, s5, v8, v4, v8
	v_rcp_f32_e32 v14, v11
	v_div_scale_f32 v21, s6, v9, v4, v9
	v_fma_f32 v0, -v5, v2, 1.0
	s_delay_alu instid0(TRANS32_DEP_3)
	v_fma_f32 v18, -v7, v12, 1.0
	s_waitcnt_depctr 0xfff
	v_fma_f32 v19, -v10, v13, 1.0
	v_fmac_f32_e32 v2, v0, v2
	v_fmac_f32_e32 v12, v18, v12
	v_fma_f32 v20, -v11, v14, 1.0
	v_lshl_add_u32 v0, v1, 6, v222
	v_fmac_f32_e32 v13, v19, v13
	s_delay_alu instid0(VALU_DEP_4) | instskip(NEXT) | instid1(VALU_DEP_4)
	v_dual_mul_f32 v18, v15, v2 :: v_dual_mul_f32 v19, v16, v12
	v_fmac_f32_e32 v14, v20, v14
	s_delay_alu instid0(VALU_DEP_4) | instskip(NEXT) | instid1(VALU_DEP_3)
	v_ashrrev_i32_e32 v1, 31, v0
	v_fma_f32 v23, -v5, v18, v15
	s_delay_alu instid0(VALU_DEP_4) | instskip(SKIP_3) | instid1(VALU_DEP_4)
	v_fma_f32 v24, -v7, v19, v16
	v_mul_f32_e32 v20, v17, v13
	v_mul_f32_e32 v22, v21, v14
	v_lshlrev_b64 v[0:1], 3, v[0:1]
	v_dual_fmac_f32 v18, v23, v2 :: v_dual_fmac_f32 v19, v24, v12
	s_delay_alu instid0(VALU_DEP_4) | instskip(NEXT) | instid1(VALU_DEP_4)
	v_fma_f32 v25, -v10, v20, v17
	v_fma_f32 v26, -v11, v22, v21
	s_delay_alu instid0(VALU_DEP_3) | instskip(NEXT) | instid1(VALU_DEP_4)
	v_fma_f32 v5, -v5, v18, v15
	v_fma_f32 v7, -v7, v19, v16
	s_delay_alu instid0(VALU_DEP_4) | instskip(NEXT) | instid1(VALU_DEP_4)
	v_fmac_f32_e32 v20, v25, v13
	v_fmac_f32_e32 v22, v26, v14
	s_delay_alu instid0(VALU_DEP_4) | instskip(SKIP_1) | instid1(VALU_DEP_3)
	v_div_fmas_f32 v2, v5, v2, v18
	s_mov_b32 vcc_lo, s4
	v_fma_f32 v10, -v10, v20, v17
	s_delay_alu instid0(VALU_DEP_3)
	v_fma_f32 v11, -v11, v22, v21
	v_div_fmas_f32 v5, v7, v12, v19
	s_mov_b32 vcc_lo, s5
	v_div_fixup_f32 v2, v2, v4, v3
	v_div_fmas_f32 v7, v10, v13, v20
	s_mov_b32 vcc_lo, s6
	v_div_fixup_f32 v3, v5, v4, v6
	v_div_fmas_f32 v10, v11, v14, v22
	v_add_co_u32 v5, vcc_lo, s83, v0
	v_add_co_ci_u32_e32 v6, vcc_lo, s67, v1, vcc_lo
	v_mov_b32_e32 v1, 0
	v_div_fixup_f32 v7, v7, v4, v8
	v_div_fixup_f32 v8, v10, v4, v9
	s_clause 0x1
	global_store_b64 v[5:6], v[2:3], off
	global_store_b64 v[5:6], v[7:8], off offset:256
.LBB24_234:                             ;   in Loop: Header=BB24_12 Depth=1
	s_or_b32 exec_lo, exec_lo, s14
	s_mov_b32 s4, -1
	s_mov_b32 s5, exec_lo
	v_cmpx_gt_i32_e32 0x47, v1
; %bb.235:                              ;   in Loop: Header=BB24_12 Depth=1
	v_cmp_eq_u32_e32 vcc_lo, 0, v1
	s_or_not1_b32 s4, vcc_lo, exec_lo
; %bb.236:                              ;   in Loop: Header=BB24_12 Depth=1
	s_or_b32 exec_lo, exec_lo, s5
	s_delay_alu instid0(SALU_CYCLE_1)
	s_and_b32 exec_lo, exec_lo, s4
	s_cbranch_execz .LBB24_10
; %bb.237:                              ;   in Loop: Header=BB24_12 Depth=1
	s_clause 0x1
	scratch_load_b32 v0, off, off offset:700
	scratch_load_b64 v[1:2], off, off offset:680
	s_waitcnt vmcnt(1)
	v_add_nc_u32_e32 v0, s74, v0
	s_waitcnt vmcnt(0)
	v_or_b32_e32 v1, s94, v1
	s_delay_alu instid0(VALU_DEP_1) | instskip(SKIP_2) | instid1(VALU_DEP_3)
	v_cmp_gt_i32_e64 s4, s33, v1
	v_mov_b32_e32 v1, 0x47
	v_cmp_gt_i32_e32 vcc_lo, s8, v0
	s_and_b32 s4, vcc_lo, s4
	s_delay_alu instid0(SALU_CYCLE_1)
	s_and_saveexec_b32 s14, s4
	s_cbranch_execz .LBB24_239
; %bb.238:                              ;   in Loop: Header=BB24_12 Depth=1
	s_clause 0x1
	scratch_load_b32 v1, off, off offset:704
	scratch_load_b32 v6, off, off offset:708
	s_waitcnt vmcnt(1)
	v_add_nc_u32_e32 v5, 0, v1
	s_waitcnt vmcnt(0)
	ds_load_2addr_b32 v[1:2], v6 offset1:32
	ds_load_2addr_b32 v[3:4], v5 offset0:64 offset1:65
	ds_load_b32 v6, v6 offset:4352
	ds_load_b32 v5, v5 offset:4608
	s_clause 0x1
	scratch_load_b32 v7, off, off offset:712
	scratch_load_b64 v[12:13], off, off offset:680
	s_waitcnt lgkmcnt(2)
	v_fma_mix_f32 v8, v3, v1, 0 op_sel_hi:[0,1,0]
	v_fma_mix_f32 v1, v3, v1, 0 op_sel:[0,1,0] op_sel_hi:[0,1,0]
	v_fma_mix_f32 v9, v3, v2, 0 op_sel_hi:[0,1,0]
	v_fma_mix_f32 v2, v3, v2, 0 op_sel:[0,1,0] op_sel_hi:[0,1,0]
	s_waitcnt lgkmcnt(0)
	v_fma_mix_f32 v3, v5, v6, v8 op_sel_hi:[0,1,0]
	v_fma_mix_f32 v6, v5, v6, v1 op_sel:[0,1,0] op_sel_hi:[0,1,0]
	s_delay_alu instid0(VALU_DEP_2) | instskip(NEXT) | instid1(VALU_DEP_2)
	v_div_scale_f32 v15, vcc_lo, v3, v4, v3
	v_div_scale_f32 v16, s4, v6, v4, v6
	s_waitcnt vmcnt(1)
	ds_load_b32 v7, v7 offset:4352
	s_waitcnt lgkmcnt(0)
	v_fma_mix_f32 v8, v5, v7, v9 op_sel_hi:[0,1,0]
	v_fma_mix_f32 v9, v5, v7, v2 op_sel:[0,1,0] op_sel_hi:[0,1,0]
	v_div_scale_f32 v5, null, v4, v4, v3
	v_div_scale_f32 v7, null, v4, v4, v6
	s_waitcnt vmcnt(0)
	v_mad_u64_u32 v[1:2], null, v0, s9, v[12:13]
	v_div_scale_f32 v10, null, v4, v4, v8
	v_rcp_f32_e32 v2, v5
	v_rcp_f32_e32 v12, v7
	v_div_scale_f32 v11, null, v4, v4, v9
	s_delay_alu instid0(VALU_DEP_2) | instskip(SKIP_1) | instid1(VALU_DEP_2)
	v_rcp_f32_e32 v13, v10
	v_div_scale_f32 v17, s5, v8, v4, v8
	v_rcp_f32_e32 v14, v11
	v_div_scale_f32 v21, s6, v9, v4, v9
	v_fma_f32 v0, -v5, v2, 1.0
	s_delay_alu instid0(TRANS32_DEP_3)
	v_fma_f32 v18, -v7, v12, 1.0
	s_waitcnt_depctr 0xfff
	v_fma_f32 v19, -v10, v13, 1.0
	v_fmac_f32_e32 v2, v0, v2
	v_fmac_f32_e32 v12, v18, v12
	v_fma_f32 v20, -v11, v14, 1.0
	v_lshl_add_u32 v0, v1, 6, v222
	v_fmac_f32_e32 v13, v19, v13
	s_delay_alu instid0(VALU_DEP_4) | instskip(NEXT) | instid1(VALU_DEP_4)
	v_dual_mul_f32 v18, v15, v2 :: v_dual_mul_f32 v19, v16, v12
	v_fmac_f32_e32 v14, v20, v14
	s_delay_alu instid0(VALU_DEP_4) | instskip(NEXT) | instid1(VALU_DEP_3)
	v_ashrrev_i32_e32 v1, 31, v0
	v_fma_f32 v23, -v5, v18, v15
	s_delay_alu instid0(VALU_DEP_4) | instskip(SKIP_3) | instid1(VALU_DEP_4)
	v_fma_f32 v24, -v7, v19, v16
	v_mul_f32_e32 v20, v17, v13
	v_mul_f32_e32 v22, v21, v14
	v_lshlrev_b64 v[0:1], 3, v[0:1]
	v_dual_fmac_f32 v18, v23, v2 :: v_dual_fmac_f32 v19, v24, v12
	s_delay_alu instid0(VALU_DEP_4) | instskip(NEXT) | instid1(VALU_DEP_4)
	v_fma_f32 v25, -v10, v20, v17
	v_fma_f32 v26, -v11, v22, v21
	s_delay_alu instid0(VALU_DEP_3) | instskip(NEXT) | instid1(VALU_DEP_4)
	v_fma_f32 v5, -v5, v18, v15
	v_fma_f32 v7, -v7, v19, v16
	s_delay_alu instid0(VALU_DEP_4) | instskip(NEXT) | instid1(VALU_DEP_4)
	v_fmac_f32_e32 v20, v25, v13
	v_fmac_f32_e32 v22, v26, v14
	s_delay_alu instid0(VALU_DEP_4) | instskip(SKIP_1) | instid1(VALU_DEP_3)
	v_div_fmas_f32 v2, v5, v2, v18
	s_mov_b32 vcc_lo, s4
	v_fma_f32 v10, -v10, v20, v17
	s_delay_alu instid0(VALU_DEP_3)
	v_fma_f32 v11, -v11, v22, v21
	v_div_fmas_f32 v5, v7, v12, v19
	s_mov_b32 vcc_lo, s5
	v_div_fixup_f32 v2, v2, v4, v3
	v_div_fmas_f32 v7, v10, v13, v20
	s_mov_b32 vcc_lo, s6
	v_div_fixup_f32 v3, v5, v4, v6
	v_div_fmas_f32 v10, v11, v14, v22
	v_add_co_u32 v5, vcc_lo, s83, v0
	v_add_co_ci_u32_e32 v6, vcc_lo, s67, v1, vcc_lo
	v_mov_b32_e32 v1, 0
	v_div_fixup_f32 v7, v7, v4, v8
	v_div_fixup_f32 v8, v10, v4, v9
	s_clause 0x1
	global_store_b64 v[5:6], v[2:3], off
	global_store_b64 v[5:6], v[7:8], off offset:256
.LBB24_239:                             ;   in Loop: Header=BB24_12 Depth=1
	s_or_b32 exec_lo, exec_lo, s14
	s_mov_b32 s4, -1
	s_mov_b32 s5, exec_lo
	v_cmpx_gt_i32_e32 0x47, v1
; %bb.240:                              ;   in Loop: Header=BB24_12 Depth=1
	v_cmp_eq_u32_e32 vcc_lo, 0, v1
	s_or_not1_b32 s4, vcc_lo, exec_lo
; %bb.241:                              ;   in Loop: Header=BB24_12 Depth=1
	s_or_b32 exec_lo, exec_lo, s5
	s_delay_alu instid0(SALU_CYCLE_1)
	s_and_b32 exec_lo, exec_lo, s4
	s_cbranch_execz .LBB24_10
; %bb.242:                              ;   in Loop: Header=BB24_12 Depth=1
	scratch_load_b32 v0, off, off offset:716 ; 4-byte Folded Reload
	s_waitcnt vmcnt(0)
	v_dual_mov_b32 v1, 0x47 :: v_dual_add_nc_u32 v0, s74, v0
	s_delay_alu instid0(VALU_DEP_1) | instskip(SKIP_1) | instid1(SALU_CYCLE_1)
	v_cmp_gt_i32_e32 vcc_lo, s8, v0
	s_and_b32 s4, vcc_lo, s3
	s_and_saveexec_b32 s14, s4
	s_cbranch_execz .LBB24_244
; %bb.243:                              ;   in Loop: Header=BB24_12 Depth=1
	s_clause 0x1
	scratch_load_b32 v1, off, off offset:728
	scratch_load_b32 v6, off, off offset:732
	s_waitcnt vmcnt(1)
	v_add_nc_u32_e32 v5, 0, v1
	s_waitcnt vmcnt(0)
	ds_load_2addr_b32 v[1:2], v6 offset1:32
	ds_load_2addr_b32 v[3:4], v5 offset0:64 offset1:65
	ds_load_b32 v6, v6 offset:4352
	ds_load_b32 v5, v5 offset:4608
	s_clause 0x1
	scratch_load_b32 v7, off, off offset:736
	scratch_load_b64 v[12:13], off, off offset:188
	s_waitcnt lgkmcnt(2)
	v_fma_mix_f32 v8, v3, v1, 0 op_sel_hi:[0,1,0]
	v_fma_mix_f32 v1, v3, v1, 0 op_sel:[0,1,0] op_sel_hi:[0,1,0]
	v_fma_mix_f32 v9, v3, v2, 0 op_sel_hi:[0,1,0]
	v_fma_mix_f32 v2, v3, v2, 0 op_sel:[0,1,0] op_sel_hi:[0,1,0]
	s_waitcnt lgkmcnt(0)
	v_fma_mix_f32 v3, v5, v6, v8 op_sel_hi:[0,1,0]
	v_fma_mix_f32 v6, v5, v6, v1 op_sel:[0,1,0] op_sel_hi:[0,1,0]
	s_delay_alu instid0(VALU_DEP_2) | instskip(NEXT) | instid1(VALU_DEP_2)
	v_div_scale_f32 v15, vcc_lo, v3, v4, v3
	v_div_scale_f32 v16, s4, v6, v4, v6
	s_waitcnt vmcnt(1)
	ds_load_b32 v7, v7 offset:4352
	s_waitcnt lgkmcnt(0)
	v_fma_mix_f32 v8, v5, v7, v9 op_sel_hi:[0,1,0]
	v_fma_mix_f32 v9, v5, v7, v2 op_sel:[0,1,0] op_sel_hi:[0,1,0]
	v_div_scale_f32 v5, null, v4, v4, v3
	v_div_scale_f32 v7, null, v4, v4, v6
	s_waitcnt vmcnt(0)
	v_mad_u64_u32 v[1:2], null, v0, s9, v[12:13]
	v_div_scale_f32 v10, null, v4, v4, v8
	v_rcp_f32_e32 v2, v5
	v_rcp_f32_e32 v12, v7
	v_div_scale_f32 v11, null, v4, v4, v9
	s_delay_alu instid0(VALU_DEP_2) | instskip(SKIP_1) | instid1(VALU_DEP_2)
	v_rcp_f32_e32 v13, v10
	v_div_scale_f32 v17, s5, v8, v4, v8
	v_rcp_f32_e32 v14, v11
	v_div_scale_f32 v21, s6, v9, v4, v9
	v_fma_f32 v0, -v5, v2, 1.0
	s_delay_alu instid0(TRANS32_DEP_3)
	v_fma_f32 v18, -v7, v12, 1.0
	s_waitcnt_depctr 0xfff
	v_fma_f32 v19, -v10, v13, 1.0
	v_fmac_f32_e32 v2, v0, v2
	v_fmac_f32_e32 v12, v18, v12
	v_fma_f32 v20, -v11, v14, 1.0
	v_lshl_add_u32 v0, v1, 6, v222
	v_fmac_f32_e32 v13, v19, v13
	s_delay_alu instid0(VALU_DEP_4) | instskip(NEXT) | instid1(VALU_DEP_4)
	v_dual_mul_f32 v18, v15, v2 :: v_dual_mul_f32 v19, v16, v12
	v_fmac_f32_e32 v14, v20, v14
	s_delay_alu instid0(VALU_DEP_4) | instskip(NEXT) | instid1(VALU_DEP_3)
	v_ashrrev_i32_e32 v1, 31, v0
	v_fma_f32 v23, -v5, v18, v15
	s_delay_alu instid0(VALU_DEP_4) | instskip(SKIP_3) | instid1(VALU_DEP_4)
	v_fma_f32 v24, -v7, v19, v16
	v_mul_f32_e32 v20, v17, v13
	v_mul_f32_e32 v22, v21, v14
	v_lshlrev_b64 v[0:1], 3, v[0:1]
	v_dual_fmac_f32 v18, v23, v2 :: v_dual_fmac_f32 v19, v24, v12
	s_delay_alu instid0(VALU_DEP_4) | instskip(NEXT) | instid1(VALU_DEP_4)
	v_fma_f32 v25, -v10, v20, v17
	v_fma_f32 v26, -v11, v22, v21
	s_delay_alu instid0(VALU_DEP_3) | instskip(NEXT) | instid1(VALU_DEP_4)
	v_fma_f32 v5, -v5, v18, v15
	v_fma_f32 v7, -v7, v19, v16
	s_delay_alu instid0(VALU_DEP_4) | instskip(NEXT) | instid1(VALU_DEP_4)
	v_fmac_f32_e32 v20, v25, v13
	v_fmac_f32_e32 v22, v26, v14
	s_delay_alu instid0(VALU_DEP_4) | instskip(SKIP_1) | instid1(VALU_DEP_3)
	v_div_fmas_f32 v2, v5, v2, v18
	s_mov_b32 vcc_lo, s4
	v_fma_f32 v10, -v10, v20, v17
	s_delay_alu instid0(VALU_DEP_3)
	v_fma_f32 v11, -v11, v22, v21
	v_div_fmas_f32 v5, v7, v12, v19
	s_mov_b32 vcc_lo, s5
	v_div_fixup_f32 v2, v2, v4, v3
	v_div_fmas_f32 v7, v10, v13, v20
	s_mov_b32 vcc_lo, s6
	v_div_fixup_f32 v3, v5, v4, v6
	v_div_fmas_f32 v10, v11, v14, v22
	v_add_co_u32 v5, vcc_lo, s83, v0
	v_add_co_ci_u32_e32 v6, vcc_lo, s67, v1, vcc_lo
	v_mov_b32_e32 v1, 0
	v_div_fixup_f32 v7, v7, v4, v8
	v_div_fixup_f32 v8, v10, v4, v9
	s_clause 0x1
	global_store_b64 v[5:6], v[2:3], off
	global_store_b64 v[5:6], v[7:8], off offset:256
.LBB24_244:                             ;   in Loop: Header=BB24_12 Depth=1
	s_or_b32 exec_lo, exec_lo, s14
	s_mov_b32 s4, -1
	s_mov_b32 s5, exec_lo
	v_cmpx_gt_i32_e32 0x47, v1
; %bb.245:                              ;   in Loop: Header=BB24_12 Depth=1
	v_cmp_eq_u32_e32 vcc_lo, 0, v1
	s_or_not1_b32 s4, vcc_lo, exec_lo
; %bb.246:                              ;   in Loop: Header=BB24_12 Depth=1
	s_or_b32 exec_lo, exec_lo, s5
	s_delay_alu instid0(SALU_CYCLE_1)
	s_and_b32 exec_lo, exec_lo, s4
	s_cbranch_execz .LBB24_10
; %bb.247:                              ;   in Loop: Header=BB24_12 Depth=1
	s_clause 0x1
	scratch_load_b32 v0, off, off offset:740
	scratch_load_b64 v[1:2], off, off offset:720
	s_waitcnt vmcnt(1)
	v_add_nc_u32_e32 v0, s74, v0
	s_waitcnt vmcnt(0)
	v_or_b32_e32 v1, s94, v1
	s_delay_alu instid0(VALU_DEP_1) | instskip(SKIP_2) | instid1(VALU_DEP_3)
	v_cmp_gt_i32_e64 s4, s33, v1
	v_mov_b32_e32 v1, 0x47
	v_cmp_gt_i32_e32 vcc_lo, s8, v0
	s_and_b32 s4, vcc_lo, s4
	s_delay_alu instid0(SALU_CYCLE_1)
	s_and_saveexec_b32 s14, s4
	s_cbranch_execz .LBB24_249
; %bb.248:                              ;   in Loop: Header=BB24_12 Depth=1
	s_clause 0x1
	scratch_load_b32 v1, off, off offset:744
	scratch_load_b32 v6, off, off offset:748
	s_waitcnt vmcnt(1)
	v_add_nc_u32_e32 v5, 0, v1
	s_waitcnt vmcnt(0)
	ds_load_2addr_b32 v[1:2], v6 offset1:32
	ds_load_2addr_b32 v[3:4], v5 offset0:64 offset1:65
	ds_load_b32 v6, v6 offset:4352
	ds_load_b32 v5, v5 offset:4608
	s_clause 0x1
	scratch_load_b32 v7, off, off offset:752
	scratch_load_b64 v[12:13], off, off offset:720
	s_waitcnt lgkmcnt(2)
	v_fma_mix_f32 v8, v3, v1, 0 op_sel_hi:[0,1,0]
	v_fma_mix_f32 v1, v3, v1, 0 op_sel:[0,1,0] op_sel_hi:[0,1,0]
	v_fma_mix_f32 v9, v3, v2, 0 op_sel_hi:[0,1,0]
	v_fma_mix_f32 v2, v3, v2, 0 op_sel:[0,1,0] op_sel_hi:[0,1,0]
	s_waitcnt lgkmcnt(0)
	v_fma_mix_f32 v3, v5, v6, v8 op_sel_hi:[0,1,0]
	v_fma_mix_f32 v6, v5, v6, v1 op_sel:[0,1,0] op_sel_hi:[0,1,0]
	s_delay_alu instid0(VALU_DEP_2) | instskip(NEXT) | instid1(VALU_DEP_2)
	v_div_scale_f32 v15, vcc_lo, v3, v4, v3
	v_div_scale_f32 v16, s4, v6, v4, v6
	s_waitcnt vmcnt(1)
	ds_load_b32 v7, v7 offset:4352
	s_waitcnt lgkmcnt(0)
	v_fma_mix_f32 v8, v5, v7, v9 op_sel_hi:[0,1,0]
	v_fma_mix_f32 v9, v5, v7, v2 op_sel:[0,1,0] op_sel_hi:[0,1,0]
	v_div_scale_f32 v5, null, v4, v4, v3
	v_div_scale_f32 v7, null, v4, v4, v6
	s_waitcnt vmcnt(0)
	v_mad_u64_u32 v[1:2], null, v0, s9, v[12:13]
	v_div_scale_f32 v10, null, v4, v4, v8
	v_rcp_f32_e32 v2, v5
	v_rcp_f32_e32 v12, v7
	v_div_scale_f32 v11, null, v4, v4, v9
	s_delay_alu instid0(VALU_DEP_2) | instskip(SKIP_1) | instid1(VALU_DEP_2)
	v_rcp_f32_e32 v13, v10
	v_div_scale_f32 v17, s5, v8, v4, v8
	v_rcp_f32_e32 v14, v11
	v_div_scale_f32 v21, s6, v9, v4, v9
	v_fma_f32 v0, -v5, v2, 1.0
	s_delay_alu instid0(TRANS32_DEP_3)
	v_fma_f32 v18, -v7, v12, 1.0
	s_waitcnt_depctr 0xfff
	v_fma_f32 v19, -v10, v13, 1.0
	v_fmac_f32_e32 v2, v0, v2
	v_fmac_f32_e32 v12, v18, v12
	v_fma_f32 v20, -v11, v14, 1.0
	v_lshl_add_u32 v0, v1, 6, v222
	v_fmac_f32_e32 v13, v19, v13
	s_delay_alu instid0(VALU_DEP_4) | instskip(NEXT) | instid1(VALU_DEP_4)
	v_dual_mul_f32 v18, v15, v2 :: v_dual_mul_f32 v19, v16, v12
	v_fmac_f32_e32 v14, v20, v14
	s_delay_alu instid0(VALU_DEP_4) | instskip(NEXT) | instid1(VALU_DEP_3)
	v_ashrrev_i32_e32 v1, 31, v0
	v_fma_f32 v23, -v5, v18, v15
	s_delay_alu instid0(VALU_DEP_4) | instskip(SKIP_3) | instid1(VALU_DEP_4)
	v_fma_f32 v24, -v7, v19, v16
	v_mul_f32_e32 v20, v17, v13
	v_mul_f32_e32 v22, v21, v14
	v_lshlrev_b64 v[0:1], 3, v[0:1]
	v_dual_fmac_f32 v18, v23, v2 :: v_dual_fmac_f32 v19, v24, v12
	s_delay_alu instid0(VALU_DEP_4) | instskip(NEXT) | instid1(VALU_DEP_4)
	v_fma_f32 v25, -v10, v20, v17
	v_fma_f32 v26, -v11, v22, v21
	s_delay_alu instid0(VALU_DEP_3) | instskip(NEXT) | instid1(VALU_DEP_4)
	v_fma_f32 v5, -v5, v18, v15
	v_fma_f32 v7, -v7, v19, v16
	s_delay_alu instid0(VALU_DEP_4) | instskip(NEXT) | instid1(VALU_DEP_4)
	v_fmac_f32_e32 v20, v25, v13
	v_fmac_f32_e32 v22, v26, v14
	s_delay_alu instid0(VALU_DEP_4) | instskip(SKIP_1) | instid1(VALU_DEP_3)
	v_div_fmas_f32 v2, v5, v2, v18
	s_mov_b32 vcc_lo, s4
	v_fma_f32 v10, -v10, v20, v17
	s_delay_alu instid0(VALU_DEP_3)
	v_fma_f32 v11, -v11, v22, v21
	v_div_fmas_f32 v5, v7, v12, v19
	s_mov_b32 vcc_lo, s5
	v_div_fixup_f32 v2, v2, v4, v3
	v_div_fmas_f32 v7, v10, v13, v20
	s_mov_b32 vcc_lo, s6
	v_div_fixup_f32 v3, v5, v4, v6
	v_div_fmas_f32 v10, v11, v14, v22
	v_add_co_u32 v5, vcc_lo, s83, v0
	v_add_co_ci_u32_e32 v6, vcc_lo, s67, v1, vcc_lo
	v_mov_b32_e32 v1, 0
	v_div_fixup_f32 v7, v7, v4, v8
	v_div_fixup_f32 v8, v10, v4, v9
	s_clause 0x1
	global_store_b64 v[5:6], v[2:3], off
	global_store_b64 v[5:6], v[7:8], off offset:256
.LBB24_249:                             ;   in Loop: Header=BB24_12 Depth=1
	s_or_b32 exec_lo, exec_lo, s14
	s_mov_b32 s4, -1
	s_mov_b32 s5, exec_lo
	v_cmpx_gt_i32_e32 0x47, v1
; %bb.250:                              ;   in Loop: Header=BB24_12 Depth=1
	v_cmp_eq_u32_e32 vcc_lo, 0, v1
	s_or_not1_b32 s4, vcc_lo, exec_lo
; %bb.251:                              ;   in Loop: Header=BB24_12 Depth=1
	s_or_b32 exec_lo, exec_lo, s5
	s_delay_alu instid0(SALU_CYCLE_1)
	s_and_b32 exec_lo, exec_lo, s4
	s_cbranch_execz .LBB24_10
; %bb.252:                              ;   in Loop: Header=BB24_12 Depth=1
	scratch_load_b32 v0, off, off offset:756 ; 4-byte Folded Reload
	s_waitcnt vmcnt(0)
	v_dual_mov_b32 v1, 0x47 :: v_dual_add_nc_u32 v0, s74, v0
	s_delay_alu instid0(VALU_DEP_1) | instskip(SKIP_1) | instid1(SALU_CYCLE_1)
	v_cmp_gt_i32_e32 vcc_lo, s8, v0
	s_and_b32 s4, vcc_lo, s3
	s_and_saveexec_b32 s14, s4
	s_cbranch_execz .LBB24_254
; %bb.253:                              ;   in Loop: Header=BB24_12 Depth=1
	s_clause 0x1
	scratch_load_b32 v1, off, off offset:768
	scratch_load_b32 v6, off, off offset:772
	s_waitcnt vmcnt(1)
	v_add_nc_u32_e32 v5, 0, v1
	s_waitcnt vmcnt(0)
	ds_load_2addr_b32 v[1:2], v6 offset1:32
	ds_load_2addr_b32 v[3:4], v5 offset0:64 offset1:65
	ds_load_b32 v6, v6 offset:4352
	ds_load_b32 v5, v5 offset:4608
	s_clause 0x1
	scratch_load_b32 v7, off, off offset:776
	scratch_load_b64 v[12:13], off, off offset:188
	s_waitcnt lgkmcnt(2)
	v_fma_mix_f32 v8, v3, v1, 0 op_sel_hi:[0,1,0]
	v_fma_mix_f32 v1, v3, v1, 0 op_sel:[0,1,0] op_sel_hi:[0,1,0]
	v_fma_mix_f32 v9, v3, v2, 0 op_sel_hi:[0,1,0]
	v_fma_mix_f32 v2, v3, v2, 0 op_sel:[0,1,0] op_sel_hi:[0,1,0]
	s_waitcnt lgkmcnt(0)
	v_fma_mix_f32 v3, v5, v6, v8 op_sel_hi:[0,1,0]
	v_fma_mix_f32 v6, v5, v6, v1 op_sel:[0,1,0] op_sel_hi:[0,1,0]
	s_delay_alu instid0(VALU_DEP_2) | instskip(NEXT) | instid1(VALU_DEP_2)
	v_div_scale_f32 v15, vcc_lo, v3, v4, v3
	v_div_scale_f32 v16, s4, v6, v4, v6
	s_waitcnt vmcnt(1)
	ds_load_b32 v7, v7 offset:4352
	s_waitcnt lgkmcnt(0)
	v_fma_mix_f32 v8, v5, v7, v9 op_sel_hi:[0,1,0]
	v_fma_mix_f32 v9, v5, v7, v2 op_sel:[0,1,0] op_sel_hi:[0,1,0]
	v_div_scale_f32 v5, null, v4, v4, v3
	v_div_scale_f32 v7, null, v4, v4, v6
	s_waitcnt vmcnt(0)
	v_mad_u64_u32 v[1:2], null, v0, s9, v[12:13]
	v_div_scale_f32 v10, null, v4, v4, v8
	v_rcp_f32_e32 v2, v5
	v_rcp_f32_e32 v12, v7
	v_div_scale_f32 v11, null, v4, v4, v9
	s_delay_alu instid0(VALU_DEP_2) | instskip(SKIP_1) | instid1(VALU_DEP_2)
	v_rcp_f32_e32 v13, v10
	v_div_scale_f32 v17, s5, v8, v4, v8
	v_rcp_f32_e32 v14, v11
	v_div_scale_f32 v21, s6, v9, v4, v9
	v_fma_f32 v0, -v5, v2, 1.0
	s_delay_alu instid0(TRANS32_DEP_3)
	v_fma_f32 v18, -v7, v12, 1.0
	s_waitcnt_depctr 0xfff
	v_fma_f32 v19, -v10, v13, 1.0
	v_fmac_f32_e32 v2, v0, v2
	v_fmac_f32_e32 v12, v18, v12
	v_fma_f32 v20, -v11, v14, 1.0
	v_lshl_add_u32 v0, v1, 6, v222
	v_fmac_f32_e32 v13, v19, v13
	s_delay_alu instid0(VALU_DEP_4) | instskip(NEXT) | instid1(VALU_DEP_4)
	v_dual_mul_f32 v18, v15, v2 :: v_dual_mul_f32 v19, v16, v12
	v_fmac_f32_e32 v14, v20, v14
	s_delay_alu instid0(VALU_DEP_4) | instskip(NEXT) | instid1(VALU_DEP_3)
	v_ashrrev_i32_e32 v1, 31, v0
	v_fma_f32 v23, -v5, v18, v15
	s_delay_alu instid0(VALU_DEP_4) | instskip(SKIP_3) | instid1(VALU_DEP_4)
	v_fma_f32 v24, -v7, v19, v16
	v_mul_f32_e32 v20, v17, v13
	v_mul_f32_e32 v22, v21, v14
	v_lshlrev_b64 v[0:1], 3, v[0:1]
	v_dual_fmac_f32 v18, v23, v2 :: v_dual_fmac_f32 v19, v24, v12
	s_delay_alu instid0(VALU_DEP_4) | instskip(NEXT) | instid1(VALU_DEP_4)
	v_fma_f32 v25, -v10, v20, v17
	v_fma_f32 v26, -v11, v22, v21
	s_delay_alu instid0(VALU_DEP_3) | instskip(NEXT) | instid1(VALU_DEP_4)
	v_fma_f32 v5, -v5, v18, v15
	v_fma_f32 v7, -v7, v19, v16
	s_delay_alu instid0(VALU_DEP_4) | instskip(NEXT) | instid1(VALU_DEP_4)
	v_fmac_f32_e32 v20, v25, v13
	v_fmac_f32_e32 v22, v26, v14
	s_delay_alu instid0(VALU_DEP_4) | instskip(SKIP_1) | instid1(VALU_DEP_3)
	v_div_fmas_f32 v2, v5, v2, v18
	s_mov_b32 vcc_lo, s4
	v_fma_f32 v10, -v10, v20, v17
	s_delay_alu instid0(VALU_DEP_3)
	v_fma_f32 v11, -v11, v22, v21
	v_div_fmas_f32 v5, v7, v12, v19
	s_mov_b32 vcc_lo, s5
	v_div_fixup_f32 v2, v2, v4, v3
	v_div_fmas_f32 v7, v10, v13, v20
	s_mov_b32 vcc_lo, s6
	v_div_fixup_f32 v3, v5, v4, v6
	v_div_fmas_f32 v10, v11, v14, v22
	v_add_co_u32 v5, vcc_lo, s83, v0
	v_add_co_ci_u32_e32 v6, vcc_lo, s67, v1, vcc_lo
	v_mov_b32_e32 v1, 0
	v_div_fixup_f32 v7, v7, v4, v8
	v_div_fixup_f32 v8, v10, v4, v9
	s_clause 0x1
	global_store_b64 v[5:6], v[2:3], off
	global_store_b64 v[5:6], v[7:8], off offset:256
.LBB24_254:                             ;   in Loop: Header=BB24_12 Depth=1
	s_or_b32 exec_lo, exec_lo, s14
	s_mov_b32 s4, -1
	s_mov_b32 s5, exec_lo
	v_cmpx_gt_i32_e32 0x47, v1
; %bb.255:                              ;   in Loop: Header=BB24_12 Depth=1
	v_cmp_eq_u32_e32 vcc_lo, 0, v1
	s_or_not1_b32 s4, vcc_lo, exec_lo
; %bb.256:                              ;   in Loop: Header=BB24_12 Depth=1
	s_or_b32 exec_lo, exec_lo, s5
	s_delay_alu instid0(SALU_CYCLE_1)
	s_and_b32 exec_lo, exec_lo, s4
	s_cbranch_execz .LBB24_10
; %bb.257:                              ;   in Loop: Header=BB24_12 Depth=1
	s_clause 0x1
	scratch_load_b32 v0, off, off offset:780
	scratch_load_b64 v[1:2], off, off offset:760
	s_waitcnt vmcnt(1)
	v_add_nc_u32_e32 v0, s74, v0
	s_waitcnt vmcnt(0)
	v_or_b32_e32 v1, s94, v1
	s_delay_alu instid0(VALU_DEP_1) | instskip(SKIP_2) | instid1(VALU_DEP_3)
	v_cmp_gt_i32_e64 s4, s33, v1
	v_mov_b32_e32 v1, 0x47
	v_cmp_gt_i32_e32 vcc_lo, s8, v0
	s_and_b32 s4, vcc_lo, s4
	s_delay_alu instid0(SALU_CYCLE_1)
	s_and_saveexec_b32 s14, s4
	s_cbranch_execz .LBB24_259
; %bb.258:                              ;   in Loop: Header=BB24_12 Depth=1
	s_clause 0x1
	scratch_load_b32 v1, off, off offset:784
	scratch_load_b32 v6, off, off offset:788
	s_waitcnt vmcnt(1)
	v_add_nc_u32_e32 v5, 0, v1
	s_waitcnt vmcnt(0)
	ds_load_2addr_b32 v[1:2], v6 offset1:32
	ds_load_2addr_b32 v[3:4], v5 offset0:64 offset1:65
	ds_load_b32 v6, v6 offset:4352
	ds_load_b32 v5, v5 offset:4608
	s_clause 0x1
	scratch_load_b32 v7, off, off offset:792
	scratch_load_b64 v[12:13], off, off offset:760
	s_waitcnt lgkmcnt(2)
	v_fma_mix_f32 v8, v3, v1, 0 op_sel_hi:[0,1,0]
	v_fma_mix_f32 v1, v3, v1, 0 op_sel:[0,1,0] op_sel_hi:[0,1,0]
	v_fma_mix_f32 v9, v3, v2, 0 op_sel_hi:[0,1,0]
	v_fma_mix_f32 v2, v3, v2, 0 op_sel:[0,1,0] op_sel_hi:[0,1,0]
	s_waitcnt lgkmcnt(0)
	v_fma_mix_f32 v3, v5, v6, v8 op_sel_hi:[0,1,0]
	v_fma_mix_f32 v6, v5, v6, v1 op_sel:[0,1,0] op_sel_hi:[0,1,0]
	s_delay_alu instid0(VALU_DEP_2) | instskip(NEXT) | instid1(VALU_DEP_2)
	v_div_scale_f32 v15, vcc_lo, v3, v4, v3
	v_div_scale_f32 v16, s4, v6, v4, v6
	s_waitcnt vmcnt(1)
	ds_load_b32 v7, v7 offset:4352
	s_waitcnt lgkmcnt(0)
	v_fma_mix_f32 v8, v5, v7, v9 op_sel_hi:[0,1,0]
	v_fma_mix_f32 v9, v5, v7, v2 op_sel:[0,1,0] op_sel_hi:[0,1,0]
	v_div_scale_f32 v5, null, v4, v4, v3
	v_div_scale_f32 v7, null, v4, v4, v6
	s_waitcnt vmcnt(0)
	v_mad_u64_u32 v[1:2], null, v0, s9, v[12:13]
	v_div_scale_f32 v10, null, v4, v4, v8
	v_rcp_f32_e32 v2, v5
	v_rcp_f32_e32 v12, v7
	v_div_scale_f32 v11, null, v4, v4, v9
	s_delay_alu instid0(VALU_DEP_2) | instskip(SKIP_1) | instid1(VALU_DEP_2)
	v_rcp_f32_e32 v13, v10
	v_div_scale_f32 v17, s5, v8, v4, v8
	v_rcp_f32_e32 v14, v11
	v_div_scale_f32 v21, s6, v9, v4, v9
	v_fma_f32 v0, -v5, v2, 1.0
	s_delay_alu instid0(TRANS32_DEP_3)
	v_fma_f32 v18, -v7, v12, 1.0
	s_waitcnt_depctr 0xfff
	v_fma_f32 v19, -v10, v13, 1.0
	v_fmac_f32_e32 v2, v0, v2
	v_fmac_f32_e32 v12, v18, v12
	v_fma_f32 v20, -v11, v14, 1.0
	v_lshl_add_u32 v0, v1, 6, v222
	v_fmac_f32_e32 v13, v19, v13
	s_delay_alu instid0(VALU_DEP_4) | instskip(NEXT) | instid1(VALU_DEP_4)
	v_dual_mul_f32 v18, v15, v2 :: v_dual_mul_f32 v19, v16, v12
	v_fmac_f32_e32 v14, v20, v14
	s_delay_alu instid0(VALU_DEP_4) | instskip(NEXT) | instid1(VALU_DEP_3)
	v_ashrrev_i32_e32 v1, 31, v0
	v_fma_f32 v23, -v5, v18, v15
	s_delay_alu instid0(VALU_DEP_4) | instskip(SKIP_3) | instid1(VALU_DEP_4)
	v_fma_f32 v24, -v7, v19, v16
	v_mul_f32_e32 v20, v17, v13
	v_mul_f32_e32 v22, v21, v14
	v_lshlrev_b64 v[0:1], 3, v[0:1]
	v_dual_fmac_f32 v18, v23, v2 :: v_dual_fmac_f32 v19, v24, v12
	s_delay_alu instid0(VALU_DEP_4) | instskip(NEXT) | instid1(VALU_DEP_4)
	v_fma_f32 v25, -v10, v20, v17
	v_fma_f32 v26, -v11, v22, v21
	s_delay_alu instid0(VALU_DEP_3) | instskip(NEXT) | instid1(VALU_DEP_4)
	v_fma_f32 v5, -v5, v18, v15
	v_fma_f32 v7, -v7, v19, v16
	s_delay_alu instid0(VALU_DEP_4) | instskip(NEXT) | instid1(VALU_DEP_4)
	v_fmac_f32_e32 v20, v25, v13
	v_fmac_f32_e32 v22, v26, v14
	s_delay_alu instid0(VALU_DEP_4) | instskip(SKIP_1) | instid1(VALU_DEP_3)
	v_div_fmas_f32 v2, v5, v2, v18
	s_mov_b32 vcc_lo, s4
	v_fma_f32 v10, -v10, v20, v17
	s_delay_alu instid0(VALU_DEP_3)
	v_fma_f32 v11, -v11, v22, v21
	v_div_fmas_f32 v5, v7, v12, v19
	s_mov_b32 vcc_lo, s5
	v_div_fixup_f32 v2, v2, v4, v3
	v_div_fmas_f32 v7, v10, v13, v20
	s_mov_b32 vcc_lo, s6
	v_div_fixup_f32 v3, v5, v4, v6
	v_div_fmas_f32 v10, v11, v14, v22
	v_add_co_u32 v5, vcc_lo, s83, v0
	v_add_co_ci_u32_e32 v6, vcc_lo, s67, v1, vcc_lo
	v_mov_b32_e32 v1, 0
	v_div_fixup_f32 v7, v7, v4, v8
	v_div_fixup_f32 v8, v10, v4, v9
	s_clause 0x1
	global_store_b64 v[5:6], v[2:3], off
	global_store_b64 v[5:6], v[7:8], off offset:256
.LBB24_259:                             ;   in Loop: Header=BB24_12 Depth=1
	s_or_b32 exec_lo, exec_lo, s14
	s_mov_b32 s4, -1
	s_mov_b32 s5, exec_lo
	v_cmpx_gt_i32_e32 0x47, v1
; %bb.260:                              ;   in Loop: Header=BB24_12 Depth=1
	v_cmp_eq_u32_e32 vcc_lo, 0, v1
	s_or_not1_b32 s4, vcc_lo, exec_lo
; %bb.261:                              ;   in Loop: Header=BB24_12 Depth=1
	s_or_b32 exec_lo, exec_lo, s5
	s_delay_alu instid0(SALU_CYCLE_1)
	s_and_b32 exec_lo, exec_lo, s4
	s_cbranch_execz .LBB24_10
; %bb.262:                              ;   in Loop: Header=BB24_12 Depth=1
	scratch_load_b32 v0, off, off offset:796 ; 4-byte Folded Reload
	s_waitcnt vmcnt(0)
	v_dual_mov_b32 v1, 0x47 :: v_dual_add_nc_u32 v0, s74, v0
	s_delay_alu instid0(VALU_DEP_1) | instskip(SKIP_1) | instid1(SALU_CYCLE_1)
	v_cmp_gt_i32_e32 vcc_lo, s8, v0
	s_and_b32 s3, vcc_lo, s3
	s_and_saveexec_b32 s6, s3
	s_cbranch_execz .LBB24_264
; %bb.263:                              ;   in Loop: Header=BB24_12 Depth=1
	s_clause 0x1
	scratch_load_b32 v1, off, off offset:808
	scratch_load_b32 v6, off, off offset:812
	s_waitcnt vmcnt(1)
	v_add_nc_u32_e32 v5, 0, v1
	s_waitcnt vmcnt(0)
	ds_load_2addr_b32 v[1:2], v6 offset1:32
	ds_load_2addr_b32 v[3:4], v5 offset0:64 offset1:65
	ds_load_b32 v6, v6 offset:4352
	ds_load_b32 v5, v5 offset:4608
	s_clause 0x1
	scratch_load_b32 v7, off, off offset:816
	scratch_load_b64 v[12:13], off, off offset:188
	s_waitcnt lgkmcnt(2)
	v_fma_mix_f32 v8, v3, v1, 0 op_sel_hi:[0,1,0]
	v_fma_mix_f32 v1, v3, v1, 0 op_sel:[0,1,0] op_sel_hi:[0,1,0]
	v_fma_mix_f32 v9, v3, v2, 0 op_sel_hi:[0,1,0]
	v_fma_mix_f32 v2, v3, v2, 0 op_sel:[0,1,0] op_sel_hi:[0,1,0]
	s_waitcnt lgkmcnt(0)
	v_fma_mix_f32 v3, v5, v6, v8 op_sel_hi:[0,1,0]
	v_fma_mix_f32 v6, v5, v6, v1 op_sel:[0,1,0] op_sel_hi:[0,1,0]
	s_delay_alu instid0(VALU_DEP_2) | instskip(NEXT) | instid1(VALU_DEP_2)
	v_div_scale_f32 v15, vcc_lo, v3, v4, v3
	v_div_scale_f32 v16, s3, v6, v4, v6
	s_waitcnt vmcnt(1)
	ds_load_b32 v7, v7 offset:4352
	s_waitcnt lgkmcnt(0)
	v_fma_mix_f32 v8, v5, v7, v9 op_sel_hi:[0,1,0]
	v_fma_mix_f32 v9, v5, v7, v2 op_sel:[0,1,0] op_sel_hi:[0,1,0]
	v_div_scale_f32 v5, null, v4, v4, v3
	v_div_scale_f32 v7, null, v4, v4, v6
	s_waitcnt vmcnt(0)
	v_mad_u64_u32 v[1:2], null, v0, s9, v[12:13]
	v_div_scale_f32 v10, null, v4, v4, v8
	v_rcp_f32_e32 v2, v5
	v_rcp_f32_e32 v12, v7
	v_div_scale_f32 v11, null, v4, v4, v9
	s_delay_alu instid0(VALU_DEP_2) | instskip(SKIP_1) | instid1(VALU_DEP_2)
	v_rcp_f32_e32 v13, v10
	v_div_scale_f32 v17, s4, v8, v4, v8
	v_rcp_f32_e32 v14, v11
	v_div_scale_f32 v21, s5, v9, v4, v9
	v_fma_f32 v0, -v5, v2, 1.0
	s_delay_alu instid0(TRANS32_DEP_3)
	v_fma_f32 v18, -v7, v12, 1.0
	s_waitcnt_depctr 0xfff
	v_fma_f32 v19, -v10, v13, 1.0
	v_fmac_f32_e32 v2, v0, v2
	v_fmac_f32_e32 v12, v18, v12
	v_fma_f32 v20, -v11, v14, 1.0
	v_lshl_add_u32 v0, v1, 6, v222
	v_fmac_f32_e32 v13, v19, v13
	s_delay_alu instid0(VALU_DEP_4) | instskip(NEXT) | instid1(VALU_DEP_4)
	v_dual_mul_f32 v18, v15, v2 :: v_dual_mul_f32 v19, v16, v12
	v_fmac_f32_e32 v14, v20, v14
	s_delay_alu instid0(VALU_DEP_4) | instskip(NEXT) | instid1(VALU_DEP_3)
	v_ashrrev_i32_e32 v1, 31, v0
	v_fma_f32 v23, -v5, v18, v15
	s_delay_alu instid0(VALU_DEP_4) | instskip(SKIP_3) | instid1(VALU_DEP_4)
	v_fma_f32 v24, -v7, v19, v16
	v_mul_f32_e32 v20, v17, v13
	v_mul_f32_e32 v22, v21, v14
	v_lshlrev_b64 v[0:1], 3, v[0:1]
	v_dual_fmac_f32 v18, v23, v2 :: v_dual_fmac_f32 v19, v24, v12
	s_delay_alu instid0(VALU_DEP_4) | instskip(NEXT) | instid1(VALU_DEP_4)
	v_fma_f32 v25, -v10, v20, v17
	v_fma_f32 v26, -v11, v22, v21
	s_delay_alu instid0(VALU_DEP_3) | instskip(NEXT) | instid1(VALU_DEP_4)
	v_fma_f32 v5, -v5, v18, v15
	v_fma_f32 v7, -v7, v19, v16
	s_delay_alu instid0(VALU_DEP_4) | instskip(NEXT) | instid1(VALU_DEP_4)
	v_fmac_f32_e32 v20, v25, v13
	v_fmac_f32_e32 v22, v26, v14
	s_delay_alu instid0(VALU_DEP_4) | instskip(SKIP_1) | instid1(VALU_DEP_3)
	v_div_fmas_f32 v2, v5, v2, v18
	s_mov_b32 vcc_lo, s3
	v_fma_f32 v10, -v10, v20, v17
	s_delay_alu instid0(VALU_DEP_3)
	v_fma_f32 v11, -v11, v22, v21
	v_div_fmas_f32 v5, v7, v12, v19
	s_mov_b32 vcc_lo, s4
	v_div_fixup_f32 v2, v2, v4, v3
	v_div_fmas_f32 v7, v10, v13, v20
	s_mov_b32 vcc_lo, s5
	v_div_fixup_f32 v3, v5, v4, v6
	v_div_fmas_f32 v10, v11, v14, v22
	v_add_co_u32 v5, vcc_lo, s83, v0
	v_add_co_ci_u32_e32 v6, vcc_lo, s67, v1, vcc_lo
	v_mov_b32_e32 v1, 0
	v_div_fixup_f32 v7, v7, v4, v8
	v_div_fixup_f32 v8, v10, v4, v9
	s_clause 0x1
	global_store_b64 v[5:6], v[2:3], off
	global_store_b64 v[5:6], v[7:8], off offset:256
.LBB24_264:                             ;   in Loop: Header=BB24_12 Depth=1
	s_or_b32 exec_lo, exec_lo, s6
	s_mov_b32 s3, -1
	s_mov_b32 s4, exec_lo
	v_cmpx_gt_i32_e32 0x47, v1
; %bb.265:                              ;   in Loop: Header=BB24_12 Depth=1
	v_cmp_eq_u32_e32 vcc_lo, 0, v1
	s_or_not1_b32 s3, vcc_lo, exec_lo
; %bb.266:                              ;   in Loop: Header=BB24_12 Depth=1
	s_or_b32 exec_lo, exec_lo, s4
	s_delay_alu instid0(SALU_CYCLE_1)
	s_and_b32 exec_lo, exec_lo, s3
	s_cbranch_execz .LBB24_10
; %bb.267:                              ;   in Loop: Header=BB24_12 Depth=1
	s_clause 0x1
	scratch_load_b32 v0, off, off offset:820
	scratch_load_b64 v[1:2], off, off offset:800
	s_waitcnt vmcnt(1)
	v_add_nc_u32_e32 v0, s74, v0
	s_waitcnt vmcnt(0)
	v_or_b32_e32 v1, s94, v1
	s_delay_alu instid0(VALU_DEP_2) | instskip(NEXT) | instid1(VALU_DEP_2)
	v_cmp_gt_i32_e32 vcc_lo, s8, v0
	v_cmp_gt_i32_e64 s3, s33, v1
	s_delay_alu instid0(VALU_DEP_1) | instskip(NEXT) | instid1(SALU_CYCLE_1)
	s_and_b32 s3, vcc_lo, s3
	s_and_b32 exec_lo, exec_lo, s3
	s_cbranch_execz .LBB24_10
; %bb.268:                              ;   in Loop: Header=BB24_12 Depth=1
	s_clause 0x1
	scratch_load_b32 v1, off, off offset:824
	scratch_load_b32 v6, off, off offset:828
	s_waitcnt vmcnt(1)
	v_add_nc_u32_e32 v5, 0, v1
	s_waitcnt vmcnt(0)
	ds_load_2addr_b32 v[1:2], v6 offset1:32
	ds_load_2addr_b32 v[3:4], v5 offset0:64 offset1:65
	ds_load_b32 v6, v6 offset:4352
	ds_load_b32 v5, v5 offset:4608
	s_clause 0x1
	scratch_load_b32 v7, off, off offset:832
	scratch_load_b64 v[12:13], off, off offset:800
	s_waitcnt lgkmcnt(2)
	v_fma_mix_f32 v8, v3, v1, 0 op_sel_hi:[0,1,0]
	v_fma_mix_f32 v1, v3, v1, 0 op_sel:[0,1,0] op_sel_hi:[0,1,0]
	v_fma_mix_f32 v9, v3, v2, 0 op_sel_hi:[0,1,0]
	v_fma_mix_f32 v2, v3, v2, 0 op_sel:[0,1,0] op_sel_hi:[0,1,0]
	s_waitcnt lgkmcnt(0)
	v_fma_mix_f32 v3, v5, v6, v8 op_sel_hi:[0,1,0]
	v_fma_mix_f32 v6, v5, v6, v1 op_sel:[0,1,0] op_sel_hi:[0,1,0]
	s_delay_alu instid0(VALU_DEP_2) | instskip(NEXT) | instid1(VALU_DEP_2)
	v_div_scale_f32 v15, vcc_lo, v3, v4, v3
	v_div_scale_f32 v16, s3, v6, v4, v6
	s_waitcnt vmcnt(1)
	ds_load_b32 v7, v7 offset:4352
	s_waitcnt lgkmcnt(0)
	v_fma_mix_f32 v8, v5, v7, v9 op_sel_hi:[0,1,0]
	v_fma_mix_f32 v7, v5, v7, v2 op_sel:[0,1,0] op_sel_hi:[0,1,0]
	v_div_scale_f32 v5, null, v4, v4, v3
	v_div_scale_f32 v9, null, v4, v4, v6
	s_waitcnt vmcnt(0)
	v_mad_u64_u32 v[1:2], null, v0, s9, v[12:13]
	v_div_scale_f32 v10, null, v4, v4, v8
	v_rcp_f32_e32 v2, v5
	v_rcp_f32_e32 v12, v9
	v_div_scale_f32 v11, null, v4, v4, v7
	s_delay_alu instid0(VALU_DEP_2) | instskip(SKIP_1) | instid1(VALU_DEP_2)
	v_rcp_f32_e32 v13, v10
	v_div_scale_f32 v17, s4, v8, v4, v8
	v_rcp_f32_e32 v14, v11
	v_div_scale_f32 v21, s5, v7, v4, v7
	v_fma_f32 v0, -v5, v2, 1.0
	s_delay_alu instid0(TRANS32_DEP_3)
	v_fma_f32 v18, -v9, v12, 1.0
	s_waitcnt_depctr 0xfff
	v_fma_f32 v19, -v10, v13, 1.0
	v_fmac_f32_e32 v2, v0, v2
	v_fmac_f32_e32 v12, v18, v12
	v_fma_f32 v20, -v11, v14, 1.0
	v_lshl_add_u32 v0, v1, 6, v222
	v_fmac_f32_e32 v13, v19, v13
	s_delay_alu instid0(VALU_DEP_4) | instskip(NEXT) | instid1(VALU_DEP_4)
	v_dual_mul_f32 v18, v15, v2 :: v_dual_mul_f32 v19, v16, v12
	v_fmac_f32_e32 v14, v20, v14
	s_delay_alu instid0(VALU_DEP_4) | instskip(NEXT) | instid1(VALU_DEP_3)
	v_ashrrev_i32_e32 v1, 31, v0
	v_fma_f32 v23, -v5, v18, v15
	s_delay_alu instid0(VALU_DEP_4) | instskip(SKIP_3) | instid1(VALU_DEP_4)
	v_fma_f32 v24, -v9, v19, v16
	v_mul_f32_e32 v20, v17, v13
	v_mul_f32_e32 v22, v21, v14
	v_lshlrev_b64 v[0:1], 3, v[0:1]
	v_dual_fmac_f32 v18, v23, v2 :: v_dual_fmac_f32 v19, v24, v12
	s_delay_alu instid0(VALU_DEP_4) | instskip(NEXT) | instid1(VALU_DEP_4)
	v_fma_f32 v25, -v10, v20, v17
	v_fma_f32 v26, -v11, v22, v21
	s_delay_alu instid0(VALU_DEP_3) | instskip(NEXT) | instid1(VALU_DEP_4)
	v_fma_f32 v5, -v5, v18, v15
	v_fma_f32 v9, -v9, v19, v16
	s_delay_alu instid0(VALU_DEP_4) | instskip(NEXT) | instid1(VALU_DEP_4)
	v_fmac_f32_e32 v20, v25, v13
	v_fmac_f32_e32 v22, v26, v14
	s_delay_alu instid0(VALU_DEP_4) | instskip(SKIP_1) | instid1(VALU_DEP_3)
	v_div_fmas_f32 v2, v5, v2, v18
	s_mov_b32 vcc_lo, s3
	v_fma_f32 v10, -v10, v20, v17
	s_delay_alu instid0(VALU_DEP_3)
	v_fma_f32 v11, -v11, v22, v21
	v_div_fmas_f32 v5, v9, v12, v19
	s_mov_b32 vcc_lo, s4
	v_div_fixup_f32 v2, v2, v4, v3
	v_div_fmas_f32 v9, v10, v13, v20
	s_mov_b32 vcc_lo, s5
	v_div_fixup_f32 v3, v5, v4, v6
	v_div_fmas_f32 v10, v11, v14, v22
	v_add_co_u32 v0, vcc_lo, s83, v0
	v_add_co_ci_u32_e32 v1, vcc_lo, s67, v1, vcc_lo
	v_div_fixup_f32 v5, v9, v4, v8
	s_delay_alu instid0(VALU_DEP_4)
	v_div_fixup_f32 v6, v10, v4, v7
	s_clause 0x1
	global_store_b64 v[0:1], v[2:3], off
	global_store_b64 v[0:1], v[5:6], off offset:256
	s_branch .LBB24_10
.LBB24_269:
	s_clause 0x7
	scratch_load_b32 v167, off, off offset:552
	scratch_load_b32 v168, off, off offset:556
	;; [unrolled: 1-line block ×8, first 2 shown]
	v_readlane_b32 s36, v255, 4
	v_readlane_b32 s37, v255, 3
	;; [unrolled: 1-line block ×5, first 2 shown]
	s_and_not1_b32 vcc_lo, exec_lo, s3
	s_cbranch_vccnz .LBB24_8
.LBB24_270:
	s_abs_i32 s0, s77
	s_abs_i32 s3, s58
	v_cvt_f32_u32_e32 v0, s0
	s_sub_i32 s2, 0, s0
	v_mov_b32_e32 v64, s99
	s_delay_alu instid0(VALU_DEP_2) | instskip(SKIP_2) | instid1(VALU_DEP_1)
	v_rcp_iflag_f32_e32 v0, v0
	s_waitcnt_depctr 0xfff
	v_mul_f32_e32 v0, 0x4f7ffffe, v0
	v_cvt_u32_f32_e32 v0, v0
	s_delay_alu instid0(VALU_DEP_1) | instskip(NEXT) | instid1(VALU_DEP_1)
	v_readfirstlane_b32 s1, v0
	s_mul_i32 s2, s2, s1
	s_delay_alu instid0(SALU_CYCLE_1) | instskip(NEXT) | instid1(SALU_CYCLE_1)
	s_mul_hi_u32 s2, s1, s2
	s_add_i32 s1, s1, s2
	s_xor_b32 s2, s58, s77
	s_mul_hi_u32 s1, s3, s1
	s_ashr_i32 s2, s2, 31
	s_mul_i32 s4, s1, s0
	s_delay_alu instid0(SALU_CYCLE_1)
	s_sub_i32 s3, s3, s4
	s_add_i32 s4, s1, 1
	s_sub_i32 s5, s3, s0
	s_cmp_ge_u32 s3, s0
	s_cselect_b32 s1, s4, s1
	s_cselect_b32 s3, s5, s3
	s_add_i32 s4, s1, 1
	s_cmp_ge_u32 s3, s0
	s_cselect_b32 s0, s4, s1
	s_abs_i32 s1, s78
	s_xor_b32 s0, s0, s2
	v_cvt_f32_u32_e32 v0, s1
	s_sub_i32 s2, s0, s2
	s_sub_i32 s0, 0, s1
	s_mul_i32 s4, s2, s77
	s_delay_alu instid0(VALU_DEP_1) | instskip(SKIP_1) | instid1(SALU_CYCLE_1)
	v_rcp_iflag_f32_e32 v0, v0
	s_sub_i32 s4, s58, s4
	s_abs_i32 s5, s4
	s_waitcnt_depctr 0xfff
	v_mul_f32_e32 v0, 0x4f7ffffe, v0
	s_delay_alu instid0(VALU_DEP_1) | instskip(NEXT) | instid1(VALU_DEP_1)
	v_cvt_u32_f32_e32 v0, v0
	v_readfirstlane_b32 s3, v0
	s_delay_alu instid0(VALU_DEP_1) | instskip(NEXT) | instid1(SALU_CYCLE_1)
	s_mul_i32 s0, s0, s3
	s_mul_hi_u32 s0, s3, s0
	s_delay_alu instid0(SALU_CYCLE_1) | instskip(NEXT) | instid1(SALU_CYCLE_1)
	s_add_i32 s3, s3, s0
	s_mul_hi_u32 s0, s5, s3
	s_xor_b32 s3, s4, s78
	s_mul_i32 s6, s0, s1
	s_ashr_i32 s3, s3, 31
	s_sub_i32 s5, s5, s6
	s_add_i32 s6, s0, 1
	s_sub_i32 s7, s5, s1
	s_cmp_ge_u32 s5, s1
	s_cselect_b32 s0, s6, s0
	s_cselect_b32 s5, s7, s5
	s_add_i32 s6, s0, 1
	s_cmp_ge_u32 s5, s1
	s_cselect_b32 s0, s6, s0
	s_abs_i32 s1, s75
	s_xor_b32 s0, s0, s3
	v_cvt_f32_u32_e32 v0, s1
	s_sub_i32 s3, s0, s3
	s_sub_i32 s0, 0, s1
	s_mul_i32 s6, s3, s78
	s_delay_alu instid0(VALU_DEP_1) | instskip(SKIP_1) | instid1(SALU_CYCLE_1)
	v_rcp_iflag_f32_e32 v0, v0
	s_sub_i32 s4, s4, s6
	s_abs_i32 s6, s4
	s_waitcnt_depctr 0xfff
	v_mul_f32_e32 v0, 0x4f7ffffe, v0
	s_delay_alu instid0(VALU_DEP_1) | instskip(NEXT) | instid1(VALU_DEP_1)
	v_cvt_u32_f32_e32 v0, v0
	v_readfirstlane_b32 s5, v0
	s_delay_alu instid0(VALU_DEP_1) | instskip(NEXT) | instid1(SALU_CYCLE_1)
	s_mul_i32 s0, s0, s5
	s_mul_hi_u32 s0, s5, s0
	s_delay_alu instid0(SALU_CYCLE_1) | instskip(NEXT) | instid1(SALU_CYCLE_1)
	s_add_i32 s5, s5, s0
	s_mul_hi_u32 s0, s6, s5
	s_xor_b32 s5, s4, s75
	s_mul_i32 s7, s0, s1
	s_ashr_i32 s5, s5, 31
	s_sub_i32 s6, s6, s7
	s_add_i32 s7, s0, 1
	s_sub_i32 s9, s6, s1
	s_cmp_ge_u32 s6, s1
	s_cselect_b32 s0, s7, s0
	s_cselect_b32 s6, s9, s6
	s_add_i32 s7, s0, 1
	s_cmp_ge_u32 s6, s1
	s_cselect_b32 s0, s7, s0
	v_readlane_b32 s7, v255, 0
	s_xor_b32 s0, s0, s5
	s_delay_alu instid0(SALU_CYCLE_1) | instskip(NEXT) | instid1(SALU_CYCLE_1)
	s_sub_i32 s0, s0, s5
	s_mul_i32 s1, s0, s75
	s_delay_alu instid0(SALU_CYCLE_1) | instskip(NEXT) | instid1(SALU_CYCLE_1)
	s_sub_i32 s1, s4, s1
	s_abs_i32 s4, s1
	s_ashr_i32 s1, s1, 31
	s_mul_hi_u32 s5, s4, s79
	s_xor_b32 s1, s1, s7
	s_mul_i32 s6, s5, s81
	s_delay_alu instid0(SALU_CYCLE_1)
	s_sub_i32 s4, s4, s6
	s_add_i32 s6, s5, 1
	s_sub_i32 s7, s4, s81
	s_cmp_ge_u32 s4, s81
	s_cselect_b32 s5, s6, s5
	s_cselect_b32 s4, s7, s4
	s_add_i32 s6, s5, 1
	s_cmp_ge_u32 s4, s81
	s_cselect_b32 s5, s6, s5
	s_abs_i32 s4, s14
	s_xor_b32 s5, s5, s1
	v_cvt_f32_u32_e32 v0, s4
	s_sub_i32 s1, s5, s1
	s_cmp_eq_u64 s[26:27], 0
	s_delay_alu instid0(VALU_DEP_1) | instskip(SKIP_2) | instid1(VALU_DEP_1)
	v_rcp_iflag_f32_e32 v0, v0
	s_waitcnt_depctr 0xfff
	v_mul_f32_e32 v0, 0x4f7ffffe, v0
	v_cvt_u32_f32_e32 v0, v0
	s_delay_alu instid0(VALU_DEP_1)
	v_readfirstlane_b32 s7, v0
	s_cbranch_scc1 .LBB24_272
; %bb.271:
	s_mul_i32 s5, s2, s76
	v_mov_b32_e32 v0, 0
	s_add_i32 s14, s1, s5
	s_delay_alu instid0(SALU_CYCLE_1) | instskip(NEXT) | instid1(SALU_CYCLE_1)
	s_ashr_i32 s15, s14, 31
	s_lshl_b64 s[14:15], s[14:15], 2
	s_delay_alu instid0(SALU_CYCLE_1) | instskip(SKIP_4) | instid1(VALU_DEP_1)
	s_add_u32 s14, s26, s14
	s_addc_u32 s15, s27, s15
	global_load_b32 v0, v0, s[14:15]
	s_waitcnt vmcnt(0)
	v_ashrrev_i32_e32 v1, 31, v0
	v_lshrrev_b32_e32 v1, 26, v1
	s_delay_alu instid0(VALU_DEP_1) | instskip(NEXT) | instid1(VALU_DEP_1)
	v_add_nc_u32_e32 v0, v0, v1
	v_ashrrev_i32_e32 v0, 6, v0
	s_delay_alu instid0(VALU_DEP_1)
	v_min_i32_e32 v64, s99, v0
.LBB24_272:
	s_mul_i32 s5, s3, s33
	s_lshl_b32 s0, s0, 2
	s_mul_i32 s6, s2, s57
	s_add_i32 s5, s0, s5
	s_ashr_i32 s9, s6, 31
	s_mul_i32 s5, s5, s56
	s_add_u32 s6, s16, s6
	s_addc_u32 s9, s17, s9
	s_ashr_i32 s11, s5, 31
	s_add_u32 s5, s6, s5
	s_addc_u32 s6, s9, s11
	s_lshl_b32 s1, s1, 3
	v_or_b32_e32 v1, s0, v221
	v_add_nc_u32_e32 v0, s1, v233
	s_delay_alu instid0(VALU_DEP_2) | instskip(NEXT) | instid1(VALU_DEP_2)
	v_cmp_gt_i32_e32 vcc_lo, s33, v1
	v_cmp_le_i32_e64 s0, s8, v0
	s_xor_b32 s9, vcc_lo, -1
	s_delay_alu instid0(VALU_DEP_1) | instid1(SALU_CYCLE_1)
	s_or_b32 s0, s0, s9
	s_delay_alu instid0(SALU_CYCLE_1) | instskip(NEXT) | instid1(SALU_CYCLE_1)
	s_and_saveexec_b32 s11, s0
	s_xor_b32 s0, exec_lo, s11
	s_cbranch_execz .LBB24_274
; %bb.273:
	v_mad_u32_u24 v0, 0x44, v204, v222
	v_mov_b32_e32 v1, 0
	s_delay_alu instid0(VALU_DEP_2)
	v_lshl_add_u32 v0, v0, 2, 0
	ds_store_2addr_b32 v0, v1, v1 offset1:32
                                        ; implicit-def: $vgpr0
.LBB24_274:
	s_and_not1_saveexec_b32 s0, s0
	s_cbranch_execz .LBB24_276
; %bb.275:
	v_mul_lo_u32 v0, v0, s59
	v_mul_lo_u32 v1, v221, s41
	v_mad_u32_u24 v4, 0x44, v204, v222
	s_delay_alu instid0(VALU_DEP_2) | instskip(NEXT) | instid1(VALU_DEP_1)
	v_add3_u32 v0, v0, v1, v222
	v_ashrrev_i32_e32 v1, 31, v0
	s_delay_alu instid0(VALU_DEP_1) | instskip(NEXT) | instid1(VALU_DEP_1)
	v_lshlrev_b64 v[0:1], 3, v[0:1]
	v_add_co_u32 v0, vcc_lo, s5, v0
	s_delay_alu instid0(VALU_DEP_2)
	v_add_co_ci_u32_e32 v1, vcc_lo, s6, v1, vcc_lo
	s_clause 0x1
	global_load_b64 v[2:3], v[0:1], off
	global_load_b64 v[0:1], v[0:1], off offset:256
	s_waitcnt vmcnt(1)
	v_cvt_f16_f32_e32 v2, v2
	v_cvt_f16_f32_e32 v3, v3
	s_waitcnt vmcnt(0)
	v_cvt_f16_f32_e32 v0, v0
	v_cvt_f16_f32_e32 v1, v1
	s_delay_alu instid0(VALU_DEP_3) | instskip(NEXT) | instid1(VALU_DEP_2)
	v_pack_b32_f16 v2, v2, v3
	v_pack_b32_f16 v0, v0, v1
	v_lshl_add_u32 v1, v4, 2, 0
	s_delay_alu instid0(VALU_DEP_3) | instskip(NEXT) | instid1(VALU_DEP_3)
	v_pk_mul_f16 v2, v219, v2
	v_pk_mul_f16 v0, v219, v0
	ds_store_2addr_b32 v1, v2, v0 offset1:32
.LBB24_276:
	s_or_b32 exec_lo, exec_lo, s0
	v_lshrrev_b32_e32 v0, 2, v220
	s_delay_alu instid0(VALU_DEP_1) | instskip(NEXT) | instid1(VALU_DEP_1)
	v_add_nc_u32_e32 v0, s1, v0
	v_cmp_le_i32_e32 vcc_lo, s8, v0
	s_or_b32 s0, vcc_lo, s9
	s_delay_alu instid0(SALU_CYCLE_1) | instskip(NEXT) | instid1(SALU_CYCLE_1)
	s_and_saveexec_b32 s11, s0
	s_xor_b32 s0, exec_lo, s11
	s_cbranch_execz .LBB24_278
; %bb.277:
	v_mad_u32_u24 v0, 0x44, v220, v222
	v_mov_b32_e32 v1, 0
	s_delay_alu instid0(VALU_DEP_2)
	v_lshl_add_u32 v0, v0, 2, 0
	ds_store_2addr_b32 v0, v1, v1 offset1:32
                                        ; implicit-def: $vgpr0
.LBB24_278:
	s_and_not1_saveexec_b32 s0, s0
	s_cbranch_execz .LBB24_280
; %bb.279:
	v_mul_lo_u32 v0, v0, s59
	v_mul_lo_u32 v1, v221, s41
	v_mad_u32_u24 v4, 0x44, v220, v222
	s_delay_alu instid0(VALU_DEP_2) | instskip(NEXT) | instid1(VALU_DEP_1)
	v_add3_u32 v0, v0, v1, v222
	v_ashrrev_i32_e32 v1, 31, v0
	s_delay_alu instid0(VALU_DEP_1) | instskip(NEXT) | instid1(VALU_DEP_1)
	v_lshlrev_b64 v[0:1], 3, v[0:1]
	v_add_co_u32 v0, vcc_lo, s5, v0
	s_delay_alu instid0(VALU_DEP_2)
	v_add_co_ci_u32_e32 v1, vcc_lo, s6, v1, vcc_lo
	s_clause 0x1
	global_load_b64 v[2:3], v[0:1], off
	global_load_b64 v[0:1], v[0:1], off offset:256
	s_waitcnt vmcnt(1)
	v_cvt_f16_f32_e32 v2, v2
	v_cvt_f16_f32_e32 v3, v3
	s_waitcnt vmcnt(0)
	v_cvt_f16_f32_e32 v0, v0
	v_cvt_f16_f32_e32 v1, v1
	s_delay_alu instid0(VALU_DEP_3) | instskip(NEXT) | instid1(VALU_DEP_2)
	v_pack_b32_f16 v2, v2, v3
	v_pack_b32_f16 v0, v0, v1
	v_lshl_add_u32 v1, v4, 2, 0
	s_delay_alu instid0(VALU_DEP_3) | instskip(NEXT) | instid1(VALU_DEP_3)
	v_pk_mul_f16 v2, v219, v2
	v_pk_mul_f16 v0, v219, v0
	ds_store_2addr_b32 v1, v2, v0 offset1:32
.LBB24_280:
	s_or_b32 exec_lo, exec_lo, s0
	s_waitcnt vmcnt(0)
	v_lshrrev_b32_e32 v0, 2, v75
	s_delay_alu instid0(VALU_DEP_1) | instskip(NEXT) | instid1(VALU_DEP_1)
	v_add_nc_u32_e32 v0, s1, v0
	v_cmp_le_i32_e32 vcc_lo, s8, v0
	s_or_b32 s0, vcc_lo, s9
	s_delay_alu instid0(SALU_CYCLE_1) | instskip(NEXT) | instid1(SALU_CYCLE_1)
	s_and_saveexec_b32 s11, s0
	s_xor_b32 s0, exec_lo, s11
	s_cbranch_execz .LBB24_282
; %bb.281:
	v_mad_u32_u24 v0, 0x44, v75, v222
	v_mov_b32_e32 v1, 0
                                        ; implicit-def: $vgpr75
	s_delay_alu instid0(VALU_DEP_2)
	v_lshl_add_u32 v0, v0, 2, 0
	ds_store_2addr_b32 v0, v1, v1 offset1:32
                                        ; implicit-def: $vgpr0
.LBB24_282:
	s_and_not1_saveexec_b32 s0, s0
	s_cbranch_execz .LBB24_284
; %bb.283:
	v_mul_lo_u32 v0, v0, s59
	v_mul_lo_u32 v1, v221, s41
	v_mad_u32_u24 v4, 0x44, v75, v222
	s_delay_alu instid0(VALU_DEP_2) | instskip(NEXT) | instid1(VALU_DEP_1)
	v_add3_u32 v0, v0, v1, v222
	v_ashrrev_i32_e32 v1, 31, v0
	s_delay_alu instid0(VALU_DEP_1) | instskip(NEXT) | instid1(VALU_DEP_1)
	v_lshlrev_b64 v[0:1], 3, v[0:1]
	v_add_co_u32 v0, vcc_lo, s5, v0
	s_delay_alu instid0(VALU_DEP_2)
	v_add_co_ci_u32_e32 v1, vcc_lo, s6, v1, vcc_lo
	s_clause 0x1
	global_load_b64 v[2:3], v[0:1], off
	global_load_b64 v[0:1], v[0:1], off offset:256
	s_waitcnt vmcnt(1)
	v_cvt_f16_f32_e32 v2, v2
	v_cvt_f16_f32_e32 v3, v3
	s_waitcnt vmcnt(0)
	v_cvt_f16_f32_e32 v0, v0
	v_cvt_f16_f32_e32 v1, v1
	s_delay_alu instid0(VALU_DEP_3) | instskip(NEXT) | instid1(VALU_DEP_2)
	v_pack_b32_f16 v2, v2, v3
	v_pack_b32_f16 v0, v0, v1
	v_lshl_add_u32 v1, v4, 2, 0
	s_delay_alu instid0(VALU_DEP_3) | instskip(NEXT) | instid1(VALU_DEP_3)
	v_pk_mul_f16 v2, v219, v2
	v_pk_mul_f16 v0, v219, v0
	ds_store_2addr_b32 v1, v2, v0 offset1:32
.LBB24_284:
	s_or_b32 exec_lo, exec_lo, s0
	v_lshrrev_b32_e32 v0, 2, v74
	s_delay_alu instid0(VALU_DEP_1) | instskip(NEXT) | instid1(VALU_DEP_1)
	v_add_nc_u32_e32 v0, s1, v0
	v_cmp_le_i32_e32 vcc_lo, s8, v0
	s_or_b32 s0, vcc_lo, s9
	s_delay_alu instid0(SALU_CYCLE_1) | instskip(NEXT) | instid1(SALU_CYCLE_1)
	s_and_saveexec_b32 s11, s0
	s_xor_b32 s0, exec_lo, s11
	s_cbranch_execz .LBB24_286
; %bb.285:
	v_mad_u32_u24 v0, 0x44, v74, v222
	v_mov_b32_e32 v1, 0
                                        ; implicit-def: $vgpr74
	s_delay_alu instid0(VALU_DEP_2)
	v_lshl_add_u32 v0, v0, 2, 0
	ds_store_2addr_b32 v0, v1, v1 offset1:32
                                        ; implicit-def: $vgpr0
.LBB24_286:
	s_and_not1_saveexec_b32 s0, s0
	s_cbranch_execz .LBB24_288
; %bb.287:
	v_mul_lo_u32 v0, v0, s59
	v_mul_lo_u32 v1, v221, s41
	v_mad_u32_u24 v4, 0x44, v74, v222
	s_delay_alu instid0(VALU_DEP_2) | instskip(NEXT) | instid1(VALU_DEP_1)
	v_add3_u32 v0, v0, v1, v222
	v_ashrrev_i32_e32 v1, 31, v0
	s_delay_alu instid0(VALU_DEP_1) | instskip(NEXT) | instid1(VALU_DEP_1)
	v_lshlrev_b64 v[0:1], 3, v[0:1]
	v_add_co_u32 v0, vcc_lo, s5, v0
	s_delay_alu instid0(VALU_DEP_2)
	v_add_co_ci_u32_e32 v1, vcc_lo, s6, v1, vcc_lo
	s_clause 0x1
	global_load_b64 v[2:3], v[0:1], off
	global_load_b64 v[0:1], v[0:1], off offset:256
	s_waitcnt vmcnt(1)
	v_cvt_f16_f32_e32 v2, v2
	v_cvt_f16_f32_e32 v3, v3
	s_waitcnt vmcnt(0)
	v_cvt_f16_f32_e32 v0, v0
	v_cvt_f16_f32_e32 v1, v1
	s_delay_alu instid0(VALU_DEP_3) | instskip(NEXT) | instid1(VALU_DEP_2)
	v_pack_b32_f16 v2, v2, v3
	v_pack_b32_f16 v0, v0, v1
	v_lshl_add_u32 v1, v4, 2, 0
	s_delay_alu instid0(VALU_DEP_3) | instskip(NEXT) | instid1(VALU_DEP_3)
	v_pk_mul_f16 v2, v219, v2
	v_pk_mul_f16 v0, v219, v0
	ds_store_2addr_b32 v1, v2, v0 offset1:32
.LBB24_288:
	s_or_b32 exec_lo, exec_lo, s0
	v_lshrrev_b32_e32 v0, 2, v73
	s_delay_alu instid0(VALU_DEP_1) | instskip(NEXT) | instid1(VALU_DEP_1)
	v_add_nc_u32_e32 v0, s1, v0
	v_cmp_le_i32_e32 vcc_lo, s8, v0
	s_or_b32 s0, vcc_lo, s9
	s_delay_alu instid0(SALU_CYCLE_1) | instskip(NEXT) | instid1(SALU_CYCLE_1)
	s_and_saveexec_b32 s11, s0
	s_xor_b32 s0, exec_lo, s11
	s_cbranch_execz .LBB24_290
; %bb.289:
	v_mad_u32_u24 v0, 0x44, v73, v222
	v_mov_b32_e32 v1, 0
                                        ; implicit-def: $vgpr73
	s_delay_alu instid0(VALU_DEP_2)
	v_lshl_add_u32 v0, v0, 2, 0
	ds_store_2addr_b32 v0, v1, v1 offset1:32
                                        ; implicit-def: $vgpr0
.LBB24_290:
	s_and_not1_saveexec_b32 s0, s0
	s_cbranch_execz .LBB24_292
; %bb.291:
	v_mul_lo_u32 v0, v0, s59
	v_mul_lo_u32 v1, v221, s41
	v_mad_u32_u24 v4, 0x44, v73, v222
	s_delay_alu instid0(VALU_DEP_2) | instskip(NEXT) | instid1(VALU_DEP_1)
	v_add3_u32 v0, v0, v1, v222
	v_ashrrev_i32_e32 v1, 31, v0
	s_delay_alu instid0(VALU_DEP_1) | instskip(NEXT) | instid1(VALU_DEP_1)
	v_lshlrev_b64 v[0:1], 3, v[0:1]
	v_add_co_u32 v0, vcc_lo, s5, v0
	s_delay_alu instid0(VALU_DEP_2)
	v_add_co_ci_u32_e32 v1, vcc_lo, s6, v1, vcc_lo
	s_clause 0x1
	global_load_b64 v[2:3], v[0:1], off
	global_load_b64 v[0:1], v[0:1], off offset:256
	s_waitcnt vmcnt(1)
	v_cvt_f16_f32_e32 v2, v2
	v_cvt_f16_f32_e32 v3, v3
	s_waitcnt vmcnt(0)
	v_cvt_f16_f32_e32 v0, v0
	v_cvt_f16_f32_e32 v1, v1
	s_delay_alu instid0(VALU_DEP_3) | instskip(NEXT) | instid1(VALU_DEP_2)
	v_pack_b32_f16 v2, v2, v3
	v_pack_b32_f16 v0, v0, v1
	v_lshl_add_u32 v1, v4, 2, 0
	s_delay_alu instid0(VALU_DEP_3) | instskip(NEXT) | instid1(VALU_DEP_3)
	v_pk_mul_f16 v2, v219, v2
	v_pk_mul_f16 v0, v219, v0
	ds_store_2addr_b32 v1, v2, v0 offset1:32
.LBB24_292:
	s_or_b32 exec_lo, exec_lo, s0
	v_lshrrev_b32_e32 v0, 2, v72
	s_sub_i32 s11, 0, s4
	s_delay_alu instid0(VALU_DEP_1) | instskip(NEXT) | instid1(VALU_DEP_1)
	v_add_nc_u32_e32 v0, s1, v0
	v_cmp_le_i32_e32 vcc_lo, s8, v0
	s_or_b32 s0, vcc_lo, s9
	s_delay_alu instid0(SALU_CYCLE_1) | instskip(NEXT) | instid1(SALU_CYCLE_1)
	s_and_saveexec_b32 s13, s0
	s_xor_b32 s0, exec_lo, s13
	s_cbranch_execz .LBB24_294
; %bb.293:
	v_mad_u32_u24 v0, 0x44, v72, v222
	v_mov_b32_e32 v1, 0
                                        ; implicit-def: $vgpr72
	s_delay_alu instid0(VALU_DEP_2)
	v_lshl_add_u32 v0, v0, 2, 0
	ds_store_2addr_b32 v0, v1, v1 offset1:32
                                        ; implicit-def: $vgpr0
.LBB24_294:
	s_or_saveexec_b32 s0, s0
	s_mul_i32 s11, s11, s7
	s_xor_b32 exec_lo, exec_lo, s0
	s_cbranch_execz .LBB24_296
; %bb.295:
	v_mul_lo_u32 v0, v0, s59
	v_mul_lo_u32 v1, v221, s41
	v_mad_u32_u24 v4, 0x44, v72, v222
	s_delay_alu instid0(VALU_DEP_2) | instskip(NEXT) | instid1(VALU_DEP_1)
	v_add3_u32 v0, v0, v1, v222
	v_ashrrev_i32_e32 v1, 31, v0
	s_delay_alu instid0(VALU_DEP_1) | instskip(NEXT) | instid1(VALU_DEP_1)
	v_lshlrev_b64 v[0:1], 3, v[0:1]
	v_add_co_u32 v0, vcc_lo, s5, v0
	s_delay_alu instid0(VALU_DEP_2)
	v_add_co_ci_u32_e32 v1, vcc_lo, s6, v1, vcc_lo
	s_clause 0x1
	global_load_b64 v[2:3], v[0:1], off
	global_load_b64 v[0:1], v[0:1], off offset:256
	s_waitcnt vmcnt(1)
	v_cvt_f16_f32_e32 v2, v2
	v_cvt_f16_f32_e32 v3, v3
	s_waitcnt vmcnt(0)
	v_cvt_f16_f32_e32 v0, v0
	v_cvt_f16_f32_e32 v1, v1
	s_delay_alu instid0(VALU_DEP_3) | instskip(NEXT) | instid1(VALU_DEP_2)
	v_pack_b32_f16 v2, v2, v3
	v_pack_b32_f16 v0, v0, v1
	v_lshl_add_u32 v1, v4, 2, 0
	s_delay_alu instid0(VALU_DEP_3) | instskip(NEXT) | instid1(VALU_DEP_3)
	v_pk_mul_f16 v2, v219, v2
	v_pk_mul_f16 v0, v219, v0
	ds_store_2addr_b32 v1, v2, v0 offset1:32
.LBB24_296:
	s_or_b32 exec_lo, exec_lo, s0
	v_lshrrev_b32_e32 v0, 2, v71
	s_mul_hi_u32 s13, s7, s11
	s_delay_alu instid0(VALU_DEP_1) | instskip(NEXT) | instid1(VALU_DEP_1)
	v_add_nc_u32_e32 v0, s1, v0
	v_cmp_le_i32_e32 vcc_lo, s8, v0
	s_or_b32 s0, vcc_lo, s9
	s_delay_alu instid0(SALU_CYCLE_1) | instskip(NEXT) | instid1(SALU_CYCLE_1)
	s_and_saveexec_b32 s11, s0
	s_xor_b32 s0, exec_lo, s11
	s_cbranch_execz .LBB24_298
; %bb.297:
	v_mad_u32_u24 v0, 0x44, v71, v222
	v_mov_b32_e32 v1, 0
                                        ; implicit-def: $vgpr71
	s_delay_alu instid0(VALU_DEP_2)
	v_lshl_add_u32 v0, v0, 2, 0
	ds_store_2addr_b32 v0, v1, v1 offset1:32
                                        ; implicit-def: $vgpr0
.LBB24_298:
	s_or_saveexec_b32 s0, s0
	s_abs_i32 s11, s2
	s_add_i32 s7, s7, s13
	s_xor_b32 exec_lo, exec_lo, s0
	s_cbranch_execz .LBB24_300
; %bb.299:
	v_mul_lo_u32 v0, v0, s59
	v_mul_lo_u32 v1, v221, s41
	v_mad_u32_u24 v4, 0x44, v71, v222
	s_delay_alu instid0(VALU_DEP_2) | instskip(NEXT) | instid1(VALU_DEP_1)
	v_add3_u32 v0, v0, v1, v222
	v_ashrrev_i32_e32 v1, 31, v0
	s_delay_alu instid0(VALU_DEP_1) | instskip(NEXT) | instid1(VALU_DEP_1)
	v_lshlrev_b64 v[0:1], 3, v[0:1]
	v_add_co_u32 v0, vcc_lo, s5, v0
	s_delay_alu instid0(VALU_DEP_2)
	v_add_co_ci_u32_e32 v1, vcc_lo, s6, v1, vcc_lo
	s_clause 0x1
	global_load_b64 v[2:3], v[0:1], off
	global_load_b64 v[0:1], v[0:1], off offset:256
	s_waitcnt vmcnt(1)
	v_cvt_f16_f32_e32 v2, v2
	v_cvt_f16_f32_e32 v3, v3
	s_waitcnt vmcnt(0)
	v_cvt_f16_f32_e32 v0, v0
	v_cvt_f16_f32_e32 v1, v1
	s_delay_alu instid0(VALU_DEP_3) | instskip(NEXT) | instid1(VALU_DEP_2)
	v_pack_b32_f16 v2, v2, v3
	v_pack_b32_f16 v0, v0, v1
	v_lshl_add_u32 v1, v4, 2, 0
	s_delay_alu instid0(VALU_DEP_3) | instskip(NEXT) | instid1(VALU_DEP_3)
	v_pk_mul_f16 v2, v219, v2
	v_pk_mul_f16 v0, v219, v0
	ds_store_2addr_b32 v1, v2, v0 offset1:32
.LBB24_300:
	s_or_b32 exec_lo, exec_lo, s0
	v_lshrrev_b32_e32 v0, 2, v70
	s_mul_hi_u32 s7, s11, s7
	s_delay_alu instid0(VALU_DEP_1) | instskip(NEXT) | instid1(VALU_DEP_1)
	v_add_nc_u32_e32 v0, s1, v0
	v_cmp_le_i32_e32 vcc_lo, s8, v0
	s_or_b32 s0, vcc_lo, s9
	s_delay_alu instid0(SALU_CYCLE_1) | instskip(NEXT) | instid1(SALU_CYCLE_1)
	s_and_saveexec_b32 s9, s0
	s_xor_b32 s0, exec_lo, s9
	s_cbranch_execz .LBB24_302
; %bb.301:
	v_mad_u32_u24 v0, 0x44, v70, v222
	v_mov_b32_e32 v1, 0
                                        ; implicit-def: $vgpr221
                                        ; implicit-def: $vgpr219
                                        ; implicit-def: $vgpr70
	s_delay_alu instid0(VALU_DEP_2)
	v_lshl_add_u32 v0, v0, 2, 0
	ds_store_2addr_b32 v0, v1, v1 offset1:32
                                        ; implicit-def: $vgpr0
.LBB24_302:
	s_or_saveexec_b32 s9, s0
	s_ashr_i32 s0, s2, 31
	s_xor_b32 exec_lo, exec_lo, s9
	s_cbranch_execz .LBB24_304
; %bb.303:
	v_mul_lo_u32 v0, v0, s59
	v_mul_lo_u32 v1, v221, s41
	v_mad_u32_u24 v4, 0x44, v70, v222
	s_delay_alu instid0(VALU_DEP_2) | instskip(NEXT) | instid1(VALU_DEP_1)
	v_add3_u32 v0, v0, v1, v222
	v_ashrrev_i32_e32 v1, 31, v0
	s_delay_alu instid0(VALU_DEP_1) | instskip(NEXT) | instid1(VALU_DEP_1)
	v_lshlrev_b64 v[0:1], 3, v[0:1]
	v_add_co_u32 v0, vcc_lo, s5, v0
	s_delay_alu instid0(VALU_DEP_2)
	v_add_co_ci_u32_e32 v1, vcc_lo, s6, v1, vcc_lo
	s_clause 0x1
	global_load_b64 v[2:3], v[0:1], off
	global_load_b64 v[0:1], v[0:1], off offset:256
	s_waitcnt vmcnt(1)
	v_cvt_f16_f32_e32 v2, v2
	v_cvt_f16_f32_e32 v3, v3
	s_waitcnt vmcnt(0)
	v_cvt_f16_f32_e32 v0, v0
	v_cvt_f16_f32_e32 v1, v1
	s_delay_alu instid0(VALU_DEP_3) | instskip(NEXT) | instid1(VALU_DEP_2)
	v_pack_b32_f16 v2, v2, v3
	v_pack_b32_f16 v0, v0, v1
	v_lshl_add_u32 v1, v4, 2, 0
	s_delay_alu instid0(VALU_DEP_3) | instskip(NEXT) | instid1(VALU_DEP_3)
	v_pk_mul_f16 v2, v219, v2
	v_pk_mul_f16 v0, v219, v0
	ds_store_2addr_b32 v1, v2, v0 offset1:32
.LBB24_304:
	s_or_b32 exec_lo, exec_lo, s9
	v_and_b32_e32 v96, 0x1ff0, v167
	v_and_b32_e32 v169, 15, v222
	v_readlane_b32 s14, v255, 1
	s_mul_i32 s5, s2, s45
	s_mul_hi_u32 s6, s2, s44
	v_mul_u32_u24_e32 v0, 0x110, v96
	v_mul_u32_u24_e32 v65, 0x110, v169
	v_readlane_b32 s15, v255, 2
	s_add_i32 s5, s6, s5
	s_mul_i32 s6, s0, s44
	s_mul_i32 s9, s2, s44
	v_add3_u32 v60, 0, v0, v65
	s_add_i32 s5, s5, s6
	s_add_u32 s6, s18, s9
	s_mul_i32 s9, s3, s15
	s_waitcnt lgkmcnt(0)
	s_waitcnt_vscnt null, 0x0
	s_barrier
	buffer_gl0_inv
	ds_load_b128 v[16:19], v60
	ds_load_b128 v[20:23], v60 offset:16
	ds_load_b128 v[0:3], v60 offset:32
	;; [unrolled: 1-line block ×15, first 2 shown]
	s_addc_u32 s5, s19, s5
	s_ashr_i32 s13, s9, 31
	s_mul_i32 s7, s7, s4
	s_add_u32 s14, s6, s9
	s_addc_u32 s15, s5, s13
	s_sub_i32 s5, s11, s7
	v_add_nc_u32_e32 v99, -1, v64
	s_sub_i32 s6, s5, s4
	s_cmp_ge_u32 s5, s4
	s_mul_i32 s3, s3, s47
	s_cselect_b32 s5, s6, s5
	v_cmp_lt_i32_e32 vcc_lo, s100, v99
	s_sub_i32 s6, s5, s4
	s_cmp_ge_u32 s5, s4
	v_lshlrev_b32_e32 v64, 1, v222
	s_cselect_b32 s4, s6, s5
	s_waitcnt lgkmcnt(0)
	s_xor_b32 s4, s4, s0
	s_barrier
	s_sub_i32 s4, s4, s0
	s_mul_i32 s0, s0, s50
	s_ashr_i32 s5, s4, 31
	s_mul_i32 s6, s4, s53
	s_mul_hi_u32 s7, s4, s52
	s_mul_i32 s5, s5, s52
	s_add_i32 s6, s7, s6
	s_mul_i32 s4, s4, s52
	s_add_i32 s6, s6, s5
	s_add_u32 s24, s22, s4
	s_mul_i32 s4, s2, s51
	s_mul_hi_u32 s5, s2, s50
	s_addc_u32 s25, s23, s6
	s_add_i32 s4, s5, s4
	s_mul_i32 s2, s2, s50
	s_add_i32 s4, s4, s0
	s_add_u32 s0, s20, s2
	s_addc_u32 s2, s21, s4
	s_ashr_i32 s4, s3, 31
	s_add_u32 s11, s0, s3
	s_addc_u32 s13, s2, s4
	s_mov_b32 s0, 0
	s_mov_b32 s3, -1
	buffer_gl0_inv
	s_cbranch_vccnz .LBB24_308
; %bb.305:
	v_lshrrev_b32_e32 v180, 4, v222
	v_add_nc_u32_e32 v66, s1, v204
	v_dual_mov_b32 v130, 0 :: v_dual_add_nc_u32 v67, s1, v220
	s_movk_i32 s5, 0x1100
	s_delay_alu instid0(VALU_DEP_3) | instskip(NEXT) | instid1(VALU_DEP_3)
	v_lshl_add_u32 v71, v204, 1, v180
	v_mul_hi_u32 v68, s34, v66
	s_lshl_b32 s4, s12, 3
	v_mul_hi_u32 v69, s34, v67
	v_lshlrev_b32_e32 v170, 4, v204
	v_mul_lo_u32 v106, s12, v71
	v_mul_lo_u32 v185, s10, v71
	v_mad_u32_u24 v111, 0x110, v71, s5
	s_lshl_b32 s5, s10, 3
	v_add_nc_u32_e32 v68, v66, v68
	v_dual_mov_b32 v128, 32 :: v_dual_add_nc_u32 v69, v67, v69
	s_movk_i32 s2, 0x240
	v_add_nc_u32_e32 v108, s4, v106
	v_add_nc_u32_e32 v113, s5, v185
	v_lshrrev_b32_e32 v68, s35, v68
	v_lshrrev_b32_e32 v69, s35, v69
	s_movk_i32 s3, 0x880
	v_add_nc_u32_e32 v132, s4, v108
	v_add_nc_u32_e32 v121, s5, v113
	v_mul_lo_u32 v68, v68, s8
	v_mul_lo_u32 v69, v69, s8
	v_and_b32_e32 v172, 16, v170
	v_add_nc_u32_e32 v135, s4, v132
	v_add_nc_u32_e32 v123, s5, v121
	v_mad_u32_u24 v103, 0x90, v204, s2
	v_mad_u32_u24 v131, 0x110, v71, s3
	s_movk_i32 s2, 0x1980
	v_sub_nc_u32_e32 v66, v66, v68
	v_add_nc_u32_e32 v137, s4, v135
	v_add_nc_u32_e32 v126, s5, v123
	v_sub_nc_u32_e32 v67, v67, v69
	s_movk_i32 s3, 0x2a80
	v_mad_i64_i32 v[214:215], null, v66, s82, 0
	v_add_nc_u32_e32 v142, s4, v137
	v_and_or_b32 v66, v222, 12, v96
	v_add_nc_u32_e32 v175, s5, v126
	v_lshlrev_b32_e32 v70, 2, v222
	v_mbcnt_lo_u32_b32 v115, -1, 0
	v_add_nc_u32_e32 v216, s4, v142
	v_lshrrev_b32_e32 v66, 2, v66
	v_add_nc_u32_e32 v177, s5, v175
	v_mad_u32_u24 v134, 0x110, v71, s2
	s_movk_i32 s2, 0x2200
	v_add_nc_u32_e32 v218, s4, v216
	v_mul_u32_u24_e32 v174, 0x90, v66
	v_add_nc_u32_e32 v183, s5, v177
	v_and_b32_e32 v66, 8, v167
	v_mad_u32_u24 v140, 0x110, v71, s3
	s_movk_i32 s3, 0x3300
	v_mad_i64_i32 v[152:153], null, v67, s82, 0
	v_mad_u32_u24 v139, 0x110, v71, s2
	v_mad_u32_u24 v141, 0x110, v71, s3
	s_movk_i32 s3, 0x3b80
	v_mad_u32_u24 v151, 0x110, v172, s2
	s_movk_i32 s2, 0x220
	v_mul_u32_u24_e32 v102, 0x90, v204
	v_and_b32_e32 v129, 60, v70
	v_mul_u32_u24_e32 v105, 0x110, v71
	v_ashrrev_i32_e32 v107, 31, v106
	v_ashrrev_i32_e32 v109, 31, v108
	;; [unrolled: 1-line block ×7, first 2 shown]
	v_mad_u32_u24 v146, 0x110, v71, s3
	v_ashrrev_i32_e32 v219, 31, v218
	v_mul_u32_u24_e32 v149, 0x110, v172
	v_or_b32_e32 v173, 32, v172
	v_xor_b32_e32 v171, 16, v115
	v_xor_b32_e32 v112, 1, v180
	v_ashrrev_i32_e32 v186, 31, v185
	v_ashrrev_i32_e32 v114, 31, v113
	;; [unrolled: 1-line block ×8, first 2 shown]
	v_or_b32_e32 v120, 0x110, v169
	v_or_b32_e32 v119, 0x220, v169
	;; [unrolled: 1-line block ×3, first 2 shown]
	v_mul_u32_u24_e32 v125, 0x220, v66
	v_mad_u32_u24 v117, v66, s2, 0x2200
	s_ashr_i32 s7, s12, 31
	s_ashr_i32 s5, s10, 31
	s_mov_b32 s2, 0xfeffffff
	s_mov_b32 s3, 0
	s_branch .LBB24_309
.LBB24_306:
                                        ; implicit-def: $sgpr58_sgpr59
	s_load_b64 s[56:57], s[0:1], 0x74
	v_cvt_f32_u32_e32 v2, s37
	s_branch .LBB24_2
.LBB24_307:
                                        ; implicit-def: $sgpr62_sgpr63
	s_load_b64 s[34:35], s[0:1], 0x5c
	s_branch .LBB24_5
.LBB24_308:
                                        ; implicit-def: $vgpr112_vgpr113
                                        ; implicit-def: $sgpr0
                                        ; implicit-def: $sgpr2
                                        ; implicit-def: $vgpr102
                                        ; implicit-def: $vgpr214_vgpr215
                                        ; implicit-def: $vgpr103
                                        ; implicit-def: $vgpr152_vgpr153
                                        ; implicit-def: $vgpr180
                                        ; implicit-def: $vgpr105
                                        ; implicit-def: $vgpr129
                                        ; implicit-def: $vgpr106_vgpr107
                                        ; implicit-def: $vgpr131
                                        ; implicit-def: $vgpr108_vgpr109
                                        ; implicit-def: $vgpr111
                                        ; implicit-def: $vgpr132_vgpr133
                                        ; implicit-def: $vgpr134
                                        ; implicit-def: $vgpr135_vgpr136
                                        ; implicit-def: $vgpr139
                                        ; implicit-def: $vgpr137_vgpr138
                                        ; implicit-def: $vgpr140
                                        ; implicit-def: $vgpr142_vgpr143
                                        ; implicit-def: $vgpr141
                                        ; implicit-def: $vgpr216_vgpr217
                                        ; implicit-def: $vgpr146
                                        ; implicit-def: $vgpr218_vgpr219
                                        ; implicit-def: $vgpr170
                                        ; implicit-def: $vgpr172
                                        ; implicit-def: $vgpr149
                                        ; implicit-def: $vgpr173
                                        ; implicit-def: $vgpr151
                                        ; implicit-def: $vgpr174
                                        ; implicit-def: $vgpr115
                                        ; implicit-def: $vgpr171
                                        ; implicit-def: $vgpr128
                                        ; implicit-def: $vgpr185_vgpr186
                                        ; implicit-def: $vgpr121_vgpr122
                                        ; implicit-def: $vgpr123_vgpr124
                                        ; implicit-def: $vgpr126_vgpr127
                                        ; implicit-def: $vgpr175_vgpr176
                                        ; implicit-def: $vgpr177_vgpr178
                                        ; implicit-def: $vgpr183_vgpr184
                                        ; implicit-def: $vgpr120
                                        ; implicit-def: $vgpr119
                                        ; implicit-def: $vgpr118
                                        ; implicit-def: $vgpr125
                                        ; implicit-def: $vgpr117
                                        ; implicit-def: $sgpr6_sgpr7
                                        ; implicit-def: $sgpr4_sgpr5
                                        ; implicit-def: $vgpr113_vgpr114
.LBB24_309:
	v_dual_mov_b32 v95, s0 :: v_dual_mov_b32 v182, s0
	v_dual_mov_b32 v210, s2 :: v_dual_mov_b32 v93, s0
	v_dual_mov_b32 v91, s0 :: v_dual_lshlrev_b32 v104, 1, v64
	v_dual_mov_b32 v89, s0 :: v_dual_add_nc_u32 v150, 0, v65
	v_dual_mov_b32 v87, s0 :: v_dual_lshlrev_b32 v116, 2, v169
	v_dual_mov_b32 v94, s0 :: v_dual_mov_b32 v85, s0
	v_dual_mov_b32 v92, s0 :: v_dual_mov_b32 v83, s0
	;; [unrolled: 1-line block ×11, first 2 shown]
	v_mov_b32_e32 v72, s0
	v_mov_b32_e32 v70, s0
	;; [unrolled: 1-line block ×5, first 2 shown]
	s_and_not1_b32 vcc_lo, exec_lo, s3
	s_cbranch_vccnz .LBB24_313
; %bb.310:
	v_dual_mov_b32 v98, 0 :: v_dual_add_nc_u32 v65, s1, v220
	v_add_co_u32 v69, s0, s24, v104
	v_lshrrev_b32_e32 v180, 4, v222
	s_delay_alu instid0(VALU_DEP_3) | instskip(SKIP_2) | instid1(VALU_DEP_3)
	v_mul_hi_u32 v68, s34, v65
	s_movk_i32 s2, 0x2a80
	v_dual_mov_b32 v210, 0xfeffffff :: v_dual_add_nc_u32 v67, 0, v104
	v_lshl_add_u32 v70, v204, 1, v180
	v_mul_u32_u24_e32 v71, 0x90, v204
	v_xor_b32_e32 v112, 1, v180
	v_mov_b32_e32 v90, v98
	v_add_nc_u32_e32 v68, v65, v68
	v_mul_u32_u24_e32 v72, 0x110, v70
	v_mul_lo_u32 v106, s12, v70
	v_mul_lo_u32 v185, s10, v70
	v_mov_b32_e32 v92, v98
	v_lshrrev_b32_e32 v68, s35, v68
	v_mov_b32_e32 v94, v98
	s_mov_b32 s16, 0
	s_ashr_i32 s7, s12, 31
	s_ashr_i32 s5, s10, 31
	v_mul_lo_u32 v68, v68, s8
	v_ashrrev_i32_e32 v107, 31, v106
	v_ashrrev_i32_e32 v186, 31, v185
	s_mov_b32 s17, s16
	s_mov_b32 s18, s16
	;; [unrolled: 1-line block ×5, first 2 shown]
	v_sub_nc_u32_e32 v65, v65, v68
	s_mov_b32 s22, s16
	s_mov_b32 s23, s16
	v_mov_b32_e32 v182, v98
	v_mov_b32_e32 v81, v98
	v_mad_i64_i32 v[152:153], null, v65, s82, 0
	v_lshlrev_b32_e32 v65, 4, v204
	scratch_store_b32 off, v69, off         ; 4-byte Folded Spill
	v_add_co_ci_u32_e64 v69, null, s25, 0, s0
	s_movk_i32 s0, 0x240
	v_mov_b32_e32 v79, v98
	v_mad_u32_u24 v73, 0x90, v204, s0
	scratch_store_b32 off, v69, off offset:4 ; 4-byte Folded Spill
	v_lshlrev_b32_e32 v69, 2, v222
	s_movk_i32 s0, 0x880
	v_mov_b32_e32 v83, v98
	s_clause 0x1
	scratch_store_b32 off, v167, off offset:552
	scratch_store_b32 off, v204, off offset:196
	v_and_b32_e32 v97, 60, v69
	v_mov_b32_e32 v89, v98
	v_mov_b32_e32 v82, v98
	v_mov_b32_e32 v87, v98
	s_delay_alu instid0(VALU_DEP_4)
	v_dual_mov_b32 v88, v98 :: v_dual_lshlrev_b32 v69, 2, v97
	v_mov_b32_e32 v91, v98
	v_mov_b32_e32 v93, v98
	;; [unrolled: 1-line block ×4, first 2 shown]
	v_add3_u32 v195, 0, v72, v69
	v_mbcnt_lo_u32_b32 v69, -1, 0
	v_add_nc_u32_e32 v64, s1, v204
	s_lshl_b32 s1, s12, 3
	s_delay_alu instid0(SALU_CYCLE_1) | instskip(SKIP_1) | instid1(VALU_DEP_3)
	v_dual_mov_b32 v77, v98 :: v_dual_add_nc_u32 v108, s1, v106
	v_mov_b32_e32 v76, v98
	v_mul_hi_u32 v66, s34, v64
	v_mov_b32_e32 v78, v98
	v_mov_b32_e32 v85, v98
	;; [unrolled: 1-line block ×5, first 2 shown]
	v_add_nc_u32_e32 v66, v64, v66
	s_delay_alu instid0(VALU_DEP_1) | instskip(NEXT) | instid1(VALU_DEP_1)
	v_lshrrev_b32_e32 v66, s35, v66
	v_mul_lo_u32 v66, v66, s8
	s_lshl_b32 s8, s100, 6
	s_delay_alu instid0(VALU_DEP_1) | instskip(SKIP_1) | instid1(VALU_DEP_2)
	v_sub_nc_u32_e32 v64, v64, v66
	v_lshlrev_b32_e32 v66, 1, v180
	v_mad_i64_i32 v[214:215], null, v64, s82, 0
	v_mad_u32_u24 v64, 0x110, v70, s0
	s_movk_i32 s0, 0x1100
	s_clause 0x1
	scratch_store_b32 off, v104, off offset:228
	scratch_store_b32 off, v64, off offset:92
	v_mad_u32_u24 v64, 0x110, v70, s0
	s_movk_i32 s0, 0x1980
	scratch_store_b32 off, v72, off offset:68 ; 4-byte Folded Spill
	v_and_b32_e32 v72, 16, v65
	scratch_store_b32 off, v64, off offset:84 ; 4-byte Folded Spill
	v_mad_u32_u24 v64, 0x110, v70, s0
	s_movk_i32 s0, 0x2200
	v_lshlrev_b32_e32 v68, 1, v72
	scratch_store_b32 off, v72, off offset:124 ; 4-byte Folded Spill
	v_mul_u32_u24_e32 v74, 0x110, v72
	scratch_store_b32 off, v64, off offset:108 ; 4-byte Folded Spill
	v_mad_u32_u24 v64, 0x110, v70, s0
	scratch_store_b32 off, v168, off offset:556 ; 4-byte Folded Spill
	v_add_nc_u32_e32 v235, v150, v74
	scratch_store_b32 off, v64, off offset:188 ; 4-byte Folded Spill
	v_mad_u32_u24 v64, 0x110, v70, s2
	s_movk_i32 s2, 0x3300
	scratch_store_b32 off, v64, off offset:204 ; 4-byte Folded Spill
	v_mad_u32_u24 v64, 0x110, v70, s2
	s_movk_i32 s2, 0x3b80
	scratch_store_b32 off, v64, off offset:208 ; 4-byte Folded Spill
	v_mad_u32_u24 v64, 0x110, v70, s2
	v_xor_b32_e32 v70, 16, v69
	s_clause 0x2
	scratch_store_b32 off, v65, off offset:16
	scratch_store_b32 off, v64, off offset:212
	;; [unrolled: 1-line block ×3, first 2 shown]
	v_and_or_b32 v64, v222, 12, v96
	v_cmp_gt_i32_e32 vcc_lo, 32, v70
	s_delay_alu instid0(VALU_DEP_2) | instskip(NEXT) | instid1(VALU_DEP_1)
	v_lshrrev_b32_e32 v64, 2, v64
	v_mad_u32_u24 v65, 0x90, v64, 0
	v_mul_u32_u24_e32 v64, 0x90, v64
	s_delay_alu instid0(VALU_DEP_2)
	v_add3_u32 v223, v65, v66, v68
	v_cndmask_b32_e32 v65, v69, v70, vcc_lo
	v_mad_u32_u24 v66, 0x110, v72, s0
	scratch_store_b32 off, v64, off offset:200 ; 4-byte Folded Spill
	v_and_b32_e32 v64, 8, v167
	s_movk_i32 s0, 0x220
	v_lshlrev_b32_e32 v225, 2, v65
	v_or_b32_e32 v65, 0x110, v169
	scratch_store_b32 off, v73, off offset:100 ; 4-byte Folded Spill
	v_or_b32_e32 v73, 32, v72
	scratch_store_b32 off, v66, off offset:224 ; 4-byte Folded Spill
	v_mul_u32_u24_e32 v66, 0x220, v64
	scratch_store_b32 off, v65, off offset:44 ; 4-byte Folded Spill
	v_or_b32_e32 v65, 0x220, v169
	s_clause 0x2
	scratch_store_b32 off, v73, off offset:156
	scratch_store_b32 off, v65, off offset:36
	;; [unrolled: 1-line block ×3, first 2 shown]
	v_or_b32_e32 v65, 0x330, v169
	v_mad_u32_u24 v64, v64, s0, 0x2200
	v_dual_mov_b32 v69, v98 :: v_dual_add_nc_u32 v132, s1, v108
	s_clause 0x4
	scratch_store_b32 off, v66, off offset:52
	scratch_store_b32 off, v71, off offset:60
	;; [unrolled: 1-line block ×5, first 2 shown]
	v_add3_u32 v64, 0, 64, v66
	v_mov_b32_e32 v68, v98
	v_mov_b32_e32 v70, v98
	;; [unrolled: 1-line block ×3, first 2 shown]
	s_clause 0x1
	scratch_store_b32 off, v74, off offset:216
	scratch_store_b32 off, v150, off offset:220
	v_add3_u32 v229, v64, v116, 0x2200
	v_dual_mov_b32 v71, v98 :: v_dual_add_nc_u32 v64, v67, v71
	v_dual_mov_b32 v74, v98 :: v_dual_add_nc_u32 v135, s1, v132
	v_add3_u32 v226, 0, v66, v116
	v_add3_u32 v65, 0, 0x80, v66
	;; [unrolled: 1-line block ×3, first 2 shown]
	s_delay_alu instid0(VALU_DEP_4)
	v_add_nc_u32_e32 v137, s1, v135
	v_add_nc_u32_e32 v64, 0x4400, v64
	v_ashrrev_i32_e32 v109, 31, v108
	v_ashrrev_i32_e32 v133, 31, v132
	;; [unrolled: 1-line block ×3, first 2 shown]
	v_add_nc_u32_e32 v142, s1, v137
	v_ashrrev_i32_e32 v138, 31, v137
	v_add_nc_u32_e32 v224, 0x4400, v223
	v_add_nc_u32_e32 v227, 0x2200, v226
	;; [unrolled: 1-line block ×4, first 2 shown]
	v_ashrrev_i32_e32 v143, 31, v142
	v_add_nc_u32_e32 v230, 0x80, v226
	v_add3_u32 v231, v65, v116, 0x2200
	v_add_nc_u32_e32 v232, 0xc0, v226
	v_add_nc_u32_e32 v218, s1, v216
	s_lshl_b32 s1, s10, 3
	v_ashrrev_i32_e32 v217, 31, v216
	v_add_nc_u32_e32 v113, s1, v185
	v_add3_u32 v233, v66, v116, 0x2200
	v_ashrrev_i32_e32 v219, 31, v218
	scratch_store_b32 off, v64, off offset:8 ; 4-byte Folded Spill
	v_mov_b32_e32 v64, v98
	scratch_store_b64 off, v[97:98], off offset:116 ; 8-byte Folded Spill
	v_add_nc_u32_e32 v121, s1, v113
	v_ashrrev_i32_e32 v114, 31, v113
	v_dual_mov_b32 v65, v98 :: v_dual_lshlrev_b32 v234, 2, v97
	s_delay_alu instid0(VALU_DEP_3) | instskip(SKIP_3) | instid1(VALU_DEP_4)
	v_dual_mov_b32 v66, v98 :: v_dual_add_nc_u32 v123, s1, v121
	v_ashrrev_i32_e32 v122, 31, v121
	v_mov_b32_e32 v67, v98
	v_mov_b32_e32 v72, v98
	v_add_nc_u32_e32 v126, s1, v123
	v_ashrrev_i32_e32 v124, 31, v123
	s_delay_alu instid0(VALU_DEP_2) | instskip(SKIP_1) | instid1(VALU_DEP_2)
	v_add_nc_u32_e32 v175, s1, v126
	v_ashrrev_i32_e32 v127, 31, v126
	v_add_nc_u32_e32 v177, s1, v175
	v_ashrrev_i32_e32 v176, 31, v175
	s_delay_alu instid0(VALU_DEP_2) | instskip(SKIP_1) | instid1(VALU_DEP_2)
	v_add_nc_u32_e32 v183, s1, v177
	v_ashrrev_i32_e32 v178, 31, v177
	v_ashrrev_i32_e32 v184, 31, v183
.LBB24_311:                             ; =>This Inner Loop Header: Depth=1
	scratch_load_b32 v96, off, off          ; 4-byte Folded Reload
	s_ashr_i32 s9, s8, 31
	v_dual_mov_b32 v222, v99 :: v_dual_add_nc_u32 v115, 0x880, v195
	s_lshl_b64 s[0:1], s[8:9], 1
	v_lshlrev_b64 v[98:99], 1, v[152:153]
	v_add_nc_u32_e32 v116, 0x1100, v195
	v_dual_mov_b32 v140, v107 :: v_dual_add_nc_u32 v117, 0x1980, v195
	v_dual_mov_b32 v139, v106 :: v_dual_add_nc_u32 v118, 0x2200, v195
	v_dual_mov_b32 v150, v143 :: v_dual_add_nc_u32 v119, 0x2a80, v195
	v_dual_mov_b32 v149, v142 :: v_dual_add_nc_u32 v120, 0x3300, v195
	v_add_nc_u32_e32 v125, 0x3b80, v195
	v_dual_mov_b32 v221, v153 :: v_dual_mov_b32 v220, v152
	v_dual_mov_b32 v158, s23 :: v_dual_mov_b32 v157, s22
	;; [unrolled: 1-line block ×5, first 2 shown]
	v_cmp_eq_u32_e64 s2, 0, v180
	v_mov_b32_e32 v148, v138
	v_mov_b32_e32 v146, v127
	v_dual_mov_b32 v129, v135 :: v_dual_mov_b32 v130, v136
	v_mov_b32_e32 v147, v137
	v_mov_b32_e32 v145, v126
	s_waitcnt vmcnt(0)
	v_add_co_u32 v100, vcc_lo, v96, s0
	scratch_load_b32 v96, off, off offset:4 ; 4-byte Folded Reload
	s_mul_i32 s0, s8, s12
	s_waitcnt vmcnt(0)
	v_add_co_ci_u32_e32 v101, vcc_lo, s1, v96, vcc_lo
	v_lshlrev_b64 v[96:97], 1, v[214:215]
	s_mul_hi_i32 s1, s8, s12
	s_delay_alu instid0(SALU_CYCLE_1) | instskip(NEXT) | instid1(SALU_CYCLE_1)
	s_lshl_b64 s[0:1], s[0:1], 2
	s_add_u32 s0, s14, s0
	s_delay_alu instid0(VALU_DEP_1) | instskip(NEXT) | instid1(VALU_DEP_2)
	v_add_co_u32 v96, vcc_lo, v100, v96
	v_add_co_ci_u32_e32 v97, vcc_lo, v101, v97, vcc_lo
	v_add_co_u32 v98, vcc_lo, v100, v98
	v_add_co_ci_u32_e32 v99, vcc_lo, v101, v99, vcc_lo
	s_clause 0x1
	global_load_b32 v96, v[96:97], off
	global_load_b32 v97, v[98:99], off
	scratch_load_b32 v98, off, off offset:8 ; 4-byte Folded Reload
	s_addc_u32 s1, s15, s1
	s_waitcnt vmcnt(0)
	ds_store_2addr_b32 v98, v96, v97 offset1:144
	v_lshlrev_b64 v[96:97], 2, v[106:107]
	s_delay_alu instid0(VALU_DEP_1) | instskip(NEXT) | instid1(VALU_DEP_2)
	v_add_co_u32 v98, vcc_lo, s0, v96
	v_add_co_ci_u32_e32 v99, vcc_lo, s1, v97, vcc_lo
	v_lshlrev_b64 v[96:97], 2, v[108:109]
	s_delay_alu instid0(VALU_DEP_1) | instskip(NEXT) | instid1(VALU_DEP_2)
	v_add_co_u32 v100, vcc_lo, s0, v96
	v_add_co_ci_u32_e32 v101, vcc_lo, s1, v97, vcc_lo
	v_add_co_u32 v96, vcc_lo, v98, v234
	v_add_co_ci_u32_e32 v97, vcc_lo, 0, v99, vcc_lo
	s_delay_alu instid0(VALU_DEP_4) | instskip(NEXT) | instid1(VALU_DEP_4)
	v_add_co_u32 v100, vcc_lo, v100, v234
	v_add_co_ci_u32_e32 v101, vcc_lo, 0, v101, vcc_lo
	s_clause 0x1
	global_load_b128 v[96:99], v[96:97], off
	global_load_b128 v[100:103], v[100:101], off
	s_waitcnt vmcnt(1)
	ds_store_b128 v195, v[96:99]
	s_waitcnt vmcnt(0)
	ds_store_b128 v115, v[100:103]
	v_lshlrev_b64 v[96:97], 2, v[132:133]
	s_delay_alu instid0(VALU_DEP_1) | instskip(NEXT) | instid1(VALU_DEP_2)
	v_add_co_u32 v98, vcc_lo, s0, v96
	v_add_co_ci_u32_e32 v99, vcc_lo, s1, v97, vcc_lo
	v_lshlrev_b64 v[96:97], 2, v[135:136]
	v_dual_mov_b32 v135, v183 :: v_dual_mov_b32 v136, v184
	s_delay_alu instid0(VALU_DEP_2) | instskip(NEXT) | instid1(VALU_DEP_3)
	v_add_co_u32 v100, vcc_lo, s0, v96
	v_add_co_ci_u32_e32 v101, vcc_lo, s1, v97, vcc_lo
	v_add_co_u32 v96, vcc_lo, v98, v234
	v_add_co_ci_u32_e32 v97, vcc_lo, 0, v99, vcc_lo
	s_delay_alu instid0(VALU_DEP_4) | instskip(NEXT) | instid1(VALU_DEP_4)
	v_add_co_u32 v100, vcc_lo, v100, v234
	v_add_co_ci_u32_e32 v101, vcc_lo, 0, v101, vcc_lo
	s_clause 0x1
	global_load_b128 v[96:99], v[96:97], off
	global_load_b128 v[100:103], v[100:101], off
	s_waitcnt vmcnt(1)
	ds_store_b128 v116, v[96:99]
	s_waitcnt vmcnt(0)
	ds_store_b128 v117, v[100:103]
	v_lshlrev_b64 v[96:97], 2, v[137:138]
	v_dual_mov_b32 v137, v185 :: v_dual_mov_b32 v138, v186
	s_delay_alu instid0(VALU_DEP_2) | instskip(NEXT) | instid1(VALU_DEP_3)
	v_add_co_u32 v98, vcc_lo, s0, v96
	v_add_co_ci_u32_e32 v99, vcc_lo, s1, v97, vcc_lo
	v_lshlrev_b64 v[96:97], 2, v[142:143]
	v_dual_mov_b32 v142, v109 :: v_dual_mov_b32 v141, v108
	v_dual_mov_b32 v144, v133 :: v_dual_mov_b32 v143, v132
	v_mov_b32_e32 v131, v175
	s_delay_alu instid0(VALU_DEP_4) | instskip(SKIP_3) | instid1(VALU_DEP_4)
	v_add_co_u32 v100, vcc_lo, s0, v96
	v_add_co_ci_u32_e32 v101, vcc_lo, s1, v97, vcc_lo
	v_add_co_u32 v96, vcc_lo, v98, v234
	v_add_co_ci_u32_e32 v97, vcc_lo, 0, v99, vcc_lo
	v_add_co_u32 v100, vcc_lo, v100, v234
	s_delay_alu instid0(VALU_DEP_4)
	v_add_co_ci_u32_e32 v101, vcc_lo, 0, v101, vcc_lo
	s_clause 0x1
	global_load_b128 v[96:99], v[96:97], off
	global_load_b128 v[100:103], v[100:101], off
	v_dual_mov_b32 v133, v177 :: v_dual_mov_b32 v134, v178
	v_mov_b32_e32 v132, v176
	s_waitcnt vmcnt(1)
	ds_store_b128 v118, v[96:99]
	v_lshlrev_b64 v[96:97], 2, v[216:217]
	s_waitcnt vmcnt(0)
	ds_store_b128 v119, v[100:103]
	v_add_co_u32 v98, vcc_lo, s0, v96
	v_add_co_ci_u32_e32 v99, vcc_lo, s1, v97, vcc_lo
	v_lshlrev_b64 v[96:97], 2, v[218:219]
	s_delay_alu instid0(VALU_DEP_1) | instskip(NEXT) | instid1(VALU_DEP_2)
	v_add_co_u32 v100, vcc_lo, s0, v96
	v_add_co_ci_u32_e32 v101, vcc_lo, s1, v97, vcc_lo
	v_add_co_u32 v96, vcc_lo, v98, v234
	v_add_co_ci_u32_e32 v97, vcc_lo, 0, v99, vcc_lo
	s_delay_alu instid0(VALU_DEP_4) | instskip(NEXT) | instid1(VALU_DEP_4)
	v_add_co_u32 v100, vcc_lo, v100, v234
	v_add_co_ci_u32_e32 v101, vcc_lo, 0, v101, vcc_lo
	s_clause 0x1
	global_load_b128 v[96:99], v[96:97], off
	global_load_b128 v[100:103], v[100:101], off
	s_mul_hi_i32 s1, s8, s10
	s_mul_i32 s0, s8, s10
	s_delay_alu instid0(SALU_CYCLE_1) | instskip(NEXT) | instid1(SALU_CYCLE_1)
	s_lshl_b64 s[0:1], s[0:1], 2
	s_add_u32 s0, s11, s0
	s_addc_u32 s1, s13, s1
	s_add_i32 s100, s100, 1
	s_add_i32 s8, s8, 64
	s_waitcnt vmcnt(1)
	ds_store_b128 v120, v[96:99]
	s_waitcnt vmcnt(0)
	ds_store_b128 v125, v[100:103]
	s_waitcnt lgkmcnt(0)
	s_waitcnt_vscnt null, 0x0
	s_barrier
	buffer_gl0_inv
	ds_load_b128 v[96:99], v235
	ds_load_b128 v[100:103], v235 offset:16
	ds_load_b128 v[104:107], v235 offset:8704
	;; [unrolled: 1-line block ×3, first 2 shown]
	s_waitcnt lgkmcnt(2)
	v_wmma_f32_16x16x16_f16 v[159:166], v[96:103], v[16:23], v[151:158]
	ds_load_b128 v[96:99], v235 offset:32
	ds_load_b128 v[100:103], v235 offset:48
	s_waitcnt lgkmcnt(2)
	v_wmma_f32_16x16x16_f16 v[167:174], v[104:111], v[16:23], v[151:158]
	s_waitcnt lgkmcnt(0)
	v_wmma_f32_16x16x16_f16 v[159:166], v[96:103], v[0:7], v[159:166]
	ds_load_b128 v[96:99], v235 offset:8736
	ds_load_b128 v[100:103], v235 offset:8752
	s_waitcnt lgkmcnt(0)
	v_wmma_f32_16x16x16_f16 v[167:174], v[96:103], v[0:7], v[167:174]
	ds_load_b128 v[96:99], v235 offset:64
	ds_load_b128 v[100:103], v235 offset:80
	;; [unrolled: 4-line block ×13, first 2 shown]
	s_waitcnt lgkmcnt(0)
	s_barrier
	buffer_gl0_inv
	v_wmma_f32_16x16x16_f16 v[167:174], v[96:103], v[56:63], v[167:174]
	ds_load_u16 v96, v223 offset:17408
	ds_load_u16 v97, v223 offset:17412
	;; [unrolled: 1-line block ×8, first 2 shown]
	s_waitcnt lgkmcnt(7)
	v_cvt_f32_f16_e32 v96, v96
	s_waitcnt lgkmcnt(6)
	v_cvt_f32_f16_e32 v97, v97
	;; [unrolled: 2-line block ×5, first 2 shown]
	v_dual_add_f32 v108, v159, v96 :: v_dual_add_f32 v109, v160, v97
	s_delay_alu instid0(VALU_DEP_3)
	v_dual_add_f32 v110, v161, v98 :: v_dual_add_f32 v111, v162, v99
	ds_load_u16 v96, v224 offset:64
	ds_load_u16 v97, v224 offset:68
	;; [unrolled: 1-line block ×8, first 2 shown]
	s_waitcnt lgkmcnt(10)
	v_cvt_f32_f16_e32 v101, v101
	s_waitcnt lgkmcnt(9)
	v_cvt_f32_f16_e32 v102, v102
	;; [unrolled: 2-line block ×3, first 2 shown]
	v_dual_add_f32 v100, v163, v100 :: v_dual_add_f32 v101, v164, v101
	s_delay_alu instid0(VALU_DEP_2)
	v_dual_add_f32 v102, v165, v102 :: v_dual_add_f32 v103, v166, v103
	s_waitcnt lgkmcnt(7)
	v_cvt_f32_f16_e32 v96, v96
	s_waitcnt lgkmcnt(6)
	v_cvt_f32_f16_e32 v97, v97
	;; [unrolled: 2-line block ×5, first 2 shown]
	v_dual_add_f32 v241, v167, v96 :: v_dual_add_f32 v242, v168, v97
	v_lshlrev_b64 v[96:97], 2, v[185:186]
	v_dual_add_f32 v240, v169, v98 :: v_dual_add_f32 v239, v170, v99
	s_waitcnt lgkmcnt(2)
	v_cvt_f32_f16_e32 v105, v105
	v_add_f32_e32 v238, v171, v104
	s_waitcnt lgkmcnt(1)
	v_cvt_f32_f16_e32 v106, v106
	v_add_co_u32 v98, vcc_lo, s0, v96
	v_add_f32_e32 v191, v172, v105
	v_add_co_ci_u32_e32 v99, vcc_lo, s1, v97, vcc_lo
	v_lshlrev_b64 v[96:97], 2, v[113:114]
	s_waitcnt lgkmcnt(0)
	v_cvt_f32_f16_e32 v107, v107
	v_add_f32_e32 v237, v173, v106
	v_add_nc_u32_e32 v185, 0x800, v226
	v_add_nc_u32_e32 v186, 0xc00, v226
	v_add_co_u32 v104, vcc_lo, s0, v96
	v_add_co_ci_u32_e32 v105, vcc_lo, s1, v97, vcc_lo
	v_add_co_u32 v96, vcc_lo, v98, v234
	v_add_co_ci_u32_e32 v97, vcc_lo, 0, v99, vcc_lo
	s_delay_alu instid0(VALU_DEP_4) | instskip(NEXT) | instid1(VALU_DEP_4)
	v_add_co_u32 v104, vcc_lo, v104, v234
	v_add_co_ci_u32_e32 v105, vcc_lo, 0, v105, vcc_lo
	v_add_f32_e32 v192, v174, v107
	s_clause 0x1
	global_load_b128 v[96:99], v[96:97], off
	global_load_b128 v[104:107], v[104:105], off
	s_waitcnt vmcnt(1)
	ds_store_b128 v195, v[96:99]
	s_waitcnt vmcnt(0)
	ds_store_b128 v115, v[104:107]
	v_lshlrev_b64 v[96:97], 2, v[121:122]
	s_delay_alu instid0(VALU_DEP_1) | instskip(NEXT) | instid1(VALU_DEP_2)
	v_add_co_u32 v98, vcc_lo, s0, v96
	v_add_co_ci_u32_e32 v99, vcc_lo, s1, v97, vcc_lo
	v_lshlrev_b64 v[96:97], 2, v[123:124]
	s_delay_alu instid0(VALU_DEP_1) | instskip(NEXT) | instid1(VALU_DEP_2)
	v_add_co_u32 v104, vcc_lo, s0, v96
	v_add_co_ci_u32_e32 v105, vcc_lo, s1, v97, vcc_lo
	v_add_co_u32 v96, vcc_lo, v98, v234
	v_add_co_ci_u32_e32 v97, vcc_lo, 0, v99, vcc_lo
	s_delay_alu instid0(VALU_DEP_4) | instskip(NEXT) | instid1(VALU_DEP_4)
	v_add_co_u32 v104, vcc_lo, v104, v234
	v_add_co_ci_u32_e32 v105, vcc_lo, 0, v105, vcc_lo
	s_clause 0x1
	global_load_b128 v[96:99], v[96:97], off
	global_load_b128 v[104:107], v[104:105], off
	s_waitcnt vmcnt(1)
	ds_store_b128 v116, v[96:99]
	s_waitcnt vmcnt(0)
	ds_store_b128 v117, v[104:107]
	v_lshlrev_b64 v[96:97], 2, v[126:127]
	v_dual_mov_b32 v128, v124 :: v_dual_mov_b32 v127, v123
	v_dual_mov_b32 v124, v122 :: v_dual_mov_b32 v123, v121
	v_mov_b32_e32 v122, v114
	s_delay_alu instid0(VALU_DEP_4) | instskip(SKIP_3) | instid1(VALU_DEP_2)
	v_add_co_u32 v98, vcc_lo, s0, v96
	v_add_co_ci_u32_e32 v99, vcc_lo, s1, v97, vcc_lo
	v_lshlrev_b64 v[96:97], 2, v[175:176]
	v_mov_b32_e32 v121, v113
	v_add_co_u32 v104, vcc_lo, s0, v96
	s_delay_alu instid0(VALU_DEP_3) | instskip(SKIP_2) | instid1(VALU_DEP_4)
	v_add_co_ci_u32_e32 v105, vcc_lo, s1, v97, vcc_lo
	v_add_co_u32 v96, vcc_lo, v98, v234
	v_add_co_ci_u32_e32 v97, vcc_lo, 0, v99, vcc_lo
	v_add_co_u32 v104, vcc_lo, v104, v234
	s_delay_alu instid0(VALU_DEP_4)
	v_add_co_ci_u32_e32 v105, vcc_lo, 0, v105, vcc_lo
	s_clause 0x1
	global_load_b128 v[96:99], v[96:97], off
	global_load_b128 v[104:107], v[104:105], off
	s_waitcnt vmcnt(1)
	ds_store_b128 v118, v[96:99]
	s_waitcnt vmcnt(0)
	ds_store_b128 v119, v[104:107]
	v_lshlrev_b64 v[96:97], 2, v[177:178]
	s_delay_alu instid0(VALU_DEP_1) | instskip(NEXT) | instid1(VALU_DEP_2)
	v_add_co_u32 v98, vcc_lo, s0, v96
	v_add_co_ci_u32_e32 v99, vcc_lo, s1, v97, vcc_lo
	v_lshlrev_b64 v[96:97], 2, v[183:184]
	s_delay_alu instid0(VALU_DEP_1) | instskip(NEXT) | instid1(VALU_DEP_2)
	v_add_co_u32 v104, vcc_lo, s0, v96
	v_add_co_ci_u32_e32 v105, vcc_lo, s1, v97, vcc_lo
	v_add_co_u32 v96, vcc_lo, v98, v234
	v_add_co_ci_u32_e32 v97, vcc_lo, 0, v99, vcc_lo
	s_delay_alu instid0(VALU_DEP_4) | instskip(NEXT) | instid1(VALU_DEP_4)
	v_add_co_u32 v104, vcc_lo, v104, v234
	v_add_co_ci_u32_e32 v105, vcc_lo, 0, v105, vcc_lo
	s_clause 0x1
	global_load_b128 v[96:99], v[96:97], off
	global_load_b128 v[104:107], v[104:105], off
	s_waitcnt vmcnt(1)
	ds_store_b128 v120, v[96:99]
	s_waitcnt vmcnt(0)
	ds_store_b128 v125, v[104:107]
	v_dual_mov_b32 v104, v210 :: v_dual_add_f32 v97, 0x40051340, v109
	v_add_f32_e32 v96, 0x40051340, v108
	v_add_f32_e32 v98, 0x40051340, v111
	v_cmp_eq_u32_e64 s1, 1, v180
	s_waitcnt lgkmcnt(0)
	s_barrier
	v_max3_f32 v96, v104, v96, v97
	v_add_f32_e32 v97, 0x40051340, v110
	buffer_gl0_inv
	ds_load_2addr_b32 v[151:152], v226 offset1:16
	ds_load_2addr_b32 v[153:154], v226 offset0:68 offset1:84
	ds_load_2addr_b32 v[155:156], v226 offset0:136 offset1:152
	;; [unrolled: 1-line block ×3, first 2 shown]
	v_max3_f32 v96, v96, v97, v98
	v_dual_add_f32 v97, 0x40051340, v100 :: v_dual_add_f32 v98, 0x40051340, v101
	s_delay_alu instid0(VALU_DEP_1) | instskip(SKIP_1) | instid1(VALU_DEP_1)
	v_max3_f32 v96, v96, v97, v98
	v_dual_add_f32 v97, 0x40051340, v102 :: v_dual_add_f32 v98, 0x40051340, v103
	v_max3_f32 v96, v96, v97, v98
	v_dual_add_f32 v97, 0x40051340, v241 :: v_dual_add_f32 v98, 0x40051340, v242
	s_waitcnt lgkmcnt(2)
	v_perm_b32 v202, v153, v151, 0x5040100
	s_waitcnt lgkmcnt(0)
	v_perm_b32 v203, v157, v155, 0x5040100
	v_max3_f32 v96, v96, v97, v98
	v_dual_add_f32 v97, 0x40051340, v240 :: v_dual_add_f32 v98, 0x40051340, v239
	s_delay_alu instid0(VALU_DEP_1) | instskip(SKIP_1) | instid1(VALU_DEP_1)
	v_max3_f32 v96, v96, v97, v98
	v_dual_add_f32 v97, 0x40051340, v238 :: v_dual_add_f32 v98, 0x40051340, v191
	v_max3_f32 v96, v96, v97, v98
	v_dual_add_f32 v97, 0x40051340, v237 :: v_dual_add_f32 v98, 0x40051340, v192
	s_delay_alu instid0(VALU_DEP_1) | instskip(SKIP_3) | instid1(VALU_DEP_1)
	v_max3_f32 v96, v96, v97, v98
	ds_bpermute_b32 v97, v225, v96
	s_waitcnt lgkmcnt(0)
	v_max_f32_e32 v97, v97, v97
	v_max_f32_e32 v210, v96, v97
	s_delay_alu instid0(VALU_DEP_1) | instskip(NEXT) | instid1(VALU_DEP_1)
	v_sub_f32_e32 v96, v109, v210
	v_mul_f32_e32 v97, 0x3fb8aa3b, v96
	v_cmp_ngt_f32_e32 vcc_lo, 0xc2ce8ed0, v96
	v_sub_f32_e32 v104, v104, v210
	v_sub_f32_e32 v100, v100, v210
	;; [unrolled: 1-line block ×3, first 2 shown]
	v_fma_f32 v98, 0x3fb8aa3b, v96, -v97
	v_rndne_f32_e32 v99, v97
	v_sub_f32_e32 v103, v103, v210
	v_sub_f32_e32 v102, v102, v210
	s_delay_alu instid0(VALU_DEP_3) | instskip(SKIP_1) | instid1(VALU_DEP_2)
	v_dual_fmac_f32 v98, 0x32a5705f, v96 :: v_dual_sub_f32 v97, v97, v99
	v_cvt_i32_f32_e32 v99, v99
	v_add_f32_e32 v97, v97, v98
	v_sub_f32_e32 v98, v108, v210
	s_delay_alu instid0(VALU_DEP_2) | instskip(NEXT) | instid1(VALU_DEP_1)
	v_exp_f32_e32 v97, v97
	v_mul_f32_e32 v105, 0x3fb8aa3b, v98
	s_delay_alu instid0(VALU_DEP_1)
	v_fma_f32 v106, 0x3fb8aa3b, v98, -v105
	v_rndne_f32_e32 v107, v105
	s_waitcnt_depctr 0xfff
	v_ldexp_f32 v97, v97, v99
	v_sub_f32_e32 v105, v105, v107
	v_cvt_i32_f32_e32 v99, v107
	v_cmp_ngt_f32_e64 s0, 0xc2ce8ed0, v98
	s_delay_alu instid0(VALU_DEP_4) | instskip(SKIP_1) | instid1(VALU_DEP_2)
	v_cndmask_b32_e32 v97, 0, v97, vcc_lo
	v_cmp_nlt_f32_e32 vcc_lo, 0x42b17218, v96
	v_cndmask_b32_e32 v244, 0x7f800000, v97, vcc_lo
	v_cmp_eq_u32_e32 vcc_lo, 1, v112
	v_fmac_f32_e32 v106, 0x32a5705f, v98
	s_delay_alu instid0(VALU_DEP_1) | instskip(NEXT) | instid1(VALU_DEP_1)
	v_add_f32_e32 v105, v105, v106
	v_exp_f32_e32 v105, v105
	s_waitcnt_depctr 0xfff
	v_ldexp_f32 v99, v105, v99
	s_delay_alu instid0(VALU_DEP_1)
	v_cndmask_b32_e64 v96, 0, v99, s0
	v_cmp_nlt_f32_e64 s0, 0x42b17218, v98
	ds_bpermute_b32 v98, v225, v244
	v_cndmask_b32_e64 v243, 0x7f800000, v96, s0
	v_cmp_eq_u32_e64 s0, 0, v112
	ds_bpermute_b32 v96, v225, v243
	s_waitcnt lgkmcnt(0)
	v_cndmask_b32_e32 v97, v243, v96, vcc_lo
	v_cndmask_b32_e64 v96, v243, v96, s0
	s_delay_alu instid0(VALU_DEP_2) | instskip(NEXT) | instid1(VALU_DEP_2)
	v_cndmask_b32_e64 v105, v97, v244, s1
	v_cndmask_b32_e64 v99, v96, v244, s2
	v_cvt_f16_f32_e32 v96, v96
	v_cvt_f16_f32_e32 v97, v97
	s_delay_alu instid0(VALU_DEP_3) | instskip(SKIP_1) | instid1(VALU_DEP_3)
	v_cndmask_b32_e64 v99, v99, v98, s0
	v_cndmask_b32_e32 v98, v105, v98, vcc_lo
	v_pack_b32_f16 v96, v96, v97
	s_delay_alu instid0(VALU_DEP_3) | instskip(NEXT) | instid1(VALU_DEP_3)
	v_cvt_f16_f32_e32 v105, v99
	v_cvt_f16_f32_e32 v106, v98
	s_delay_alu instid0(VALU_DEP_1) | instskip(SKIP_1) | instid1(VALU_DEP_1)
	v_pack_b32_f16 v97, v105, v106
	v_sub_f32_e32 v105, v110, v210
	v_mul_f32_e32 v106, 0x3fb8aa3b, v105
	v_cmp_ngt_f32_e64 s3, 0xc2ce8ed0, v105
	s_delay_alu instid0(VALU_DEP_2) | instskip(SKIP_1) | instid1(VALU_DEP_1)
	v_fma_f32 v107, 0x3fb8aa3b, v105, -v106
	v_rndne_f32_e32 v108, v106
	v_dual_fmac_f32 v107, 0x32a5705f, v105 :: v_dual_sub_f32 v106, v106, v108
	s_delay_alu instid0(VALU_DEP_1) | instskip(SKIP_1) | instid1(VALU_DEP_2)
	v_add_f32_e32 v106, v106, v107
	v_cvt_i32_f32_e32 v107, v108
	v_exp_f32_e32 v106, v106
	s_waitcnt_depctr 0xfff
	v_ldexp_f32 v106, v106, v107
	s_delay_alu instid0(VALU_DEP_1) | instskip(SKIP_1) | instid1(VALU_DEP_1)
	v_cndmask_b32_e64 v106, 0, v106, s3
	v_cmp_nlt_f32_e64 s3, 0x42b17218, v105
	v_cndmask_b32_e64 v245, 0x7f800000, v106, s3
	ds_bpermute_b32 v105, v225, v245
	v_cndmask_b32_e64 v99, v99, v245, s2
	v_cndmask_b32_e64 v98, v98, v245, s1
	s_waitcnt lgkmcnt(0)
	s_delay_alu instid0(VALU_DEP_2) | instskip(NEXT) | instid1(VALU_DEP_2)
	v_cndmask_b32_e64 v99, v99, v105, s0
	v_cndmask_b32_e32 v105, v98, v105, vcc_lo
	s_delay_alu instid0(VALU_DEP_2) | instskip(NEXT) | instid1(VALU_DEP_2)
	v_cvt_f16_f32_e32 v98, v99
	v_cvt_f16_f32_e32 v106, v105
	s_delay_alu instid0(VALU_DEP_1) | instskip(SKIP_2) | instid1(VALU_DEP_2)
	v_pack_b32_f16 v98, v98, v106
	v_sub_f32_e32 v106, v111, v210
	v_add_nc_u32_e32 v111, 0x1000, v226
	v_mul_f32_e32 v107, 0x3fb8aa3b, v106
	v_cmp_ngt_f32_e64 s3, 0xc2ce8ed0, v106
	s_delay_alu instid0(VALU_DEP_2) | instskip(SKIP_1) | instid1(VALU_DEP_1)
	v_fma_f32 v108, 0x3fb8aa3b, v106, -v107
	v_rndne_f32_e32 v109, v107
	v_dual_fmac_f32 v108, 0x32a5705f, v106 :: v_dual_sub_f32 v107, v107, v109
	s_delay_alu instid0(VALU_DEP_1) | instskip(SKIP_1) | instid1(VALU_DEP_2)
	v_add_f32_e32 v107, v107, v108
	v_cvt_i32_f32_e32 v108, v109
	v_exp_f32_e32 v107, v107
	s_waitcnt_depctr 0xfff
	v_ldexp_f32 v107, v107, v108
	s_delay_alu instid0(VALU_DEP_1) | instskip(SKIP_1) | instid1(VALU_DEP_1)
	v_cndmask_b32_e64 v107, 0, v107, s3
	v_cmp_nlt_f32_e64 s3, 0x42b17218, v106
	v_cndmask_b32_e64 v246, 0x7f800000, v107, s3
	v_cmp_ngt_f32_e64 s3, 0xc2ce8ed0, v100
	ds_bpermute_b32 v106, v225, v246
	v_cndmask_b32_e64 v99, v99, v246, s2
	v_cndmask_b32_e64 v105, v105, v246, s1
	s_waitcnt lgkmcnt(0)
	s_delay_alu instid0(VALU_DEP_2) | instskip(NEXT) | instid1(VALU_DEP_2)
	v_cndmask_b32_e64 v107, v99, v106, s0
	v_cndmask_b32_e32 v105, v105, v106, vcc_lo
	s_delay_alu instid0(VALU_DEP_2) | instskip(NEXT) | instid1(VALU_DEP_2)
	v_cvt_f16_f32_e32 v99, v107
	v_cvt_f16_f32_e32 v106, v105
	s_delay_alu instid0(VALU_DEP_1) | instskip(SKIP_1) | instid1(VALU_DEP_1)
	v_pack_b32_f16 v99, v99, v106
	v_mul_f32_e32 v106, 0x3fb8aa3b, v100
	v_fma_f32 v108, 0x3fb8aa3b, v100, -v106
	v_rndne_f32_e32 v109, v106
	s_delay_alu instid0(VALU_DEP_2) | instskip(NEXT) | instid1(VALU_DEP_2)
	v_fmac_f32_e32 v108, 0x32a5705f, v100
	v_sub_f32_e32 v106, v106, v109
	s_delay_alu instid0(VALU_DEP_1) | instskip(SKIP_1) | instid1(VALU_DEP_2)
	v_add_f32_e32 v106, v106, v108
	v_cvt_i32_f32_e32 v108, v109
	v_exp_f32_e32 v106, v106
	s_waitcnt_depctr 0xfff
	v_ldexp_f32 v106, v106, v108
	s_delay_alu instid0(VALU_DEP_1) | instskip(SKIP_1) | instid1(VALU_DEP_1)
	v_cndmask_b32_e64 v106, 0, v106, s3
	v_cmp_nlt_f32_e64 s3, 0x42b17218, v100
	v_cndmask_b32_e64 v247, 0x7f800000, v106, s3
	v_cmp_ngt_f32_e64 s3, 0xc2ce8ed0, v101
	ds_bpermute_b32 v106, v225, v247
	v_cndmask_b32_e64 v100, v107, v247, s2
	v_cndmask_b32_e64 v105, v105, v247, s1
	s_waitcnt lgkmcnt(0)
	s_delay_alu instid0(VALU_DEP_2) | instskip(NEXT) | instid1(VALU_DEP_2)
	v_cndmask_b32_e64 v107, v100, v106, s0
	v_cndmask_b32_e32 v105, v105, v106, vcc_lo
	s_delay_alu instid0(VALU_DEP_2) | instskip(NEXT) | instid1(VALU_DEP_2)
	v_cvt_f16_f32_e32 v100, v107
	v_cvt_f16_f32_e32 v106, v105
	s_delay_alu instid0(VALU_DEP_1) | instskip(SKIP_1) | instid1(VALU_DEP_1)
	v_pack_b32_f16 v100, v100, v106
	v_mul_f32_e32 v106, 0x3fb8aa3b, v101
	v_fma_f32 v108, 0x3fb8aa3b, v101, -v106
	v_rndne_f32_e32 v109, v106
	s_delay_alu instid0(VALU_DEP_2) | instskip(NEXT) | instid1(VALU_DEP_2)
	v_fmac_f32_e32 v108, 0x32a5705f, v101
	v_sub_f32_e32 v106, v106, v109
	;; [unrolled: 29-line block ×4, first 2 shown]
	s_delay_alu instid0(VALU_DEP_1) | instskip(SKIP_1) | instid1(VALU_DEP_2)
	v_add_f32_e32 v106, v106, v108
	v_cvt_i32_f32_e32 v108, v109
	v_exp_f32_e32 v106, v106
	s_waitcnt_depctr 0xfff
	v_ldexp_f32 v106, v106, v108
	s_delay_alu instid0(VALU_DEP_1) | instskip(SKIP_1) | instid1(VALU_DEP_1)
	v_cndmask_b32_e64 v106, 0, v106, s3
	v_cmp_nlt_f32_e64 s3, 0x42b17218, v103
	v_cndmask_b32_e64 v250, 0x7f800000, v106, s3
	v_cmp_ngt_f32_e64 s3, 0xc2ce8ed0, v104
	ds_bpermute_b32 v106, v225, v250
	v_cndmask_b32_e64 v103, v107, v250, s2
	v_cndmask_b32_e64 v105, v105, v250, s1
	s_waitcnt lgkmcnt(0)
	s_delay_alu instid0(VALU_DEP_2) | instskip(NEXT) | instid1(VALU_DEP_2)
	v_cndmask_b32_e64 v103, v103, v106, s0
	v_cndmask_b32_e32 v105, v105, v106, vcc_lo
	s_delay_alu instid0(VALU_DEP_2) | instskip(NEXT) | instid1(VALU_DEP_2)
	v_cvt_f16_f32_e32 v103, v103
	v_cvt_f16_f32_e32 v105, v105
	s_delay_alu instid0(VALU_DEP_1) | instskip(SKIP_1) | instid1(VALU_DEP_1)
	v_pack_b32_f16 v103, v103, v105
	v_mul_f32_e32 v105, 0x3fb8aa3b, v104
	v_fma_f32 v106, 0x3fb8aa3b, v104, -v105
	v_rndne_f32_e32 v107, v105
	s_delay_alu instid0(VALU_DEP_1) | instskip(NEXT) | instid1(VALU_DEP_1)
	v_dual_fmac_f32 v106, 0x32a5705f, v104 :: v_dual_sub_f32 v105, v105, v107
	v_add_f32_e32 v105, v105, v106
	v_cvt_i32_f32_e32 v106, v107
	v_add_nc_u32_e32 v107, 0x400, v226
	s_delay_alu instid0(VALU_DEP_3)
	v_exp_f32_e32 v105, v105
	ds_load_2addr_b32 v[175:176], v107 offset0:16 offset1:84
	ds_load_2addr_b32 v[159:160], v107 offset0:132 offset1:152
	;; [unrolled: 1-line block ×10, first 2 shown]
	ds_load_b32 v253, v228 offset:2176
	ds_load_b32 v254, v228 offset:3264
	v_ldexp_f32 v105, v105, v106
	s_delay_alu instid0(VALU_DEP_1) | instskip(SKIP_1) | instid1(VALU_DEP_1)
	v_cndmask_b32_e64 v105, 0, v105, s3
	v_cmp_nlt_f32_e64 s3, 0x42b17218, v104
	v_cndmask_b32_e64 v105, 0x7f800000, v105, s3
	v_cmp_le_f32_e64 s3, 0xc1a00000, v104
	s_waitcnt lgkmcnt(11)
	v_perm_b32 v204, v176, v175, 0x5040100
	s_waitcnt lgkmcnt(9)
	v_perm_b32 v205, v162, v160, 0x5040100
	;; [unrolled: 2-line block ×4, first 2 shown]
	v_cndmask_b32_e64 v251, 0, v105, s3
	s_waitcnt lgkmcnt(4)
	v_perm_b32 v208, v178, v177, 0x5040100
	s_waitcnt lgkmcnt(2)
	v_perm_b32 v209, v168, v166, 0x5040100
	v_perm_b32 v104, v154, v152, 0x5040100
	;; [unrolled: 1-line block ×3, first 2 shown]
	v_cvt_f16_f32_e64 v252, v251
	s_waitcnt lgkmcnt(1)
	v_perm_b32 v108, v170, v253, 0x5040100
	v_perm_b32 v109, v174, v172, 0x5040100
	s_delay_alu instid0(VALU_DEP_3)
	v_pk_mul_f16 v88, v252, v88 op_sel_hi:[0,1]
	v_pk_mul_f16 v89, v252, v89 op_sel_hi:[0,1]
	;; [unrolled: 1-line block ×12, first 2 shown]
	v_wmma_f16_16x16x16_f16 v[88:95], v[202:209], v[96:103], v[88:95]
	ds_load_b32 v184, v228 offset:1088
	ds_load_b32 v181, v227 offset:3264
	ds_load_2addr_b32 v[202:203], v107 offset0:100 offset1:116
	ds_load_2addr_b32 v[204:205], v107 offset0:168 offset1:184
	;; [unrolled: 1-line block ×10, first 2 shown]
	ds_load_b32 v183, v230 offset:1088
	ds_load_b32 v179, v230 offset:2176
	;; [unrolled: 1-line block ×5, first 2 shown]
	ds_load_2addr_b32 v[125:126], v185 offset0:132 offset1:148
	ds_load_2addr_b32 v[113:114], v185 offset0:200 offset1:216
	ds_load_2addr_b32 v[185:186], v186 offset0:12 offset1:28
	v_pk_mul_f16 v84, v252, v84 op_sel_hi:[0,1]
	v_pk_mul_f16 v85, v252, v85 op_sel_hi:[0,1]
	;; [unrolled: 1-line block ×20, first 2 shown]
	ds_load_b32 v252, v232 offset:1088
	ds_load_b32 v236, v232 offset:2176
	;; [unrolled: 1-line block ×8, first 2 shown]
	s_waitcnt lgkmcnt(25)
	v_perm_b32 v106, v202, v184, 0x5040100
	s_waitcnt lgkmcnt(23)
	v_perm_b32 v107, v206, v204, 0x5040100
	;; [unrolled: 2-line block ×4, first 2 shown]
	s_delay_alu instid0(VALU_DEP_1)
	v_wmma_f16_16x16x16_f16 v[80:87], v[104:111], v[96:103], v[80:87]
	s_waitcnt lgkmcnt(18)
	v_perm_b32 v104, v193, v211, 0x5040100
	s_waitcnt lgkmcnt(16)
	v_perm_b32 v105, v187, v189, 0x5040100
	;; [unrolled: 2-line block ×3, first 2 shown]
	v_perm_b32 v107, v207, v205, 0x5040100
	s_waitcnt lgkmcnt(10)
	v_perm_b32 v108, v125, v179, 0x5040100
	s_waitcnt lgkmcnt(8)
	v_perm_b32 v109, v185, v113, 0x5040100
	v_perm_b32 v110, v209, v196, 0x5040100
	v_perm_b32 v111, v198, v200, 0x5040100
	s_delay_alu instid0(VALU_DEP_1)
	v_wmma_f16_16x16x16_f16 v[72:79], v[104:111], v[96:103], v[72:79]
	v_perm_b32 v104, v194, v212, 0x5040100
	v_perm_b32 v105, v188, v190, 0x5040100
	s_waitcnt lgkmcnt(7)
	v_perm_b32 v106, v159, v252, 0x5040100
	v_perm_b32 v107, v163, v161, 0x5040100
	s_waitcnt lgkmcnt(6)
	v_perm_b32 v108, v126, v236, 0x5040100
	v_perm_b32 v109, v186, v114, 0x5040100
	s_waitcnt lgkmcnt(5)
	v_perm_b32 v110, v165, v115, 0x5040100
	s_waitcnt lgkmcnt(2)
	v_perm_b32 v111, v118, v167, 0x5040100
	s_delay_alu instid0(VALU_DEP_1)
	v_wmma_f16_16x16x16_f16 v[64:71], v[104:111], v[96:103], v[64:71]
	v_perm_b32 v106, v176, v175, 0x7060302
	v_perm_b32 v110, v178, v177, 0x7060302
	v_perm_b32 v104, v153, v151, 0x7060302
	v_perm_b32 v105, v157, v155, 0x7060302
	v_perm_b32 v107, v162, v160, 0x7060302
	v_perm_b32 v108, v169, v164, 0x7060302
	v_perm_b32 v109, v173, v171, 0x7060302
	v_perm_b32 v111, v168, v166, 0x7060302
	s_delay_alu instid0(VALU_DEP_1)
	v_wmma_f16_16x16x16_f16 v[88:95], v[104:111], v[96:103], v[88:95] op_sel:[0,0,1]
	v_perm_b32 v104, v154, v152, 0x7060302
	v_perm_b32 v105, v158, v156, 0x7060302
	v_perm_b32 v109, v174, v172, 0x7060302
	v_perm_b32 v108, v170, v253, 0x7060302
	v_perm_b32 v106, v202, v184, 0x7060302
	v_perm_b32 v110, v208, v254, 0x7060302
	v_perm_b32 v107, v206, v204, 0x7060302
	v_perm_b32 v111, v197, v199, 0x7060302
	s_delay_alu instid0(VALU_DEP_1)
	v_wmma_f16_16x16x16_f16 v[80:87], v[104:111], v[96:103], v[80:87] op_sel:[0,0,1]
	;; [unrolled: 10-line block ×3, first 2 shown]
	v_perm_b32 v104, v194, v212, 0x7060302
	v_perm_b32 v105, v188, v190, 0x7060302
	;; [unrolled: 1-line block ×8, first 2 shown]
	s_delay_alu instid0(VALU_DEP_1) | instskip(SKIP_2) | instid1(VALU_DEP_2)
	v_wmma_f16_16x16x16_f16 v[64:71], v[104:111], v[96:103], v[64:71] op_sel:[0,0,1]
	v_sub_f32_e32 v96, v242, v210
	v_add_nc_u32_e32 v109, 0x2c00, v226
	v_mul_f32_e32 v97, 0x3fb8aa3b, v96
	v_cmp_ngt_f32_e64 s3, 0xc2ce8ed0, v96
	s_delay_alu instid0(VALU_DEP_2) | instskip(SKIP_1) | instid1(VALU_DEP_1)
	v_fma_f32 v98, 0x3fb8aa3b, v96, -v97
	v_rndne_f32_e32 v99, v97
	v_dual_fmac_f32 v98, 0x32a5705f, v96 :: v_dual_sub_f32 v97, v97, v99
	v_cvt_i32_f32_e32 v99, v99
	s_delay_alu instid0(VALU_DEP_2) | instskip(SKIP_1) | instid1(VALU_DEP_2)
	v_add_f32_e32 v97, v97, v98
	v_sub_f32_e32 v98, v241, v210
	v_exp_f32_e32 v97, v97
	s_delay_alu instid0(VALU_DEP_1) | instskip(SKIP_1) | instid1(VALU_DEP_2)
	v_mul_f32_e32 v100, 0x3fb8aa3b, v98
	v_cmp_ngt_f32_e64 s4, 0xc2ce8ed0, v98
	v_fma_f32 v101, 0x3fb8aa3b, v98, -v100
	v_rndne_f32_e32 v102, v100
	s_waitcnt_depctr 0xfff
	v_ldexp_f32 v97, v97, v99
	v_fmac_f32_e32 v101, 0x32a5705f, v98
	v_sub_f32_e32 v100, v100, v102
	v_cvt_i32_f32_e32 v99, v102
	s_delay_alu instid0(VALU_DEP_4) | instskip(SKIP_1) | instid1(VALU_DEP_4)
	v_cndmask_b32_e64 v97, 0, v97, s3
	v_cmp_nlt_f32_e64 s3, 0x42b17218, v96
	v_add_f32_e32 v100, v100, v101
	s_delay_alu instid0(VALU_DEP_2) | instskip(NEXT) | instid1(VALU_DEP_2)
	v_cndmask_b32_e64 v118, 0x7f800000, v97, s3
	v_exp_f32_e32 v100, v100
	s_waitcnt_depctr 0xfff
	v_ldexp_f32 v99, v100, v99
	s_delay_alu instid0(VALU_DEP_1)
	v_cndmask_b32_e64 v96, 0, v99, s4
	v_cmp_nlt_f32_e64 s4, 0x42b17218, v98
	ds_bpermute_b32 v98, v225, v118
	v_cndmask_b32_e64 v115, 0x7f800000, v96, s4
	ds_bpermute_b32 v96, v225, v115
	s_waitcnt lgkmcnt(0)
	v_cndmask_b32_e64 v97, v115, v96, s0
	v_cndmask_b32_e32 v96, v115, v96, vcc_lo
	s_delay_alu instid0(VALU_DEP_2) | instskip(NEXT) | instid1(VALU_DEP_2)
	v_cndmask_b32_e64 v99, v97, v118, s2
	v_cndmask_b32_e64 v100, v96, v118, s1
	v_cvt_f16_f32_e32 v97, v97
	v_cvt_f16_f32_e32 v96, v96
	s_delay_alu instid0(VALU_DEP_4) | instskip(NEXT) | instid1(VALU_DEP_4)
	v_cndmask_b32_e64 v99, v99, v98, s0
	v_cndmask_b32_e32 v98, v100, v98, vcc_lo
	s_delay_alu instid0(VALU_DEP_3) | instskip(NEXT) | instid1(VALU_DEP_3)
	v_pack_b32_f16 v96, v97, v96
	v_cvt_f16_f32_e32 v100, v99
	s_delay_alu instid0(VALU_DEP_3) | instskip(NEXT) | instid1(VALU_DEP_1)
	v_cvt_f16_f32_e32 v101, v98
	v_pack_b32_f16 v97, v100, v101
	v_sub_f32_e32 v100, v240, v210
	s_delay_alu instid0(VALU_DEP_1) | instskip(SKIP_1) | instid1(VALU_DEP_2)
	v_mul_f32_e32 v101, 0x3fb8aa3b, v100
	v_cmp_ngt_f32_e64 s3, 0xc2ce8ed0, v100
	v_fma_f32 v102, 0x3fb8aa3b, v100, -v101
	v_rndne_f32_e32 v103, v101
	s_delay_alu instid0(VALU_DEP_1) | instskip(NEXT) | instid1(VALU_DEP_1)
	v_dual_fmac_f32 v102, 0x32a5705f, v100 :: v_dual_sub_f32 v101, v101, v103
	v_add_f32_e32 v101, v101, v102
	v_cvt_i32_f32_e32 v102, v103
	s_delay_alu instid0(VALU_DEP_2) | instskip(SKIP_2) | instid1(VALU_DEP_1)
	v_exp_f32_e32 v101, v101
	s_waitcnt_depctr 0xfff
	v_ldexp_f32 v101, v101, v102
	v_cndmask_b32_e64 v101, 0, v101, s3
	v_cmp_nlt_f32_e64 s3, 0x42b17218, v100
	s_delay_alu instid0(VALU_DEP_1) | instskip(SKIP_4) | instid1(VALU_DEP_2)
	v_cndmask_b32_e64 v179, 0x7f800000, v101, s3
	ds_bpermute_b32 v100, v225, v179
	v_cndmask_b32_e64 v99, v99, v179, s2
	v_cndmask_b32_e64 v98, v98, v179, s1
	s_waitcnt lgkmcnt(0)
	v_cndmask_b32_e64 v99, v99, v100, s0
	s_delay_alu instid0(VALU_DEP_2) | instskip(NEXT) | instid1(VALU_DEP_2)
	v_cndmask_b32_e32 v100, v98, v100, vcc_lo
	v_cvt_f16_f32_e32 v98, v99
	s_delay_alu instid0(VALU_DEP_2) | instskip(NEXT) | instid1(VALU_DEP_1)
	v_cvt_f16_f32_e32 v101, v100
	v_pack_b32_f16 v98, v98, v101
	v_sub_f32_e32 v101, v239, v210
	s_delay_alu instid0(VALU_DEP_1) | instskip(SKIP_1) | instid1(VALU_DEP_2)
	v_mul_f32_e32 v102, 0x3fb8aa3b, v101
	v_cmp_ngt_f32_e64 s3, 0xc2ce8ed0, v101
	v_fma_f32 v103, 0x3fb8aa3b, v101, -v102
	v_rndne_f32_e32 v104, v102
	s_delay_alu instid0(VALU_DEP_1) | instskip(NEXT) | instid1(VALU_DEP_1)
	v_dual_fmac_f32 v103, 0x32a5705f, v101 :: v_dual_sub_f32 v102, v102, v104
	v_add_f32_e32 v102, v102, v103
	v_cvt_i32_f32_e32 v103, v104
	s_delay_alu instid0(VALU_DEP_2) | instskip(SKIP_2) | instid1(VALU_DEP_1)
	v_exp_f32_e32 v102, v102
	s_waitcnt_depctr 0xfff
	v_ldexp_f32 v102, v102, v103
	v_cndmask_b32_e64 v102, 0, v102, s3
	v_cmp_nlt_f32_e64 s3, 0x42b17218, v101
	s_delay_alu instid0(VALU_DEP_1) | instskip(SKIP_4) | instid1(VALU_DEP_2)
	v_cndmask_b32_e64 v183, 0x7f800000, v102, s3
	ds_bpermute_b32 v101, v225, v183
	v_cndmask_b32_e64 v99, v99, v183, s2
	v_cndmask_b32_e64 v100, v100, v183, s1
	s_waitcnt lgkmcnt(0)
	v_cndmask_b32_e64 v102, v99, v101, s0
	s_delay_alu instid0(VALU_DEP_2) | instskip(NEXT) | instid1(VALU_DEP_2)
	v_cndmask_b32_e32 v100, v100, v101, vcc_lo
	v_cvt_f16_f32_e32 v99, v102
	s_delay_alu instid0(VALU_DEP_2) | instskip(NEXT) | instid1(VALU_DEP_1)
	v_cvt_f16_f32_e32 v101, v100
	v_pack_b32_f16 v99, v99, v101
	v_sub_f32_e32 v101, v238, v210
	s_delay_alu instid0(VALU_DEP_1) | instskip(SKIP_1) | instid1(VALU_DEP_2)
	v_mul_f32_e32 v103, 0x3fb8aa3b, v101
	v_cmp_ngt_f32_e64 s3, 0xc2ce8ed0, v101
	v_fma_f32 v104, 0x3fb8aa3b, v101, -v103
	v_rndne_f32_e32 v105, v103
	s_delay_alu instid0(VALU_DEP_2) | instskip(NEXT) | instid1(VALU_DEP_2)
	v_fmac_f32_e32 v104, 0x32a5705f, v101
	v_sub_f32_e32 v103, v103, v105
	s_delay_alu instid0(VALU_DEP_1) | instskip(SKIP_1) | instid1(VALU_DEP_2)
	v_add_f32_e32 v103, v103, v104
	v_cvt_i32_f32_e32 v104, v105
	v_exp_f32_e32 v103, v103
	s_waitcnt_depctr 0xfff
	v_ldexp_f32 v103, v103, v104
	s_delay_alu instid0(VALU_DEP_1) | instskip(SKIP_1) | instid1(VALU_DEP_1)
	v_cndmask_b32_e64 v103, 0, v103, s3
	v_cmp_nlt_f32_e64 s3, 0x42b17218, v101
	v_cndmask_b32_e64 v194, 0x7f800000, v103, s3
	s_delay_alu instid0(VALU_DEP_1) | instskip(SKIP_4) | instid1(VALU_DEP_2)
	v_cndmask_b32_e64 v101, v102, v194, s2
	ds_bpermute_b32 v102, v225, v194
	v_cndmask_b32_e64 v100, v100, v194, s1
	s_waitcnt lgkmcnt(0)
	v_cndmask_b32_e64 v101, v101, v102, s0
	v_cndmask_b32_e32 v102, v100, v102, vcc_lo
	s_delay_alu instid0(VALU_DEP_2) | instskip(NEXT) | instid1(VALU_DEP_2)
	v_cvt_f16_f32_e32 v100, v101
	v_cvt_f16_f32_e32 v103, v102
	s_delay_alu instid0(VALU_DEP_1) | instskip(SKIP_1) | instid1(VALU_DEP_1)
	v_pack_b32_f16 v100, v100, v103
	v_sub_f32_e32 v103, v191, v210
	v_mul_f32_e32 v104, 0x3fb8aa3b, v103
	v_cmp_ngt_f32_e64 s3, 0xc2ce8ed0, v103
	s_delay_alu instid0(VALU_DEP_2) | instskip(SKIP_1) | instid1(VALU_DEP_1)
	v_fma_f32 v105, 0x3fb8aa3b, v103, -v104
	v_rndne_f32_e32 v106, v104
	v_dual_fmac_f32 v105, 0x32a5705f, v103 :: v_dual_sub_f32 v104, v104, v106
	s_delay_alu instid0(VALU_DEP_1) | instskip(SKIP_1) | instid1(VALU_DEP_2)
	v_add_f32_e32 v104, v104, v105
	v_cvt_i32_f32_e32 v105, v106
	v_exp_f32_e32 v104, v104
	s_waitcnt_depctr 0xfff
	v_ldexp_f32 v104, v104, v105
	s_delay_alu instid0(VALU_DEP_1) | instskip(SKIP_1) | instid1(VALU_DEP_1)
	v_cndmask_b32_e64 v104, 0, v104, s3
	v_cmp_nlt_f32_e64 s3, 0x42b17218, v103
	v_cndmask_b32_e64 v196, 0x7f800000, v104, s3
	ds_bpermute_b32 v103, v225, v196
	v_cndmask_b32_e64 v101, v101, v196, s2
	v_cndmask_b32_e64 v102, v102, v196, s1
	s_waitcnt lgkmcnt(0)
	s_delay_alu instid0(VALU_DEP_2) | instskip(NEXT) | instid1(VALU_DEP_2)
	v_cndmask_b32_e64 v104, v101, v103, s0
	v_cndmask_b32_e32 v102, v102, v103, vcc_lo
	s_delay_alu instid0(VALU_DEP_2) | instskip(NEXT) | instid1(VALU_DEP_2)
	v_cvt_f16_f32_e32 v101, v104
	v_cvt_f16_f32_e32 v103, v102
	s_delay_alu instid0(VALU_DEP_1) | instskip(SKIP_1) | instid1(VALU_DEP_1)
	v_pack_b32_f16 v101, v101, v103
	v_sub_f32_e32 v103, v237, v210
	v_mul_f32_e32 v105, 0x3fb8aa3b, v103
	v_cmp_ngt_f32_e64 s3, 0xc2ce8ed0, v103
	s_delay_alu instid0(VALU_DEP_2) | instskip(SKIP_1) | instid1(VALU_DEP_2)
	v_fma_f32 v106, 0x3fb8aa3b, v103, -v105
	v_rndne_f32_e32 v107, v105
	v_fmac_f32_e32 v106, 0x32a5705f, v103
	s_delay_alu instid0(VALU_DEP_2) | instskip(NEXT) | instid1(VALU_DEP_1)
	v_sub_f32_e32 v105, v105, v107
	v_add_f32_e32 v105, v105, v106
	v_cvt_i32_f32_e32 v106, v107
	s_delay_alu instid0(VALU_DEP_2) | instskip(SKIP_2) | instid1(VALU_DEP_1)
	v_exp_f32_e32 v105, v105
	s_waitcnt_depctr 0xfff
	v_ldexp_f32 v105, v105, v106
	v_cndmask_b32_e64 v105, 0, v105, s3
	v_cmp_nlt_f32_e64 s3, 0x42b17218, v103
	s_delay_alu instid0(VALU_DEP_1) | instskip(NEXT) | instid1(VALU_DEP_1)
	v_cndmask_b32_e64 v204, 0x7f800000, v105, s3
	v_cndmask_b32_e64 v103, v104, v204, s2
	ds_bpermute_b32 v104, v225, v204
	v_cndmask_b32_e64 v102, v102, v204, s1
	s_waitcnt lgkmcnt(0)
	v_cndmask_b32_e64 v103, v103, v104, s0
	s_delay_alu instid0(VALU_DEP_2) | instskip(NEXT) | instid1(VALU_DEP_2)
	v_cndmask_b32_e32 v104, v102, v104, vcc_lo
	v_cvt_f16_f32_e32 v102, v103
	s_delay_alu instid0(VALU_DEP_2) | instskip(NEXT) | instid1(VALU_DEP_1)
	v_cvt_f16_f32_e32 v105, v104
	v_pack_b32_f16 v102, v102, v105
	v_sub_f32_e32 v105, v192, v210
	s_delay_alu instid0(VALU_DEP_1) | instskip(SKIP_1) | instid1(VALU_DEP_2)
	v_mul_f32_e32 v106, 0x3fb8aa3b, v105
	v_cmp_ngt_f32_e64 s3, 0xc2ce8ed0, v105
	v_fma_f32 v107, 0x3fb8aa3b, v105, -v106
	v_rndne_f32_e32 v108, v106
	s_delay_alu instid0(VALU_DEP_1) | instskip(NEXT) | instid1(VALU_DEP_1)
	v_dual_fmac_f32 v107, 0x32a5705f, v105 :: v_dual_sub_f32 v106, v106, v108
	v_add_f32_e32 v106, v106, v107
	v_cvt_i32_f32_e32 v107, v108
	s_delay_alu instid0(VALU_DEP_2) | instskip(SKIP_2) | instid1(VALU_DEP_1)
	v_exp_f32_e32 v106, v106
	s_waitcnt_depctr 0xfff
	v_ldexp_f32 v106, v106, v107
	v_cndmask_b32_e64 v106, 0, v106, s3
	v_cmp_nlt_f32_e64 s3, 0x42b17218, v105
	s_delay_alu instid0(VALU_DEP_1) | instskip(SKIP_4) | instid1(VALU_DEP_2)
	v_cndmask_b32_e64 v205, 0x7f800000, v106, s3
	ds_bpermute_b32 v105, v225, v205
	v_cndmask_b32_e64 v103, v103, v205, s2
	v_cndmask_b32_e64 v104, v104, v205, s1
	s_waitcnt lgkmcnt(0)
	v_cndmask_b32_e64 v103, v103, v105, s0
	s_delay_alu instid0(VALU_DEP_2) | instskip(NEXT) | instid1(VALU_DEP_2)
	v_dual_cndmask_b32 v104, v104, v105 :: v_dual_add_nc_u32 v105, 0x2800, v226
	v_cvt_f16_f32_e32 v103, v103
	s_delay_alu instid0(VALU_DEP_2) | instskip(NEXT) | instid1(VALU_DEP_1)
	v_cvt_f16_f32_e32 v104, v104
	v_pack_b32_f16 v103, v103, v104
	v_add_nc_u32_e32 v104, 0x2600, v226
	ds_load_b32 v206, v227 offset:1088
	ds_load_2addr_b32 v[113:114], v104 offset0:84 offset1:152
	ds_load_2addr_b32 v[125:126], v105 offset0:92 offset1:228
	v_add_nc_u32_e32 v104, 0x2e00, v226
	v_add_nc_u32_e32 v105, 0x2400, v226
	ds_load_2addr_b32 v[157:158], v109 offset0:40 offset1:108
	ds_load_2addr_b32 v[151:152], v104 offset0:116 offset1:184
	v_add_nc_u32_e32 v104, 0x2000, v226
	ds_load_2addr_b32 v[155:156], v105 offset0:8 offset1:76
	ds_load_2addr_b32 v[153:154], v104 offset0:128 offset1:196
	s_waitcnt lgkmcnt(5)
	v_perm_b32 v106, v113, v206, 0x5040100
	s_waitcnt lgkmcnt(4)
	v_perm_b32 v107, v125, v114, 0x5040100
	v_perm_b32 v108, v126, v119, 0x5040100
	s_waitcnt lgkmcnt(3)
	v_perm_b32 v109, v158, v157, 0x5040100
	s_waitcnt lgkmcnt(2)
	v_perm_b32 v110, v151, v181, 0x5040100
	v_perm_b32 v111, v120, v152, 0x5040100
	s_waitcnt lgkmcnt(1)
	v_perm_b32 v105, v156, v155, 0x5040100
	s_waitcnt lgkmcnt(0)
	v_perm_b32 v104, v154, v153, 0x5040100
	s_delay_alu instid0(VALU_DEP_1)
	v_wmma_f16_16x16x16_f16 v[88:95], v[104:111], v[96:103], v[88:95]
	v_add_nc_u32_e32 v104, 0x2600, v228
	v_add_nc_u32_e32 v105, 0x2800, v228
	ds_load_2addr_b32 v[159:160], v104 offset0:84 offset1:152
	ds_load_b32 v207, v229 offset:1088
	ds_load_2addr_b32 v[161:162], v105 offset0:92 offset1:228
	ds_load_b32 v208, v229 offset:2176
	ds_load_b32 v209, v228 offset:12784
	v_add_nc_u32_e32 v104, 0x2e00, v228
	v_add_nc_u32_e32 v105, 0x2400, v228
	v_add_nc_u32_e32 v109, 0x2c00, v228
	ds_load_2addr_b32 v[163:164], v104 offset0:116 offset1:184
	v_add_nc_u32_e32 v104, 0x2000, v228
	ds_load_2addr_b32 v[167:168], v105 offset0:8 offset1:76
	ds_load_2addr_b32 v[169:170], v109 offset0:40 offset1:108
	;; [unrolled: 1-line block ×3, first 2 shown]
	s_waitcnt lgkmcnt(7)
	v_perm_b32 v106, v159, v207, 0x5040100
	s_waitcnt lgkmcnt(6)
	v_perm_b32 v107, v161, v160, 0x5040100
	;; [unrolled: 2-line block ×4, first 2 shown]
	v_perm_b32 v111, v209, v164, 0x5040100
	s_waitcnt lgkmcnt(2)
	v_perm_b32 v105, v168, v167, 0x5040100
	s_waitcnt lgkmcnt(1)
	;; [unrolled: 2-line block ×3, first 2 shown]
	v_perm_b32 v104, v166, v165, 0x5040100
	s_delay_alu instid0(VALU_DEP_1)
	v_wmma_f16_16x16x16_f16 v[80:87], v[104:111], v[96:103], v[80:87]
	v_add_nc_u32_e32 v104, 0x2600, v230
	v_add_nc_u32_e32 v105, 0x2800, v230
	ds_load_2addr_b32 v[171:172], v104 offset0:84 offset1:152
	ds_load_b32 v211, v231 offset:1088
	ds_load_2addr_b32 v[173:174], v105 offset0:92 offset1:228
	ds_load_b32 v212, v231 offset:2176
	v_add_nc_u32_e32 v104, 0x2e00, v230
	v_add_nc_u32_e32 v105, 0x2400, v230
	;; [unrolled: 1-line block ×3, first 2 shown]
	ds_load_2addr_b32 v[175:176], v104 offset0:116 offset1:184
	v_add_nc_u32_e32 v104, 0x2000, v230
	ds_load_2addr_b32 v[184:185], v105 offset0:8 offset1:76
	ds_load_2addr_b32 v[186:187], v109 offset0:40 offset1:108
	;; [unrolled: 1-line block ×3, first 2 shown]
	s_waitcnt lgkmcnt(6)
	v_perm_b32 v106, v171, v211, 0x5040100
	s_waitcnt lgkmcnt(5)
	v_perm_b32 v107, v173, v172, 0x5040100
	s_waitcnt lgkmcnt(4)
	v_perm_b32 v108, v174, v212, 0x5040100
	s_waitcnt lgkmcnt(3)
	v_perm_b32 v110, v175, v117, 0x5040100
	v_perm_b32 v111, v201, v176, 0x5040100
	s_waitcnt lgkmcnt(2)
	v_perm_b32 v105, v185, v184, 0x5040100
	s_waitcnt lgkmcnt(1)
	;; [unrolled: 2-line block ×3, first 2 shown]
	v_perm_b32 v104, v178, v177, 0x5040100
	s_delay_alu instid0(VALU_DEP_1)
	v_wmma_f16_16x16x16_f16 v[72:79], v[104:111], v[96:103], v[72:79]
	v_add_nc_u32_e32 v104, 0x2000, v232
	v_add_nc_u32_e32 v107, 0x2800, v232
	;; [unrolled: 1-line block ×6, first 2 shown]
	ds_load_2addr_b32 v[188:189], v104 offset0:128 offset1:196
	ds_load_2addr_b32 v[190:191], v105 offset0:8 offset1:76
	ds_load_b32 v236, v233 offset:1088
	ds_load_2addr_b32 v[192:193], v106 offset0:84 offset1:152
	ds_load_2addr_b32 v[197:198], v107 offset0:92 offset1:228
	ds_load_b32 v237, v233 offset:2176
	ds_load_b32 v238, v233 offset:3264
	ds_load_2addr_b32 v[199:200], v109 offset0:40 offset1:108
	ds_load_2addr_b32 v[202:203], v110 offset0:116 offset1:184
	s_waitcnt lgkmcnt(0)
	s_barrier
	buffer_gl0_inv
	v_perm_b32 v104, v189, v188, 0x5040100
	v_perm_b32 v105, v191, v190, 0x5040100
	;; [unrolled: 1-line block ×8, first 2 shown]
	s_delay_alu instid0(VALU_DEP_1)
	v_wmma_f16_16x16x16_f16 v[64:71], v[104:111], v[96:103], v[64:71]
	v_perm_b32 v106, v113, v206, 0x7060302
	v_perm_b32 v107, v125, v114, 0x7060302
	v_perm_b32 v108, v126, v119, 0x7060302
	v_perm_b32 v110, v151, v181, 0x7060302
	v_perm_b32 v111, v120, v152, 0x7060302
	v_perm_b32 v104, v154, v153, 0x7060302
	v_perm_b32 v105, v156, v155, 0x7060302
	v_perm_b32 v109, v158, v157, 0x7060302
	v_dual_mov_b32 v152, v220 :: v_dual_mov_b32 v113, v121
	v_dual_mov_b32 v114, v122 :: v_dual_mov_b32 v121, v123
	s_delay_alu instid0(VALU_DEP_3)
	v_wmma_f16_16x16x16_f16 v[88:95], v[104:111], v[96:103], v[88:95] op_sel:[0,0,1]
	v_perm_b32 v106, v159, v207, 0x7060302
	v_perm_b32 v107, v161, v160, 0x7060302
	;; [unrolled: 1-line block ×8, first 2 shown]
	v_dual_mov_b32 v122, v124 :: v_dual_mov_b32 v123, v127
	v_mov_b32_e32 v124, v128
	v_mov_b32_e32 v126, v145
	s_delay_alu instid0(VALU_DEP_4)
	v_wmma_f16_16x16x16_f16 v[80:87], v[104:111], v[96:103], v[80:87] op_sel:[0,0,1]
	v_perm_b32 v106, v171, v211, 0x7060302
	v_perm_b32 v107, v173, v172, 0x7060302
	;; [unrolled: 1-line block ×8, first 2 shown]
	v_mov_b32_e32 v176, v132
	v_dual_mov_b32 v178, v134 :: v_dual_mov_b32 v175, v131
	v_mov_b32_e32 v177, v133
	s_delay_alu instid0(VALU_DEP_4)
	v_wmma_f16_16x16x16_f16 v[72:79], v[104:111], v[96:103], v[72:79] op_sel:[0,0,1]
	v_perm_b32 v106, v192, v236, 0x7060302
	v_perm_b32 v107, v197, v193, 0x7060302
	;; [unrolled: 1-line block ×8, first 2 shown]
	v_mov_b32_e32 v132, v143
	v_dual_mov_b32 v186, v138 :: v_dual_mov_b32 v133, v144
	v_mov_b32_e32 v185, v137
	s_delay_alu instid0(VALU_DEP_4) | instskip(SKIP_3) | instid1(VALU_DEP_3)
	v_wmma_f16_16x16x16_f16 v[64:71], v[104:111], v[96:103], v[64:71] op_sel:[0,0,1]
	v_dual_mov_b32 v97, v182 :: v_dual_add_f32 v96, v243, v244
	v_dual_mov_b32 v99, v222 :: v_dual_mov_b32 v108, v141
	v_mov_b32_e32 v137, v147
	v_dual_mov_b32 v109, v142 :: v_dual_add_f32 v96, v245, v96
	s_delay_alu instid0(VALU_DEP_3) | instskip(SKIP_2) | instid1(VALU_DEP_4)
	v_cmp_lt_i32_e32 vcc_lo, s100, v99
	v_mov_b32_e32 v142, v149
	v_dual_mov_b32 v106, v139 :: v_dual_mov_b32 v127, v146
	v_dual_add_f32 v96, v246, v96 :: v_dual_mov_b32 v153, v221
	v_dual_mov_b32 v138, v148 :: v_dual_mov_b32 v143, v150
	s_delay_alu instid0(VALU_DEP_2) | instskip(SKIP_1) | instid1(VALU_DEP_1)
	v_dual_mov_b32 v107, v140 :: v_dual_add_f32 v96, v247, v96
	s_and_b32 vcc_lo, exec_lo, vcc_lo
	v_add_f32_e32 v96, v248, v96
	s_delay_alu instid0(VALU_DEP_1) | instskip(NEXT) | instid1(VALU_DEP_1)
	v_add_f32_e32 v96, v249, v96
	v_add_f32_e32 v96, v250, v96
	s_delay_alu instid0(VALU_DEP_1) | instskip(NEXT) | instid1(VALU_DEP_1)
	v_add_f32_e32 v96, v115, v96
	;; [unrolled: 3-line block ×3, first 2 shown]
	v_add_f32_e32 v96, v183, v96
	v_dual_mov_b32 v184, v136 :: v_dual_mov_b32 v183, v135
	v_dual_mov_b32 v136, v130 :: v_dual_mov_b32 v135, v129
	s_delay_alu instid0(VALU_DEP_3) | instskip(NEXT) | instid1(VALU_DEP_1)
	v_add_f32_e32 v96, v194, v96
	v_add_f32_e32 v96, v196, v96
	s_delay_alu instid0(VALU_DEP_1) | instskip(NEXT) | instid1(VALU_DEP_1)
	v_add_f32_e32 v96, v204, v96
	v_add_f32_e32 v182, v205, v96
	s_delay_alu instid0(VALU_DEP_1)
	v_fmac_f32_e32 v182, v97, v251
	s_cbranch_vccnz .LBB24_311
; %bb.312:
	s_clause 0x1e
	scratch_load_b32 v222, off, off offset:276
	scratch_load_b32 v204, off, off offset:196
	;; [unrolled: 1-line block ×19, first 2 shown]
	scratch_load_b64 v[129:130], off, off offset:116
	scratch_load_b32 v172, off, off offset:124
	scratch_load_b32 v173, off, off offset:156
	;; [unrolled: 1-line block ×11, first 2 shown]
	v_mbcnt_lo_u32_b32 v115, -1, 0
	v_mov_b32_e32 v128, 32
.LBB24_313:
	s_lshl_b32 s0, s100, 6
	v_lshlrev_b64 v[96:97], 1, v[214:215]
	s_ashr_i32 s1, s0, 31
	s_mov_b32 s16, 0
	s_lshl_b64 s[2:3], s[0:1], 1
	s_mov_b32 s17, s16
	s_add_u32 s2, s24, s2
	s_addc_u32 s3, s25, s3
	s_waitcnt vmcnt(0)
	v_add_co_u32 v100, s2, s2, v104
	s_delay_alu instid0(VALU_DEP_1) | instskip(SKIP_1) | instid1(VALU_DEP_2)
	v_add_co_ci_u32_e64 v101, null, s3, 0, s2
	s_mov_b32 s18, s16
	v_add_co_u32 v98, vcc_lo, v100, v96
	s_delay_alu instid0(VALU_DEP_2)
	v_add_co_ci_u32_e32 v99, vcc_lo, v101, v97, vcc_lo
	v_lshlrev_b64 v[96:97], 1, v[152:153]
	s_mov_b32 s19, s16
	s_mov_b32 s20, s16
	s_mov_b32 s21, s16
	s_mov_b32 s22, s16
	s_mov_b32 s23, s16
	v_add_co_u32 v96, vcc_lo, v100, v96
	v_add_co_ci_u32_e32 v97, vcc_lo, v101, v97, vcc_lo
	s_clause 0x1
	global_load_b32 v98, v[98:99], off
	global_load_b32 v96, v[96:97], off
	v_add_nc_u32_e32 v104, 0, v104
	s_mul_hi_u32 s2, s12, s0
	s_mul_i32 s3, s12, s1
	s_mul_i32 s4, s7, s0
	s_add_i32 s3, s2, s3
	v_add_nc_u32_e32 v97, v104, v102
	s_mul_i32 s2, s12, s0
	s_add_i32 s3, s3, s4
	s_mul_i32 s1, s10, s1
	s_lshl_b64 s[2:3], s[2:3], 2
	s_delay_alu instid0(SALU_CYCLE_1)
	s_add_u32 s2, s14, s2
	s_addc_u32 s3, s15, s3
	s_waitcnt vmcnt(1)
	ds_store_b32 v97, v98 offset:17408
	v_add_nc_u32_e32 v97, v104, v103
	s_waitcnt vmcnt(0)
	ds_store_b32 v97, v96 offset:17408
	v_lshlrev_b64 v[96:97], 2, v[106:107]
	s_delay_alu instid0(VALU_DEP_1) | instskip(NEXT) | instid1(VALU_DEP_2)
	v_add_co_u32 v98, vcc_lo, s2, v96
	v_add_co_ci_u32_e32 v99, vcc_lo, s3, v97, vcc_lo
	v_lshlrev_b64 v[96:97], 2, v[108:109]
	v_lshlrev_b32_e32 v109, 2, v129
	s_delay_alu instid0(VALU_DEP_2) | instskip(NEXT) | instid1(VALU_DEP_3)
	v_add_co_u32 v100, vcc_lo, s2, v96
	v_add_co_ci_u32_e32 v101, vcc_lo, s3, v97, vcc_lo
	v_lshlrev_b64 v[96:97], 2, v[129:130]
	s_delay_alu instid0(VALU_DEP_4)
	v_add3_u32 v110, 0, v105, v109
	v_add3_u32 v129, 0, v131, v109
	;; [unrolled: 1-line block ×5, first 2 shown]
	v_add_co_u32 v98, vcc_lo, v98, v96
	v_add_co_ci_u32_e32 v99, vcc_lo, v99, v97, vcc_lo
	v_add_co_u32 v102, vcc_lo, v100, v96
	v_add_co_ci_u32_e32 v103, vcc_lo, v101, v97, vcc_lo
	s_clause 0x1
	global_load_b128 v[98:101], v[98:99], off
	global_load_b128 v[105:108], v[102:103], off
	v_add3_u32 v131, 0, v140, v109
	s_waitcnt vmcnt(1)
	ds_store_b128 v110, v[98:101]
	v_lshlrev_b64 v[98:99], 2, v[132:133]
	s_waitcnt vmcnt(0)
	ds_store_b128 v129, v[105:108]
	v_add3_u32 v132, 0, v141, v109
	v_add_co_u32 v100, vcc_lo, s2, v98
	v_add_co_ci_u32_e32 v101, vcc_lo, s3, v99, vcc_lo
	v_lshlrev_b64 v[98:99], 2, v[135:136]
	s_delay_alu instid0(VALU_DEP_1) | instskip(NEXT) | instid1(VALU_DEP_2)
	v_add_co_u32 v102, vcc_lo, s2, v98
	v_add_co_ci_u32_e32 v103, vcc_lo, s3, v99, vcc_lo
	v_add_co_u32 v98, vcc_lo, v100, v96
	v_add_co_ci_u32_e32 v99, vcc_lo, v101, v97, vcc_lo
	s_delay_alu instid0(VALU_DEP_4) | instskip(NEXT) | instid1(VALU_DEP_4)
	v_add_co_u32 v102, vcc_lo, v102, v96
	v_add_co_ci_u32_e32 v103, vcc_lo, v103, v97, vcc_lo
	s_clause 0x1
	global_load_b128 v[98:101], v[98:99], off
	global_load_b128 v[105:108], v[102:103], off
	s_waitcnt vmcnt(1)
	ds_store_b128 v130, v[98:101]
	v_lshlrev_b64 v[98:99], 2, v[137:138]
	s_waitcnt vmcnt(0)
	ds_store_b128 v134, v[105:108]
	v_add_co_u32 v100, vcc_lo, s2, v98
	v_add_co_ci_u32_e32 v101, vcc_lo, s3, v99, vcc_lo
	v_lshlrev_b64 v[98:99], 2, v[142:143]
	s_delay_alu instid0(VALU_DEP_1) | instskip(NEXT) | instid1(VALU_DEP_2)
	v_add_co_u32 v102, vcc_lo, s2, v98
	v_add_co_ci_u32_e32 v103, vcc_lo, s3, v99, vcc_lo
	v_add_co_u32 v98, vcc_lo, v100, v96
	v_add_co_ci_u32_e32 v99, vcc_lo, v101, v97, vcc_lo
	s_delay_alu instid0(VALU_DEP_4) | instskip(NEXT) | instid1(VALU_DEP_4)
	v_add_co_u32 v102, vcc_lo, v102, v96
	v_add_co_ci_u32_e32 v103, vcc_lo, v103, v97, vcc_lo
	s_clause 0x1
	global_load_b128 v[98:101], v[98:99], off
	global_load_b128 v[105:108], v[102:103], off
	s_waitcnt vmcnt(1)
	ds_store_b128 v111, v[98:101]
	v_lshlrev_b64 v[98:99], 2, v[216:217]
	s_waitcnt vmcnt(0)
	ds_store_b128 v131, v[105:108]
	v_add_co_u32 v100, vcc_lo, s2, v98
	v_add_co_ci_u32_e32 v101, vcc_lo, s3, v99, vcc_lo
	v_lshlrev_b64 v[98:99], 2, v[218:219]
	s_delay_alu instid0(VALU_DEP_1) | instskip(NEXT) | instid1(VALU_DEP_2)
	v_add_co_u32 v102, vcc_lo, s2, v98
	v_add_co_ci_u32_e32 v103, vcc_lo, s3, v99, vcc_lo
	v_add_co_u32 v98, vcc_lo, v100, v96
	v_add_co_ci_u32_e32 v99, vcc_lo, v101, v97, vcc_lo
	s_delay_alu instid0(VALU_DEP_4) | instskip(NEXT) | instid1(VALU_DEP_4)
	v_add_co_u32 v102, vcc_lo, v102, v96
	v_add_co_ci_u32_e32 v103, vcc_lo, v103, v97, vcc_lo
	s_clause 0x1
	global_load_b128 v[98:101], v[98:99], off
	global_load_b128 v[105:108], v[102:103], off
	v_cmp_lt_i32_e32 vcc_lo, v171, v128
	s_mul_hi_u32 s2, s10, s0
	s_mul_i32 s3, s5, s0
	s_add_i32 s1, s2, s1
	s_mul_i32 s0, s10, s0
	s_add_i32 s1, s1, s3
	v_cmp_eq_u32_e64 s2, 1, v180
	s_lshl_b64 s[0:1], s[0:1], 2
	s_delay_alu instid0(SALU_CYCLE_1)
	s_add_u32 s0, s11, s0
	s_addc_u32 s1, s13, s1
	s_waitcnt vmcnt(1)
	ds_store_b128 v132, v[98:101]
	v_dual_mov_b32 v158, s23 :: v_dual_add_nc_u32 v99, v150, v151
	v_mov_b32_e32 v152, s17
	v_dual_mov_b32 v155, s20 :: v_dual_add_nc_u32 v98, v150, v149
	v_mov_b32_e32 v154, s19
	v_add3_u32 v133, 0, v146, v109
	v_dual_mov_b32 v157, s22 :: v_dual_mov_b32 v156, s21
	v_mov_b32_e32 v153, s18
	v_mov_b32_e32 v151, s16
	s_waitcnt vmcnt(0)
	ds_store_b128 v133, v[105:108]
	s_waitcnt lgkmcnt(0)
	s_barrier
	buffer_gl0_inv
	ds_load_b128 v[135:138], v98
	ds_load_b128 v[139:142], v98 offset:16
	ds_load_b128 v[143:146], v99
	ds_load_b128 v[147:150], v99 offset:16
	s_waitcnt lgkmcnt(2)
	v_wmma_f32_16x16x16_f16 v[159:166], v[135:142], v[16:23], v[151:158]
	s_waitcnt lgkmcnt(0)
	v_wmma_f32_16x16x16_f16 v[151:158], v[143:150], v[16:23], v[151:158]
	ds_load_b128 v[16:19], v98 offset:32
	ds_load_b128 v[20:23], v98 offset:48
	s_waitcnt lgkmcnt(0)
	v_wmma_f32_16x16x16_f16 v[159:166], v[16:23], v[0:7], v[159:166]
	ds_load_b128 v[16:19], v99 offset:32
	ds_load_b128 v[20:23], v99 offset:48
	;; [unrolled: 4-line block ×11, first 2 shown]
	v_lshlrev_b64 v[40:41], 2, v[185:186]
	s_waitcnt lgkmcnt(0)
	v_wmma_f32_16x16x16_f16 v[159:166], v[0:7], v[48:55], v[159:166]
	ds_load_b128 v[0:3], v99 offset:192
	ds_load_b128 v[4:7], v99 offset:208
	s_waitcnt lgkmcnt(0)
	v_wmma_f32_16x16x16_f16 v[151:158], v[0:7], v[48:55], v[151:158]
	ds_load_b128 v[0:3], v98 offset:224
	ds_load_b128 v[4:7], v98 offset:240
	;; [unrolled: 4-line block ×3, first 2 shown]
	s_waitcnt lgkmcnt(0)
	s_barrier
	buffer_gl0_inv
	v_wmma_f32_16x16x16_f16 v[151:158], v[0:7], v[56:63], v[151:158]
	v_lshlrev_b32_e32 v0, 1, v180
	s_delay_alu instid0(VALU_DEP_1) | instskip(NEXT) | instid1(VALU_DEP_1)
	v_add3_u32 v0, 0, v174, v0
	v_lshl_add_u32 v1, v172, 1, v0
	ds_load_u16 v2, v1 offset:17408
	ds_load_u16 v3, v1 offset:17412
	;; [unrolled: 1-line block ×8, first 2 shown]
	v_lshl_add_u32 v0, v173, 1, v0
	s_waitcnt lgkmcnt(7)
	v_cvt_f32_f16_e32 v2, v2
	s_waitcnt lgkmcnt(6)
	v_cvt_f32_f16_e32 v3, v3
	;; [unrolled: 2-line block ×6, first 2 shown]
	v_add_f32_e32 v32, v160, v3
	s_waitcnt lgkmcnt(0)
	v_cvt_f32_f16_e32 v1, v1
	v_cvt_f32_f16_e32 v8, v8
	v_dual_add_f32 v33, v159, v2 :: v_dual_add_f32 v34, v161, v4
	v_dual_add_f32 v35, v162, v5 :: v_dual_add_f32 v36, v163, v6
	s_delay_alu instid0(VALU_DEP_3)
	v_dual_add_f32 v37, v164, v7 :: v_dual_add_f32 v38, v165, v8
	v_add_f32_e32 v39, v166, v1
	ds_load_u16 v1, v0 offset:17408
	ds_load_u16 v2, v0 offset:17412
	;; [unrolled: 1-line block ×8, first 2 shown]
	s_waitcnt lgkmcnt(7)
	v_cvt_f32_f16_e32 v1, v1
	s_waitcnt lgkmcnt(6)
	v_cvt_f32_f16_e32 v2, v2
	s_waitcnt lgkmcnt(5)
	v_cvt_f32_f16_e32 v3, v3
	s_waitcnt lgkmcnt(4)
	v_cvt_f32_f16_e32 v4, v4
	s_waitcnt lgkmcnt(3)
	v_cvt_f32_f16_e32 v5, v5
	v_dual_add_f32 v108, v151, v1 :: v_dual_add_f32 v107, v152, v2
	s_waitcnt lgkmcnt(1)
	v_cvt_f32_f16_e32 v7, v7
	s_waitcnt lgkmcnt(0)
	v_cvt_f32_f16_e32 v0, v0
	v_add_f32_e32 v101, v155, v5
	v_dual_add_f32 v1, 0x40051340, v32 :: v_dual_add_f32 v2, 0x40051340, v35
	s_delay_alu instid0(VALU_DEP_3) | instskip(SKIP_3) | instid1(VALU_DEP_3)
	v_dual_add_f32 v99, v157, v7 :: v_dual_add_f32 v98, v158, v0
	v_add_f32_e32 v0, 0x40051340, v33
	v_cvt_f32_f16_e32 v6, v6
	v_dual_add_f32 v103, v153, v3 :: v_dual_add_f32 v102, v154, v4
	v_max3_f32 v0, v210, v0, v1
	v_add_f32_e32 v1, 0x40051340, v34
	s_delay_alu instid0(VALU_DEP_4) | instskip(NEXT) | instid1(VALU_DEP_2)
	v_add_f32_e32 v100, v156, v6
	v_max3_f32 v0, v0, v1, v2
	v_dual_add_f32 v2, 0x40051340, v37 :: v_dual_add_f32 v1, 0x40051340, v36
	s_delay_alu instid0(VALU_DEP_1) | instskip(SKIP_1) | instid1(VALU_DEP_1)
	v_max3_f32 v0, v0, v1, v2
	v_dual_add_f32 v2, 0x40051340, v39 :: v_dual_add_f32 v1, 0x40051340, v38
	v_max3_f32 v0, v0, v1, v2
	v_dual_add_f32 v2, 0x40051340, v107 :: v_dual_add_f32 v1, 0x40051340, v108
	s_delay_alu instid0(VALU_DEP_1) | instskip(SKIP_1) | instid1(VALU_DEP_1)
	v_max3_f32 v0, v0, v1, v2
	v_dual_add_f32 v2, 0x40051340, v102 :: v_dual_add_f32 v1, 0x40051340, v103
	;; [unrolled: 5-line block ×3, first 2 shown]
	v_max3_f32 v0, v0, v1, v2
	v_cndmask_b32_e32 v1, v115, v171, vcc_lo
	s_delay_alu instid0(VALU_DEP_1) | instskip(SKIP_3) | instid1(VALU_DEP_1)
	v_lshlrev_b32_e32 v105, 2, v1
	ds_bpermute_b32 v1, v105, v0
	s_waitcnt lgkmcnt(0)
	v_max_f32_e32 v1, v1, v1
	v_max_f32_e32 v106, v0, v1
	s_delay_alu instid0(VALU_DEP_1) | instskip(NEXT) | instid1(VALU_DEP_1)
	v_sub_f32_e32 v0, v210, v106
	v_mul_f32_e32 v1, 0x3fb8aa3b, v0
	v_sub_f32_e32 v33, v33, v106
	v_cmp_ngt_f32_e32 vcc_lo, 0xc2ce8ed0, v0
	v_sub_f32_e32 v34, v34, v106
	v_sub_f32_e32 v32, v32, v106
	v_fma_f32 v2, 0x3fb8aa3b, v0, -v1
	v_rndne_f32_e32 v3, v1
	v_sub_f32_e32 v37, v37, v106
	v_cmp_ngt_f32_e64 s3, 0xc2ce8ed0, v34
	s_delay_alu instid0(VALU_DEP_4) | instskip(NEXT) | instid1(VALU_DEP_4)
	v_dual_sub_f32 v39, v39, v106 :: v_dual_fmac_f32 v2, 0x32a5705f, v0
	v_sub_f32_e32 v1, v1, v3
	v_sub_f32_e32 v99, v99, v106
	;; [unrolled: 1-line block ×5, first 2 shown]
	v_add_f32_e32 v1, v1, v2
	v_cvt_i32_f32_e32 v2, v3
	v_cmp_ngt_f32_e64 s8, 0xc2ce8ed0, v99
	v_cmp_ngt_f32_e64 s4, 0xc2ce8ed0, v103
	;; [unrolled: 1-line block ×3, first 2 shown]
	v_exp_f32_e32 v1, v1
	v_sub_f32_e32 v36, v36, v106
	v_sub_f32_e32 v38, v38, v106
	v_sub_f32_e32 v108, v108, v106
	v_sub_f32_e32 v102, v102, v106
	v_sub_f32_e32 v98, v98, v106
	s_delay_alu instid0(VALU_DEP_3) | instskip(NEXT) | instid1(VALU_DEP_3)
	v_cmp_ngt_f32_e64 s10, 0xc2ce8ed0, v108
	v_cmp_ngt_f32_e64 s5, 0xc2ce8ed0, v102
	s_delay_alu instid0(TRANS32_DEP_1) | instskip(NEXT) | instid1(VALU_DEP_4)
	v_ldexp_f32 v1, v1, v2
	v_cmp_ngt_f32_e64 s9, 0xc2ce8ed0, v98
	s_delay_alu instid0(VALU_DEP_2) | instskip(SKIP_1) | instid1(VALU_DEP_2)
	v_cndmask_b32_e32 v1, 0, v1, vcc_lo
	v_cmp_nlt_f32_e32 vcc_lo, 0x42b17218, v0
	v_cndmask_b32_e32 v1, 0x7f800000, v1, vcc_lo
	v_cmp_le_f32_e32 vcc_lo, 0xc1a00000, v0
	s_delay_alu instid0(VALU_DEP_2) | instskip(SKIP_3) | instid1(VALU_DEP_1)
	v_cndmask_b32_e32 v109, 0, v1, vcc_lo
	v_add_co_u32 v42, vcc_lo, s0, v40
	v_add_co_ci_u32_e32 v43, vcc_lo, s1, v41, vcc_lo
	v_lshlrev_b64 v[40:41], 2, v[113:114]
	v_add_co_u32 v44, vcc_lo, s0, v40
	s_delay_alu instid0(VALU_DEP_2) | instskip(SKIP_2) | instid1(VALU_DEP_4)
	v_add_co_ci_u32_e32 v45, vcc_lo, s1, v41, vcc_lo
	v_add_co_u32 v40, vcc_lo, v42, v96
	v_add_co_ci_u32_e32 v41, vcc_lo, v43, v97, vcc_lo
	v_add_co_u32 v44, vcc_lo, v44, v96
	s_delay_alu instid0(VALU_DEP_4)
	v_add_co_ci_u32_e32 v45, vcc_lo, v45, v97, vcc_lo
	s_clause 0x1
	global_load_b128 v[40:43], v[40:41], off
	global_load_b128 v[44:47], v[44:45], off
	s_waitcnt vmcnt(1)
	ds_store_b128 v110, v[40:43]
	s_waitcnt vmcnt(0)
	ds_store_b128 v129, v[44:47]
	v_lshlrev_b64 v[40:41], 2, v[121:122]
	s_delay_alu instid0(VALU_DEP_1) | instskip(NEXT) | instid1(VALU_DEP_2)
	v_add_co_u32 v42, vcc_lo, s0, v40
	v_add_co_ci_u32_e32 v43, vcc_lo, s1, v41, vcc_lo
	v_lshlrev_b64 v[40:41], 2, v[123:124]
	s_delay_alu instid0(VALU_DEP_1) | instskip(NEXT) | instid1(VALU_DEP_2)
	v_add_co_u32 v44, vcc_lo, s0, v40
	v_add_co_ci_u32_e32 v45, vcc_lo, s1, v41, vcc_lo
	v_add_co_u32 v40, vcc_lo, v42, v96
	v_add_co_ci_u32_e32 v41, vcc_lo, v43, v97, vcc_lo
	s_delay_alu instid0(VALU_DEP_4) | instskip(NEXT) | instid1(VALU_DEP_4)
	v_add_co_u32 v44, vcc_lo, v44, v96
	v_add_co_ci_u32_e32 v45, vcc_lo, v45, v97, vcc_lo
	s_clause 0x1
	global_load_b128 v[40:43], v[40:41], off
	global_load_b128 v[44:47], v[44:45], off
	s_waitcnt vmcnt(1)
	ds_store_b128 v130, v[40:43]
	s_waitcnt vmcnt(0)
	ds_store_b128 v134, v[44:47]
	v_lshlrev_b64 v[40:41], 2, v[126:127]
	s_delay_alu instid0(VALU_DEP_1) | instskip(NEXT) | instid1(VALU_DEP_2)
	v_add_co_u32 v42, vcc_lo, s0, v40
	v_add_co_ci_u32_e32 v43, vcc_lo, s1, v41, vcc_lo
	v_lshlrev_b64 v[40:41], 2, v[175:176]
	s_delay_alu instid0(VALU_DEP_1) | instskip(NEXT) | instid1(VALU_DEP_2)
	v_add_co_u32 v44, vcc_lo, s0, v40
	v_add_co_ci_u32_e32 v45, vcc_lo, s1, v41, vcc_lo
	v_add_co_u32 v40, vcc_lo, v42, v96
	v_add_co_ci_u32_e32 v41, vcc_lo, v43, v97, vcc_lo
	s_delay_alu instid0(VALU_DEP_4) | instskip(NEXT) | instid1(VALU_DEP_4)
	v_add_co_u32 v44, vcc_lo, v44, v96
	;; [unrolled: 20-line block ×3, first 2 shown]
	v_add_co_ci_u32_e32 v45, vcc_lo, v45, v97, vcc_lo
	s_clause 0x1
	global_load_b128 v[40:43], v[40:41], off
	global_load_b128 v[44:47], v[44:45], off
	v_cmp_ngt_f32_e32 vcc_lo, 0xc2ce8ed0, v33
	v_cmp_eq_u32_e64 s0, 1, v112
	v_cmp_eq_u32_e64 s1, 0, v180
	s_waitcnt vmcnt(1)
	ds_store_b128 v132, v[40:43]
	v_dual_mul_f32 v40, 0x3fb8aa3b, v33 :: v_dual_mul_f32 v43, 0x3fb8aa3b, v32
	s_waitcnt vmcnt(0)
	ds_store_b128 v133, v[44:47]
	v_lshlrev_b32_e32 v46, 2, v118
	s_waitcnt lgkmcnt(0)
	v_fma_f32 v41, 0x3fb8aa3b, v33, -v40
	v_rndne_f32_e32 v42, v40
	v_rndne_f32_e32 v44, v43
	s_barrier
	buffer_gl0_inv
	v_dual_fmac_f32 v41, 0x32a5705f, v33 :: v_dual_sub_f32 v40, v40, v42
	v_cvt_i32_f32_e32 v42, v42
	s_delay_alu instid0(VALU_DEP_2) | instskip(SKIP_2) | instid1(VALU_DEP_3)
	v_add_f32_e32 v40, v40, v41
	v_fma_f32 v41, 0x3fb8aa3b, v32, -v43
	v_sub_f32_e32 v43, v43, v44
	v_exp_f32_e32 v40, v40
	s_delay_alu instid0(VALU_DEP_2) | instskip(NEXT) | instid1(VALU_DEP_1)
	v_fmac_f32_e32 v41, 0x32a5705f, v32
	v_add_f32_e32 v41, v43, v41
	s_waitcnt_depctr 0xfff
	v_ldexp_f32 v40, v40, v42
	v_exp_f32_e32 v41, v41
	v_cvt_i32_f32_e32 v42, v44
	s_delay_alu instid0(VALU_DEP_2) | instskip(SKIP_1) | instid1(VALU_DEP_2)
	v_cndmask_b32_e32 v40, 0, v40, vcc_lo
	v_cmp_nlt_f32_e32 vcc_lo, 0x42b17218, v33
	v_cndmask_b32_e32 v96, 0x7f800000, v40, vcc_lo
	s_waitcnt_depctr 0xfff
	v_ldexp_f32 v33, v41, v42
	v_cmp_ngt_f32_e32 vcc_lo, 0xc2ce8ed0, v32
	ds_bpermute_b32 v40, v105, v96
	v_cndmask_b32_e32 v33, 0, v33, vcc_lo
	v_cmp_nlt_f32_e32 vcc_lo, 0x42b17218, v32
	s_delay_alu instid0(VALU_DEP_2)
	v_cndmask_b32_e32 v97, 0x7f800000, v33, vcc_lo
	v_cmp_eq_u32_e32 vcc_lo, 0, v112
	v_sub_f32_e32 v35, v35, v106
	ds_bpermute_b32 v32, v105, v97
	s_waitcnt lgkmcnt(1)
	v_cndmask_b32_e32 v33, v96, v40, vcc_lo
	v_cndmask_b32_e64 v40, v96, v40, s0
	s_delay_alu instid0(VALU_DEP_2) | instskip(NEXT) | instid1(VALU_DEP_2)
	v_cndmask_b32_e64 v41, v33, v97, s1
	v_cndmask_b32_e64 v42, v40, v97, s2
	s_waitcnt lgkmcnt(0)
	s_delay_alu instid0(VALU_DEP_2) | instskip(NEXT) | instid1(VALU_DEP_2)
	v_cndmask_b32_e32 v41, v41, v32, vcc_lo
	v_cndmask_b32_e64 v42, v42, v32, s0
	v_cvt_f16_f32_e32 v32, v33
	v_cvt_f16_f32_e32 v33, v40
	s_delay_alu instid0(VALU_DEP_4) | instskip(NEXT) | instid1(VALU_DEP_4)
	v_cvt_f16_f32_e32 v40, v41
	v_cvt_f16_f32_e32 v43, v42
	s_delay_alu instid0(VALU_DEP_3) | instskip(NEXT) | instid1(VALU_DEP_2)
	v_pack_b32_f16 v32, v32, v33
	v_pack_b32_f16 v33, v40, v43
	v_mul_f32_e32 v40, 0x3fb8aa3b, v34
	v_cvt_f16_f32_e32 v31, v109
	s_delay_alu instid0(VALU_DEP_2) | instskip(SKIP_1) | instid1(VALU_DEP_3)
	v_fma_f32 v43, 0x3fb8aa3b, v34, -v40
	v_rndne_f32_e32 v44, v40
	v_pk_mul_f16 v0, v31, v88 op_sel_hi:[0,1]
	v_pk_mul_f16 v13, v31, v85 op_sel_hi:[0,1]
	;; [unrolled: 1-line block ×3, first 2 shown]
	s_delay_alu instid0(VALU_DEP_4)
	v_dual_fmac_f32 v43, 0x32a5705f, v34 :: v_dual_sub_f32 v40, v40, v44
	v_pk_mul_f16 v15, v31, v87 op_sel_hi:[0,1]
	v_pk_mul_f16 v1, v31, v89 op_sel_hi:[0,1]
	;; [unrolled: 1-line block ×4, first 2 shown]
	v_add_f32_e32 v40, v40, v43
	v_cvt_i32_f32_e32 v43, v44
	v_pk_mul_f16 v4, v31, v92 op_sel_hi:[0,1]
	v_pk_mul_f16 v5, v31, v93 op_sel_hi:[0,1]
	;; [unrolled: 1-line block ×3, first 2 shown]
	v_exp_f32_e32 v40, v40
	v_pk_mul_f16 v7, v31, v95 op_sel_hi:[0,1]
	v_pk_mul_f16 v8, v31, v80 op_sel_hi:[0,1]
	;; [unrolled: 1-line block ×9, first 2 shown]
	v_ldexp_f32 v40, v40, v43
	v_pk_mul_f16 v19, v31, v75 op_sel_hi:[0,1]
	v_pk_mul_f16 v20, v31, v76 op_sel_hi:[0,1]
	;; [unrolled: 1-line block ×4, first 2 shown]
	v_cndmask_b32_e64 v40, 0, v40, s3
	v_cmp_nlt_f32_e64 s3, 0x42b17218, v34
	v_pk_mul_f16 v23, v31, v79 op_sel_hi:[0,1]
	v_pk_mul_f16 v24, v31, v64 op_sel_hi:[0,1]
	;; [unrolled: 1-line block ×4, first 2 shown]
	v_cndmask_b32_e64 v110, 0x7f800000, v40, s3
	v_cmp_ngt_f32_e64 s3, 0xc2ce8ed0, v35
	v_pk_mul_f16 v27, v31, v67 op_sel_hi:[0,1]
	v_pk_mul_f16 v28, v31, v68 op_sel_hi:[0,1]
	;; [unrolled: 1-line block ×3, first 2 shown]
	v_cndmask_b32_e64 v34, v41, v110, s1
	ds_bpermute_b32 v41, v105, v110
	v_cndmask_b32_e64 v40, v42, v110, s2
	v_pk_mul_f16 v30, v31, v70 op_sel_hi:[0,1]
	v_pk_mul_f16 v31, v31, v71 op_sel_hi:[0,1]
	s_waitcnt lgkmcnt(0)
	v_cndmask_b32_e32 v42, v34, v41, vcc_lo
	v_cndmask_b32_e64 v40, v40, v41, s0
	s_delay_alu instid0(VALU_DEP_2) | instskip(NEXT) | instid1(VALU_DEP_2)
	v_cvt_f16_f32_e32 v34, v42
	v_cvt_f16_f32_e32 v41, v40
	s_delay_alu instid0(VALU_DEP_1) | instskip(SKIP_1) | instid1(VALU_DEP_1)
	v_pack_b32_f16 v34, v34, v41
	v_mul_f32_e32 v41, 0x3fb8aa3b, v35
	v_fma_f32 v43, 0x3fb8aa3b, v35, -v41
	v_rndne_f32_e32 v44, v41
	s_delay_alu instid0(VALU_DEP_2) | instskip(NEXT) | instid1(VALU_DEP_2)
	v_fmac_f32_e32 v43, 0x32a5705f, v35
	v_sub_f32_e32 v41, v41, v44
	s_delay_alu instid0(VALU_DEP_1) | instskip(SKIP_1) | instid1(VALU_DEP_2)
	v_add_f32_e32 v41, v41, v43
	v_cvt_i32_f32_e32 v43, v44
	v_exp_f32_e32 v41, v41
	s_waitcnt_depctr 0xfff
	v_ldexp_f32 v41, v41, v43
	s_delay_alu instid0(VALU_DEP_1) | instskip(SKIP_1) | instid1(VALU_DEP_1)
	v_cndmask_b32_e64 v41, 0, v41, s3
	v_cmp_nlt_f32_e64 s3, 0x42b17218, v35
	v_cndmask_b32_e64 v111, 0x7f800000, v41, s3
	v_cmp_ngt_f32_e64 s3, 0xc2ce8ed0, v36
	ds_bpermute_b32 v41, v105, v111
	v_cndmask_b32_e64 v35, v42, v111, s1
	v_cndmask_b32_e64 v40, v40, v111, s2
	s_waitcnt lgkmcnt(0)
	s_delay_alu instid0(VALU_DEP_2) | instskip(NEXT) | instid1(VALU_DEP_2)
	v_cndmask_b32_e32 v42, v35, v41, vcc_lo
	v_cndmask_b32_e64 v40, v40, v41, s0
	s_delay_alu instid0(VALU_DEP_2) | instskip(NEXT) | instid1(VALU_DEP_2)
	v_cvt_f16_f32_e32 v35, v42
	v_cvt_f16_f32_e32 v41, v40
	s_delay_alu instid0(VALU_DEP_1) | instskip(SKIP_1) | instid1(VALU_DEP_1)
	v_pack_b32_f16 v35, v35, v41
	v_mul_f32_e32 v41, 0x3fb8aa3b, v36
	v_fma_f32 v43, 0x3fb8aa3b, v36, -v41
	v_rndne_f32_e32 v44, v41
	s_delay_alu instid0(VALU_DEP_2) | instskip(NEXT) | instid1(VALU_DEP_2)
	v_fmac_f32_e32 v43, 0x32a5705f, v36
	v_sub_f32_e32 v41, v41, v44
	s_delay_alu instid0(VALU_DEP_1) | instskip(SKIP_1) | instid1(VALU_DEP_2)
	v_add_f32_e32 v41, v41, v43
	v_cvt_i32_f32_e32 v43, v44
	v_exp_f32_e32 v41, v41
	s_waitcnt_depctr 0xfff
	v_ldexp_f32 v41, v41, v43
	s_delay_alu instid0(VALU_DEP_1) | instskip(SKIP_1) | instid1(VALU_DEP_1)
	v_cndmask_b32_e64 v41, 0, v41, s3
	v_cmp_nlt_f32_e64 s3, 0x42b17218, v36
	v_cndmask_b32_e64 v112, 0x7f800000, v41, s3
	v_cmp_ngt_f32_e64 s3, 0xc2ce8ed0, v37
	ds_bpermute_b32 v41, v105, v112
	v_cndmask_b32_e64 v36, v42, v112, s1
	v_cndmask_b32_e64 v40, v40, v112, s2
	s_waitcnt lgkmcnt(0)
	s_delay_alu instid0(VALU_DEP_2) | instskip(NEXT) | instid1(VALU_DEP_2)
	;; [unrolled: 29-line block ×4, first 2 shown]
	v_cndmask_b32_e32 v42, v38, v41, vcc_lo
	v_cndmask_b32_e64 v40, v40, v41, s0
	s_delay_alu instid0(VALU_DEP_2) | instskip(NEXT) | instid1(VALU_DEP_2)
	v_cvt_f16_f32_e32 v38, v42
	v_cvt_f16_f32_e32 v41, v40
	s_delay_alu instid0(VALU_DEP_1) | instskip(SKIP_1) | instid1(VALU_DEP_1)
	v_pack_b32_f16 v38, v38, v41
	v_mul_f32_e32 v41, 0x3fb8aa3b, v39
	v_fma_f32 v43, 0x3fb8aa3b, v39, -v41
	v_rndne_f32_e32 v44, v41
	s_delay_alu instid0(VALU_DEP_2) | instskip(NEXT) | instid1(VALU_DEP_2)
	v_fmac_f32_e32 v43, 0x32a5705f, v39
	v_sub_f32_e32 v41, v41, v44
	s_delay_alu instid0(VALU_DEP_1) | instskip(SKIP_3) | instid1(VALU_DEP_1)
	v_add_f32_e32 v41, v41, v43
	v_cvt_i32_f32_e32 v43, v44
	v_lshlrev_b32_e32 v44, 2, v119
	v_add_f32_e32 v96, v96, v97
	v_dual_sub_f32 v97, v100, v106 :: v_dual_add_f32 v96, v110, v96
	s_delay_alu instid0(VALU_DEP_1) | instskip(SKIP_1) | instid1(VALU_DEP_3)
	v_mul_f32_e32 v100, 0x3fb8aa3b, v97
	v_cmp_ngt_f32_e64 s7, 0xc2ce8ed0, v97
	v_add_f32_e32 v96, v111, v96
	s_delay_alu instid0(VALU_DEP_3) | instskip(NEXT) | instid1(VALU_DEP_2)
	v_rndne_f32_e32 v127, v100
	v_add_f32_e32 v96, v112, v96
	v_exp_f32_e32 v41, v41
	s_delay_alu instid0(VALU_DEP_1) | instskip(NEXT) | instid1(VALU_DEP_1)
	v_add_f32_e32 v96, v113, v96
	v_add_f32_e32 v96, v114, v96
	s_waitcnt_depctr 0xfff
	v_ldexp_f32 v41, v41, v43
	s_delay_alu instid0(VALU_DEP_1) | instskip(SKIP_1) | instid1(VALU_DEP_1)
	v_cndmask_b32_e64 v41, 0, v41, s3
	v_cmp_nlt_f32_e64 s3, 0x42b17218, v39
	v_cndmask_b32_e64 v115, 0x7f800000, v41, s3
	v_cmp_ngt_f32_e64 s3, 0xc2ce8ed0, v107
	ds_bpermute_b32 v41, v105, v115
	v_cndmask_b32_e64 v39, v40, v115, s2
	v_cndmask_b32_e64 v40, v42, v115, s1
	v_lshlrev_b32_e32 v42, 2, v120
	v_add_f32_e32 v96, v115, v96
	s_waitcnt lgkmcnt(0)
	s_delay_alu instid0(VALU_DEP_3) | instskip(SKIP_1) | instid1(VALU_DEP_2)
	v_cndmask_b32_e32 v40, v40, v41, vcc_lo
	v_cndmask_b32_e64 v39, v39, v41, s0
	v_cvt_f16_f32_e32 v40, v40
	s_delay_alu instid0(VALU_DEP_2) | instskip(NEXT) | instid1(VALU_DEP_1)
	v_cvt_f16_f32_e32 v39, v39
	v_pack_b32_f16 v39, v40, v39
	v_add_nc_u32_e32 v40, 0, v125
	s_delay_alu instid0(VALU_DEP_1)
	v_add_nc_u32_e32 v43, v40, v116
	v_add_nc_u32_e32 v45, v40, v42
	;; [unrolled: 1-line block ×4, first 2 shown]
	ds_load_2addr_b32 v[40:41], v43 offset1:16
	ds_load_2addr_b32 v[55:56], v43 offset0:68 offset1:84
	ds_load_2addr_b32 v[57:58], v43 offset0:136 offset1:152
	;; [unrolled: 1-line block ×3, first 2 shown]
	v_add_nc_u32_e32 v87, 0x400, v43
	v_add_nc_u32_e32 v88, 0x800, v43
	;; [unrolled: 1-line block ×4, first 2 shown]
	ds_load_2addr_b32 v[61:62], v45 offset1:16
	ds_load_2addr_b32 v[63:64], v87 offset0:84 offset1:100
	ds_load_2addr_b32 v[65:66], v87 offset0:152 offset1:168
	ds_load_2addr_b32 v[67:68], v87 offset0:220 offset1:236
	ds_load_2addr_b32 v[69:70], v85 offset1:16
	ds_load_2addr_b32 v[71:72], v88 offset0:100 offset1:116
	ds_load_2addr_b32 v[73:74], v88 offset0:168 offset1:184
	ds_load_2addr_b32 v[75:76], v88 offset0:236 offset1:252
	;; [unrolled: 4-line block ×3, first 2 shown]
	s_waitcnt lgkmcnt(14)
	v_perm_b32 v47, v55, v40, 0x5040100
	s_waitcnt lgkmcnt(12)
	v_perm_b32 v48, v59, v57, 0x5040100
	;; [unrolled: 2-line block ×8, first 2 shown]
	s_delay_alu instid0(VALU_DEP_1)
	v_wmma_f16_16x16x16_f16 v[0:7], v[47:54], v[32:39], v[0:7]
	v_perm_b32 v47, v56, v41, 0x5040100
	v_perm_b32 v48, v60, v58, 0x5040100
	;; [unrolled: 1-line block ×8, first 2 shown]
	s_delay_alu instid0(VALU_DEP_1)
	v_wmma_f16_16x16x16_f16 v[8:15], v[47:54], v[32:39], v[8:15]
	v_perm_b32 v47, v55, v40, 0x7060302
	v_perm_b32 v48, v59, v57, 0x7060302
	;; [unrolled: 1-line block ×8, first 2 shown]
	s_delay_alu instid0(VALU_DEP_1)
	v_wmma_f16_16x16x16_f16 v[0:7], v[47:54], v[32:39], v[0:7] op_sel:[0,0,1]
	v_perm_b32 v47, v56, v41, 0x7060302
	v_perm_b32 v48, v60, v58, 0x7060302
	;; [unrolled: 1-line block ×8, first 2 shown]
	ds_load_2addr_b32 v[40:41], v43 offset0:32 offset1:48
	ds_load_2addr_b32 v[55:56], v43 offset0:100 offset1:116
	;; [unrolled: 1-line block ×6, first 2 shown]
	v_wmma_f16_16x16x16_f16 v[8:15], v[47:54], v[32:39], v[8:15] op_sel:[0,0,1]
	v_add_nc_u32_e32 v50, 0x600, v43
	v_add_nc_u32_e32 v54, 0x1000, v43
	ds_load_2addr_b32 v[65:66], v87 offset0:184 offset1:200
	ds_load_2addr_b32 v[67:68], v50 offset0:124 offset1:140
	ds_load_2addr_b32 v[69:70], v85 offset0:32 offset1:48
	ds_load_2addr_b32 v[71:72], v88 offset0:132 offset1:148
	ds_load_2addr_b32 v[73:74], v88 offset0:200 offset1:216
	ds_load_2addr_b32 v[75:76], v89 offset0:12 offset1:28
	ds_load_2addr_b32 v[77:78], v86 offset0:32 offset1:48
	ds_load_2addr_b32 v[79:80], v89 offset0:148 offset1:164
	ds_load_2addr_b32 v[81:82], v89 offset0:216 offset1:232
	ds_load_2addr_b32 v[83:84], v54 offset0:28 offset1:44
	s_waitcnt lgkmcnt(14)
	v_perm_b32 v47, v55, v40, 0x5040100
	s_waitcnt lgkmcnt(12)
	v_perm_b32 v48, v59, v57, 0x5040100
	;; [unrolled: 2-line block ×8, first 2 shown]
	s_delay_alu instid0(VALU_DEP_1)
	v_wmma_f16_16x16x16_f16 v[16:23], v[47:54], v[32:39], v[16:23]
	v_perm_b32 v47, v55, v40, 0x7060302
	v_perm_b32 v48, v59, v57, 0x7060302
	;; [unrolled: 1-line block ×8, first 2 shown]
	s_delay_alu instid0(VALU_DEP_1)
	v_wmma_f16_16x16x16_f16 v[16:23], v[47:54], v[32:39], v[16:23] op_sel:[0,0,1]
	v_perm_b32 v47, v56, v41, 0x5040100
	v_perm_b32 v48, v60, v58, 0x5040100
	;; [unrolled: 1-line block ×8, first 2 shown]
	s_delay_alu instid0(VALU_DEP_1)
	v_wmma_f16_16x16x16_f16 v[24:31], v[47:54], v[32:39], v[24:31]
	v_perm_b32 v47, v56, v41, 0x7060302
	v_perm_b32 v48, v60, v58, 0x7060302
	;; [unrolled: 1-line block ×8, first 2 shown]
	s_delay_alu instid0(VALU_DEP_1) | instskip(SKIP_1) | instid1(VALU_DEP_1)
	v_wmma_f16_16x16x16_f16 v[24:31], v[47:54], v[32:39], v[24:31] op_sel:[0,0,1]
	v_add_nc_u32_e32 v49, 0, v117
	v_add_nc_u32_e32 v87, v49, v116
	ds_load_2addr_b32 v[33:34], v87 offset1:16
	ds_load_2addr_b32 v[35:36], v87 offset0:68 offset1:84
	ds_load_2addr_b32 v[37:38], v87 offset0:136 offset1:152
	;; [unrolled: 1-line block ×3, first 2 shown]
	v_add_nc_u32_e32 v55, v49, v42
	v_add_nc_u32_e32 v75, 0x400, v87
	v_add_nc_u32_e32 v76, v49, v44
	v_add_nc_u32_e32 v77, 0x800, v87
	v_add_nc_u32_e32 v79, v49, v46
	v_add_nc_u32_e32 v95, 0xc00, v87
	s_waitcnt lgkmcnt(2)
	v_perm_b32 v64, v35, v33, 0x5040100
	v_perm_b32 v32, v35, v33, 0x7060302
	s_waitcnt lgkmcnt(0)
	v_perm_b32 v65, v40, v37, 0x5040100
	v_perm_b32 v33, v40, v37, 0x7060302
	;; [unrolled: 1-line block ×4, first 2 shown]
	ds_load_2addr_b32 v[34:35], v55 offset1:16
	ds_load_2addr_b32 v[36:37], v75 offset0:84 offset1:100
	v_perm_b32 v57, v41, v38, 0x5040100
	v_perm_b32 v41, v41, v38, 0x7060302
	s_waitcnt lgkmcnt(0)
	v_perm_b32 v66, v36, v34, 0x5040100
	v_perm_b32 v34, v36, v34, 0x7060302
	v_perm_b32 v58, v37, v35, 0x5040100
	v_perm_b32 v42, v37, v35, 0x7060302
	ds_load_2addr_b32 v[35:36], v75 offset0:152 offset1:168
	ds_load_2addr_b32 v[37:38], v75 offset0:220 offset1:236
	s_waitcnt lgkmcnt(0)
	v_perm_b32 v67, v37, v35, 0x5040100
	v_perm_b32 v35, v37, v35, 0x7060302
	;; [unrolled: 1-line block ×4, first 2 shown]
	ds_load_2addr_b32 v[36:37], v76 offset1:16
	ds_load_2addr_b32 v[38:39], v77 offset0:100 offset1:116
	s_waitcnt lgkmcnt(0)
	v_perm_b32 v68, v38, v36, 0x5040100
	v_perm_b32 v36, v38, v36, 0x7060302
	;; [unrolled: 1-line block ×4, first 2 shown]
	ds_load_2addr_b32 v[37:38], v77 offset0:168 offset1:184
	ds_load_2addr_b32 v[47:48], v77 offset0:236 offset1:252
	s_waitcnt lgkmcnt(0)
	v_perm_b32 v69, v47, v37, 0x5040100
	v_perm_b32 v37, v47, v37, 0x7060302
	;; [unrolled: 1-line block ×4, first 2 shown]
	ds_load_2addr_b32 v[38:39], v79 offset1:16
	ds_load_2addr_b32 v[46:47], v95 offset0:116 offset1:132
	s_waitcnt lgkmcnt(0)
	v_perm_b32 v70, v46, v38, 0x5040100
	v_perm_b32 v38, v46, v38, 0x7060302
	;; [unrolled: 1-line block ×4, first 2 shown]
	v_add_nc_u32_e32 v39, 0xe00, v87
	ds_load_2addr_b32 v[47:48], v39 offset0:124 offset1:140
	ds_load_2addr_b32 v[49:50], v95 offset0:184 offset1:200
	s_waitcnt lgkmcnt(0)
	v_perm_b32 v71, v47, v49, 0x5040100
	v_perm_b32 v39, v47, v49, 0x7060302
	v_perm_b32 v63, v48, v50, 0x5040100
	v_perm_b32 v47, v48, v50, 0x7060302
	ds_load_2addr_b32 v[49:50], v87 offset0:32 offset1:48
	ds_load_2addr_b32 v[51:52], v87 offset0:100 offset1:116
	;; [unrolled: 1-line block ×4, first 2 shown]
	s_waitcnt lgkmcnt(2)
	v_perm_b32 v88, v51, v49, 0x5040100
	v_perm_b32 v48, v51, v49, 0x7060302
	s_waitcnt lgkmcnt(0)
	v_perm_b32 v89, v72, v53, 0x5040100
	v_perm_b32 v49, v72, v53, 0x7060302
	;; [unrolled: 1-line block ×4, first 2 shown]
	ds_load_2addr_b32 v[50:51], v55 offset0:32 offset1:48
	ds_load_2addr_b32 v[52:53], v75 offset0:116 offset1:132
	v_perm_b32 v81, v73, v54, 0x5040100
	v_perm_b32 v73, v73, v54, 0x7060302
	s_waitcnt lgkmcnt(0)
	v_perm_b32 v82, v53, v51, 0x5040100
	v_perm_b32 v74, v53, v51, 0x7060302
	v_add_nc_u32_e32 v53, 0x600, v87
	v_perm_b32 v90, v52, v50, 0x5040100
	v_perm_b32 v50, v52, v50, 0x7060302
	ds_load_2addr_b32 v[51:52], v75 offset0:184 offset1:200
	ds_load_2addr_b32 v[53:54], v53 offset0:124 offset1:140
	s_waitcnt lgkmcnt(0)
	v_perm_b32 v91, v53, v51, 0x5040100
	v_perm_b32 v51, v53, v51, 0x7060302
	v_perm_b32 v83, v54, v52, 0x5040100
	v_perm_b32 v75, v54, v52, 0x7060302
	ds_load_2addr_b32 v[52:53], v76 offset0:32 offset1:48
	ds_load_2addr_b32 v[54:55], v77 offset0:132 offset1:148
	s_waitcnt lgkmcnt(0)
	v_perm_b32 v92, v54, v52, 0x5040100
	v_perm_b32 v52, v54, v52, 0x7060302
	;; [unrolled: 7-line block ×4, first 2 shown]
	v_perm_b32 v86, v79, v55, 0x5040100
	v_perm_b32 v78, v79, v55, 0x7060302
	v_add_nc_u32_e32 v55, 0x1000, v87
	ds_load_2addr_b32 v[116:117], v95 offset0:216 offset1:232
	ds_load_2addr_b32 v[118:119], v55 offset0:28 offset1:44
	s_waitcnt lgkmcnt(0)
	s_barrier
	buffer_gl0_inv
	v_perm_b32 v95, v118, v116, 0x5040100
	v_perm_b32 v55, v118, v116, 0x7060302
	v_mul_f32_e32 v116, 0x3fb8aa3b, v108
	v_perm_b32 v87, v119, v117, 0x5040100
	v_perm_b32 v79, v119, v117, 0x7060302
	s_delay_alu instid0(VALU_DEP_3) | instskip(SKIP_1) | instid1(VALU_DEP_1)
	v_fma_f32 v117, 0x3fb8aa3b, v108, -v116
	v_rndne_f32_e32 v118, v116
	v_dual_fmac_f32 v117, 0x32a5705f, v108 :: v_dual_sub_f32 v116, v116, v118
	s_delay_alu instid0(VALU_DEP_1) | instskip(NEXT) | instid1(VALU_DEP_1)
	v_dual_add_f32 v116, v116, v117 :: v_dual_mul_f32 v117, 0x3fb8aa3b, v107
	v_exp_f32_e32 v110, v116
	s_delay_alu instid0(VALU_DEP_1) | instskip(SKIP_2) | instid1(VALU_DEP_3)
	v_fma_f32 v119, 0x3fb8aa3b, v107, -v117
	v_rndne_f32_e32 v120, v117
	v_cvt_i32_f32_e32 v116, v118
	v_fmac_f32_e32 v119, 0x32a5705f, v107
	s_delay_alu instid0(VALU_DEP_3)
	v_sub_f32_e32 v117, v117, v120
	s_waitcnt_depctr 0xfff
	v_ldexp_f32 v110, v110, v116
	v_cvt_i32_f32_e32 v116, v120
	v_add_f32_e32 v117, v117, v119
	v_mul_f32_e32 v119, 0x3fb8aa3b, v103
	s_delay_alu instid0(VALU_DEP_2) | instskip(NEXT) | instid1(VALU_DEP_1)
	v_exp_f32_e32 v111, v117
	v_fma_f32 v121, 0x3fb8aa3b, v103, -v119
	v_rndne_f32_e32 v122, v119
	s_delay_alu instid0(VALU_DEP_2) | instskip(NEXT) | instid1(VALU_DEP_2)
	v_fmac_f32_e32 v121, 0x32a5705f, v103
	v_sub_f32_e32 v119, v119, v122
	s_waitcnt_depctr 0xfff
	v_ldexp_f32 v111, v111, v116
	v_cvt_i32_f32_e32 v116, v122
	v_add_f32_e32 v119, v119, v121
	v_mul_f32_e32 v121, 0x3fb8aa3b, v102
	s_delay_alu instid0(VALU_DEP_4) | instskip(SKIP_1) | instid1(VALU_DEP_4)
	v_cndmask_b32_e64 v111, 0, v111, s3
	v_cmp_nlt_f32_e64 s3, 0x42b17218, v107
	v_exp_f32_e32 v112, v119
	s_delay_alu instid0(VALU_DEP_3) | instskip(SKIP_1) | instid1(VALU_DEP_2)
	v_fma_f32 v123, 0x3fb8aa3b, v102, -v121
	v_rndne_f32_e32 v124, v121
	v_fmac_f32_e32 v123, 0x32a5705f, v102
	s_delay_alu instid0(VALU_DEP_2)
	v_sub_f32_e32 v121, v121, v124
	s_waitcnt_depctr 0xfff
	v_ldexp_f32 v112, v112, v116
	v_cvt_i32_f32_e32 v116, v124
	v_add_f32_e32 v121, v121, v123
	v_mul_f32_e32 v123, 0x3fb8aa3b, v101
	s_delay_alu instid0(VALU_DEP_4) | instskip(SKIP_1) | instid1(VALU_DEP_4)
	v_cndmask_b32_e64 v107, 0, v112, s4
	v_cmp_nlt_f32_e64 s4, 0x42b17218, v103
	v_exp_f32_e32 v113, v121
	s_delay_alu instid0(VALU_DEP_3) | instskip(SKIP_1) | instid1(VALU_DEP_2)
	v_fma_f32 v125, 0x3fb8aa3b, v101, -v123
	v_rndne_f32_e32 v126, v123
	v_fmac_f32_e32 v125, 0x32a5705f, v101
	s_delay_alu instid0(VALU_DEP_2)
	v_sub_f32_e32 v123, v123, v126
	s_waitcnt_depctr 0xfff
	v_ldexp_f32 v113, v113, v116
	v_cvt_i32_f32_e32 v116, v126
	v_add_f32_e32 v123, v123, v125
	v_fma_f32 v125, 0x3fb8aa3b, v97, -v100
	v_sub_f32_e32 v100, v100, v127
	v_cndmask_b32_e64 v103, 0, v113, s5
	v_cmp_nlt_f32_e64 s5, 0x42b17218, v102
	v_exp_f32_e32 v114, v123
	v_fmac_f32_e32 v125, 0x32a5705f, v97
	s_delay_alu instid0(VALU_DEP_2) | instskip(NEXT) | instid1(VALU_DEP_2)
	v_cndmask_b32_e64 v103, 0x7f800000, v103, s5
	v_add_f32_e32 v100, v100, v125
	s_waitcnt_depctr 0xfff
	v_ldexp_f32 v114, v114, v116
	v_exp_f32_e32 v100, v100
	s_delay_alu instid0(VALU_DEP_1) | instskip(SKIP_2) | instid1(VALU_DEP_2)
	v_cndmask_b32_e64 v102, 0, v114, s6
	v_cmp_nlt_f32_e64 s6, 0x42b17218, v101
	v_mul_f32_e32 v101, 0x3fb8aa3b, v99
	v_cndmask_b32_e64 v102, 0x7f800000, v102, s6
	s_delay_alu instid0(VALU_DEP_2) | instskip(SKIP_1) | instid1(VALU_DEP_1)
	v_fma_f32 v112, 0x3fb8aa3b, v99, -v101
	v_rndne_f32_e32 v113, v101
	v_dual_fmac_f32 v112, 0x32a5705f, v99 :: v_dual_sub_f32 v101, v101, v113
	s_delay_alu instid0(VALU_DEP_1) | instskip(SKIP_1) | instid1(VALU_DEP_1)
	v_add_f32_e32 v101, v101, v112
	v_cvt_i32_f32_e32 v112, v127
	v_ldexp_f32 v100, v100, v112
	v_mul_f32_e32 v112, 0x3fb8aa3b, v98
	s_delay_alu instid0(VALU_DEP_2) | instskip(NEXT) | instid1(VALU_DEP_2)
	v_cndmask_b32_e64 v100, 0, v100, s7
	v_fma_f32 v114, 0x3fb8aa3b, v98, -v112
	v_rndne_f32_e32 v115, v112
	v_cmp_nlt_f32_e64 s7, 0x42b17218, v97
	v_exp_f32_e32 v97, v101
	v_cvt_i32_f32_e32 v101, v113
	v_fmac_f32_e32 v114, 0x32a5705f, v98
	v_sub_f32_e32 v112, v112, v115
	s_delay_alu instid0(VALU_DEP_1) | instskip(SKIP_4) | instid1(VALU_DEP_2)
	v_add_f32_e32 v112, v112, v114
	s_waitcnt_depctr 0xfff
	v_ldexp_f32 v97, v97, v101
	v_exp_f32_e32 v101, v112
	v_cvt_i32_f32_e32 v112, v115
	v_cndmask_b32_e64 v97, 0, v97, s8
	v_cmp_nlt_f32_e64 s8, 0x42b17218, v99
	s_waitcnt_depctr 0xfff
	v_ldexp_f32 v101, v101, v112
	s_delay_alu instid0(VALU_DEP_1)
	v_cndmask_b32_e64 v99, 0, v101, s9
	v_cmp_nlt_f32_e64 s9, 0x42b17218, v98
	v_cndmask_b32_e64 v98, 0, v110, s10
	v_cmp_nlt_f32_e64 s10, 0x42b17218, v108
	v_cndmask_b32_e64 v101, 0x7f800000, v111, s3
	v_cndmask_b32_e64 v108, 0x7f800000, v107, s4
	;; [unrolled: 1-line block ×6, first 2 shown]
	s_delay_alu instid0(VALU_DEP_2) | instskip(NEXT) | instid1(VALU_DEP_1)
	v_add_f32_e32 v96, v98, v96
	v_add_f32_e32 v96, v101, v96
	s_delay_alu instid0(VALU_DEP_1) | instskip(NEXT) | instid1(VALU_DEP_1)
	v_add_f32_e32 v96, v108, v96
	v_add_f32_e32 v96, v103, v96
	s_delay_alu instid0(VALU_DEP_1) | instskip(NEXT) | instid1(VALU_DEP_1)
	;; [unrolled: 3-line block ×3, first 2 shown]
	v_add_f32_e32 v96, v111, v96
	v_add_f32_e32 v107, v112, v96
	ds_bpermute_b32 v96, v105, v98
	v_fmac_f32_e32 v107, v182, v109
	s_waitcnt lgkmcnt(0)
	v_cndmask_b32_e32 v97, v98, v96, vcc_lo
	v_cndmask_b32_e64 v96, v98, v96, s0
	ds_bpermute_b32 v98, v105, v101
	v_cndmask_b32_e64 v99, v97, v101, s1
	v_cndmask_b32_e64 v100, v96, v101, s2
	v_cvt_f16_f32_e32 v97, v97
	v_cvt_f16_f32_e32 v96, v96
	s_delay_alu instid0(VALU_DEP_1) | instskip(SKIP_3) | instid1(VALU_DEP_2)
	v_pack_b32_f16 v96, v97, v96
	s_waitcnt lgkmcnt(0)
	v_cndmask_b32_e32 v99, v99, v98, vcc_lo
	v_cndmask_b32_e64 v98, v100, v98, s0
	v_cvt_f16_f32_e32 v100, v99
	s_delay_alu instid0(VALU_DEP_2) | instskip(SKIP_2) | instid1(VALU_DEP_3)
	v_cvt_f16_f32_e32 v101, v98
	v_cndmask_b32_e64 v99, v99, v108, s1
	v_cndmask_b32_e64 v98, v98, v108, s2
	v_pack_b32_f16 v97, v100, v101
	ds_bpermute_b32 v100, v105, v108
	s_waitcnt lgkmcnt(0)
	v_cndmask_b32_e32 v99, v99, v100, vcc_lo
	v_cndmask_b32_e64 v100, v98, v100, s0
	s_delay_alu instid0(VALU_DEP_2) | instskip(NEXT) | instid1(VALU_DEP_2)
	v_cvt_f16_f32_e32 v98, v99
	v_cvt_f16_f32_e32 v101, v100
	v_cndmask_b32_e64 v99, v99, v103, s1
	v_cndmask_b32_e64 v100, v100, v103, s2
	s_delay_alu instid0(VALU_DEP_3) | instskip(SKIP_4) | instid1(VALU_DEP_2)
	v_pack_b32_f16 v98, v98, v101
	ds_bpermute_b32 v101, v105, v103
	s_waitcnt lgkmcnt(0)
	v_cndmask_b32_e32 v103, v99, v101, vcc_lo
	v_cndmask_b32_e64 v100, v100, v101, s0
	v_cvt_f16_f32_e32 v99, v103
	s_delay_alu instid0(VALU_DEP_2) | instskip(SKIP_1) | instid1(VALU_DEP_2)
	v_cvt_f16_f32_e32 v101, v100
	v_cndmask_b32_e64 v100, v100, v102, s2
	v_pack_b32_f16 v99, v99, v101
	v_cndmask_b32_e64 v101, v103, v102, s1
	ds_bpermute_b32 v102, v105, v102
	s_waitcnt lgkmcnt(0)
	v_cndmask_b32_e32 v101, v101, v102, vcc_lo
	v_cndmask_b32_e64 v102, v100, v102, s0
	s_delay_alu instid0(VALU_DEP_2) | instskip(NEXT) | instid1(VALU_DEP_2)
	v_cvt_f16_f32_e32 v100, v101
	v_cvt_f16_f32_e32 v103, v102
	v_cndmask_b32_e64 v101, v101, v110, s1
	v_cndmask_b32_e64 v102, v102, v110, s2
	s_delay_alu instid0(VALU_DEP_3) | instskip(SKIP_4) | instid1(VALU_DEP_2)
	v_pack_b32_f16 v100, v100, v103
	ds_bpermute_b32 v103, v105, v110
	s_waitcnt lgkmcnt(0)
	v_cndmask_b32_e32 v108, v101, v103, vcc_lo
	v_cndmask_b32_e64 v102, v102, v103, s0
	v_cvt_f16_f32_e32 v101, v108
	s_delay_alu instid0(VALU_DEP_2) | instskip(SKIP_1) | instid1(VALU_DEP_2)
	v_cvt_f16_f32_e32 v103, v102
	v_cndmask_b32_e64 v102, v102, v111, s2
	v_pack_b32_f16 v101, v101, v103
	v_cndmask_b32_e64 v103, v108, v111, s1
	ds_bpermute_b32 v108, v105, v111
	s_waitcnt lgkmcnt(0)
	v_cndmask_b32_e32 v103, v103, v108, vcc_lo
	v_cndmask_b32_e64 v108, v102, v108, s0
	s_delay_alu instid0(VALU_DEP_2) | instskip(NEXT) | instid1(VALU_DEP_2)
	v_cvt_f16_f32_e32 v102, v103
	v_cvt_f16_f32_e32 v109, v108
	v_cndmask_b32_e64 v108, v108, v112, s2
	v_cndmask_b32_e64 v103, v103, v112, s1
	s_delay_alu instid0(VALU_DEP_3)
	v_pack_b32_f16 v102, v102, v109
	ds_bpermute_b32 v109, v105, v112
	s_waitcnt lgkmcnt(0)
	v_cndmask_b32_e32 v103, v103, v109, vcc_lo
	v_cndmask_b32_e64 v108, v108, v109, s0
	v_cmp_gt_u32_e32 vcc_lo, 16, v222
	s_delay_alu instid0(VALU_DEP_3) | instskip(NEXT) | instid1(VALU_DEP_3)
	v_cvt_f16_f32_e32 v103, v103
	v_cvt_f16_f32_e32 v108, v108
	s_delay_alu instid0(VALU_DEP_1)
	v_pack_b32_f16 v103, v103, v108
	ds_bpermute_b32 v108, v105, v107
	s_and_saveexec_b32 s0, vcc_lo
	s_cbranch_execz .LBB24_315
; %bb.314:
	v_or_b32_e32 v109, v170, v222
	s_waitcnt lgkmcnt(0)
	v_add_f32_e32 v107, v107, v108
	s_delay_alu instid0(VALU_DEP_2)
	v_mad_i32_i24 v109, 0x110, v109, 0
	ds_store_2addr_b32 v109, v106, v107 offset0:64 offset1:65
.LBB24_315:
	s_or_b32 exec_lo, exec_lo, s0
	v_wmma_f16_16x16x16_f16 v[0:7], v[64:71], v[96:103], v[0:7]
	v_wmma_f16_16x16x16_f16 v[8:15], v[56:63], v[96:103], v[8:15]
	;; [unrolled: 1-line block ×4, first 2 shown]
	v_cmp_eq_u32_e64 s0, 0, v168
	v_cmp_eq_u32_e64 s1, 1, v168
	s_waitcnt lgkmcnt(0)
	s_barrier
	buffer_gl0_inv
	s_and_saveexec_b32 s2, s1
	s_delay_alu instid0(SALU_CYCLE_1)
	s_xor_b32 s1, exec_lo, s2
	s_cbranch_execz .LBB24_317
; %bb.316:
	s_barrier
	buffer_gl0_inv
                                        ; implicit-def: $vgpr105
                                        ; implicit-def: $vgpr167
.LBB24_317:
	s_or_saveexec_b32 s4, s1
	v_wmma_f16_16x16x16_f16 v[0:7], v[32:39], v[96:103], v[0:7] op_sel:[0,0,1]
	v_wmma_f16_16x16x16_f16 v[8:15], v[40:47], v[96:103], v[8:15] op_sel:[0,0,1]
	;; [unrolled: 1-line block ×4, first 2 shown]
	s_xor_b32 exec_lo, exec_lo, s4
	s_cbranch_execz .LBB24_321
; %bb.318:
	v_add_nc_u32_e32 v32, v170, v222
	s_mov_b32 s3, 0
	s_delay_alu instid0(VALU_DEP_1)
	v_mad_i32_i24 v36, 0x110, v32, 0
	ds_load_b64 v[34:35], v36 offset:256
	s_waitcnt lgkmcnt(0)
	s_barrier
	buffer_gl0_inv
	ds_bpermute_b32 v32, v105, v34
	s_waitcnt lgkmcnt(0)
	v_dual_max_f32 v33, v34, v34 :: v_dual_max_f32 v32, v32, v32
	s_delay_alu instid0(VALU_DEP_1) | instskip(NEXT) | instid1(VALU_DEP_1)
	v_max_f32_e32 v32, v33, v32
	v_sub_f32_e32 v33, v34, v32
	s_delay_alu instid0(VALU_DEP_1) | instskip(SKIP_1) | instid1(VALU_DEP_2)
	v_mul_f32_e32 v34, 0x3fb8aa3b, v33
	v_cmp_ngt_f32_e64 s1, 0xc2ce8ed0, v33
	v_fma_f32 v37, 0x3fb8aa3b, v33, -v34
	v_rndne_f32_e32 v38, v34
	s_delay_alu instid0(VALU_DEP_1) | instskip(NEXT) | instid1(VALU_DEP_1)
	v_dual_fmamk_f32 v37, v33, 0x32a5705f, v37 :: v_dual_sub_f32 v34, v34, v38
	v_add_f32_e32 v34, v34, v37
	v_cvt_i32_f32_e32 v37, v38
	s_delay_alu instid0(VALU_DEP_2) | instskip(SKIP_2) | instid1(VALU_DEP_1)
	v_exp_f32_e32 v34, v34
	s_waitcnt_depctr 0xfff
	v_ldexp_f32 v34, v34, v37
	v_cndmask_b32_e64 v34, 0, v34, s1
	v_cmp_nlt_f32_e64 s1, 0x42b17218, v33
	s_delay_alu instid0(VALU_DEP_1) | instskip(NEXT) | instid1(VALU_DEP_1)
	v_cndmask_b32_e64 v33, 0x7f800000, v34, s1
	v_mul_f32_e32 v34, v35, v33
	ds_bpermute_b32 v34, v105, v34
	s_waitcnt lgkmcnt(0)
	v_fmac_f32_e32 v34, v35, v33
	ds_store_b64 v36, v[33:34] offset:256
	s_and_saveexec_b32 s1, vcc_lo
	s_cbranch_execz .LBB24_320
; %bb.319:
	v_or_b32_e32 v33, v167, v222
	s_add_i32 s2, s37, s36
	s_delay_alu instid0(SALU_CYCLE_1) | instskip(NEXT) | instid1(SALU_CYCLE_1)
	s_lshl_b32 s2, s2, 5
	s_lshl_b64 s[2:3], s[2:3], 3
	s_delay_alu instid0(VALU_DEP_1)
	v_lshlrev_b32_e32 v35, 3, v33
	v_mov_b32_e32 v33, v34
	s_add_u32 s2, s30, s2
	s_addc_u32 s3, s31, s3
	global_store_b64 v35, v[32:33], s[2:3]
.LBB24_320:
	s_or_b32 exec_lo, exec_lo, s1
.LBB24_321:
	s_delay_alu instid0(SALU_CYCLE_1) | instskip(SKIP_2) | instid1(VALU_DEP_1)
	s_or_b32 exec_lo, exec_lo, s4
	v_or_b32_e32 v32, v170, v169
	s_mov_b32 s1, 0
	v_mad_i32_i24 v32, 0x44, v32, v180
	s_delay_alu instid0(VALU_DEP_1)
	v_lshl_add_u32 v32, v32, 2, 0
	ds_store_2addr_b32 v32, v0, v1 offset1:2
	ds_store_2addr_b32 v32, v2, v3 offset0:4 offset1:6
	ds_store_2addr_b32 v32, v4, v5 offset0:8 offset1:10
	;; [unrolled: 1-line block ×15, first 2 shown]
	s_waitcnt lgkmcnt(0)
	s_waitcnt_vscnt null, 0x0
	s_barrier
	buffer_gl0_inv
	s_and_saveexec_b32 s2, s0
	s_cbranch_execz .LBB24_323
; %bb.322:
	v_lshrrev_b32_e32 v0, 1, v204
	v_bfe_u32 v18, v204, 1, 4
	v_lshlrev_b32_e32 v1, 2, v222
	v_lshlrev_b32_e32 v12, 5, v204
	s_lshl_b32 s0, s37, 6
	v_add_nc_u32_e32 v14, 2, v0
	v_and_or_b32 v2, 0x3e0, v204, v18
	v_add_nc_u32_e32 v19, 4, v0
	v_add_lshl_u32 v20, v222, v12, 3
	s_lshl_b64 s[4:5], s[0:1], 3
	v_lshlrev_b32_e32 v4, 1, v14
	v_and_b32_e32 v5, 15, v14
	v_mul_u32_u24_e32 v3, 0x44, v2
	v_mad_u32_u24 v2, 0x110, v2, 0
	v_lshlrev_b32_e32 v9, 1, v19
	v_and_b32_e32 v10, 15, v19
	v_and_or_b32 v7, 0x7e0, v4, v5
	v_lshl_add_u32 v6, v3, 2, v104
	v_lshlrev_b32_e32 v21, 6, v14
	ds_load_2addr_stride64_b32 v[2:3], v2 offset0:1 offset1:18
	ds_load_2addr_b32 v[4:5], v6 offset1:32
	v_mad_u32_u24 v8, 0x110, v7, 0
	v_add_nc_u32_e32 v6, 0x1000, v6
	v_and_or_b32 v15, 0x7e0, v9, v10
	s_add_u32 s3, s30, s4
	s_addc_u32 s4, s31, s5
	v_add_nc_u32_e32 v13, v8, v1
	ds_load_2addr_b32 v[6:7], v6 offset0:64 offset1:96
	ds_load_2addr_stride64_b32 v[8:9], v8 offset0:1 offset1:18
	ds_load_2addr_b32 v[10:11], v13 offset1:32
	v_add_nc_u32_e32 v13, 0x1000, v13
	v_mad_u32_u24 v16, 0x110, v15, 0
	s_lshl_b32 s0, s36, 11
	v_lshlrev_b32_e32 v19, 6, v19
	s_lshl_b64 s[0:1], s[0:1], 3
	ds_load_2addr_b32 v[12:13], v13 offset0:64 offset1:96
	ds_load_2addr_stride64_b32 v[14:15], v16 offset0:1 offset1:18
	v_add_nc_u32_e32 v22, v16, v1
	s_add_u32 s0, s3, s0
	s_waitcnt lgkmcnt(5)
	v_fma_mix_f32 v16, v2, v4, 0 op_sel_hi:[0,1,0]
	v_fma_mix_f32 v17, v2, v4, 0 op_sel:[0,1,0] op_sel_hi:[0,1,0]
	v_fma_mix_f32 v23, v2, v5, 0 op_sel_hi:[0,1,0]
	v_fma_mix_f32 v24, v2, v5, 0 op_sel:[0,1,0] op_sel_hi:[0,1,0]
	s_addc_u32 s1, s4, s1
	ds_load_2addr_b32 v[4:5], v22 offset1:32
	v_add_nc_u32_e32 v22, 0x1000, v22
	s_waitcnt lgkmcnt(5)
	v_fma_mix_f32 v16, v3, v6, v16 op_sel_hi:[0,1,0]
	v_fma_mix_f32 v17, v3, v6, v17 op_sel:[0,1,0] op_sel_hi:[0,1,0]
	v_fma_mix_f32 v2, v3, v7, v23 op_sel_hi:[0,1,0]
	v_fma_mix_f32 v3, v3, v7, v24 op_sel:[0,1,0] op_sel_hi:[0,1,0]
	s_waitcnt lgkmcnt(3)
	v_fma_mix_f32 v6, v8, v10, 0 op_sel_hi:[0,1,0]
	v_fma_mix_f32 v7, v8, v10, 0 op_sel:[0,1,0] op_sel_hi:[0,1,0]
	s_clause 0x1
	global_store_b64 v20, v[16:17], s[0:1]
	global_store_b64 v20, v[2:3], s[0:1] offset:256
	v_add_nc_u32_e32 v20, 6, v0
	s_waitcnt lgkmcnt(2)
	v_fma_mix_f32 v2, v9, v12, v6 op_sel_hi:[0,1,0]
	v_add_co_u32 v6, s3, v222, v21
	v_fma_mix_f32 v10, v8, v11, 0 op_sel_hi:[0,1,0]
	v_fma_mix_f32 v3, v9, v12, v7 op_sel:[0,1,0] op_sel_hi:[0,1,0]
	v_add_co_ci_u32_e64 v7, null, 0, 0, s3
	ds_load_2addr_b32 v[16:17], v22 offset0:64 offset1:96
	v_lshlrev_b32_e32 v12, 1, v20
	v_and_b32_e32 v22, 15, v20
	v_fma_mix_f32 v11, v8, v11, 0 op_sel:[0,1,0] op_sel_hi:[0,1,0]
	v_lshlrev_b64 v[6:7], 3, v[6:7]
	v_fma_mix_f32 v8, v9, v13, v10 op_sel_hi:[0,1,0]
	v_add_lshl_u32 v21, v222, v21, 3
	v_and_or_b32 v10, 0x7e0, v12, v22
	v_fma_mix_f32 v9, v9, v13, v11 op_sel:[0,1,0] op_sel_hi:[0,1,0]
	v_add_co_u32 v6, vcc_lo, s0, v6
	s_delay_alu instid0(VALU_DEP_3)
	v_mad_u32_u24 v10, 0x110, v10, 0
	v_add_co_ci_u32_e32 v7, vcc_lo, s1, v7, vcc_lo
	global_store_b64 v21, v[2:3], s[0:1]
	s_waitcnt lgkmcnt(1)
	v_fma_mix_f32 v2, v14, v4, 0 op_sel_hi:[0,1,0]
	v_fma_mix_f32 v3, v14, v4, 0 op_sel:[0,1,0] op_sel_hi:[0,1,0]
	v_add_nc_u32_e32 v4, v10, v1
	global_store_b64 v[6:7], v[8:9], off offset:256
	ds_load_2addr_stride64_b32 v[6:7], v10 offset0:1 offset1:18
	ds_load_2addr_b32 v[8:9], v4 offset1:32
	v_add_nc_u32_e32 v21, 8, v0
	v_add_co_u32 v10, s3, v222, v19
	v_add_nc_u32_e32 v4, 0x1000, v4
	s_waitcnt lgkmcnt(2)
	v_fma_mix_f32 v2, v15, v16, v2 op_sel_hi:[0,1,0]
	v_fma_mix_f32 v3, v15, v16, v3 op_sel:[0,1,0] op_sel_hi:[0,1,0]
	v_fma_mix_f32 v16, v14, v5, 0 op_sel_hi:[0,1,0]
	v_add_co_ci_u32_e64 v11, null, 0, 0, s3
	v_fma_mix_f32 v14, v14, v5, 0 op_sel:[0,1,0] op_sel_hi:[0,1,0]
	v_lshlrev_b32_e32 v22, 1, v21
	v_and_b32_e32 v23, 15, v21
	ds_load_2addr_b32 v[12:13], v4 offset0:64 offset1:96
	v_lshlrev_b64 v[4:5], 3, v[10:11]
	v_fma_mix_f32 v11, v15, v17, v14 op_sel:[0,1,0] op_sel_hi:[0,1,0]
	v_add_lshl_u32 v19, v222, v19, 3
	v_and_or_b32 v14, 0x7e0, v22, v23
	v_fma_mix_f32 v10, v15, v17, v16 op_sel_hi:[0,1,0]
	v_add_co_u32 v4, vcc_lo, s0, v4
	s_delay_alu instid0(VALU_DEP_3)
	v_mad_u32_u24 v14, 0x110, v14, 0
	v_add_co_ci_u32_e32 v5, vcc_lo, s1, v5, vcc_lo
	global_store_b64 v19, v[2:3], s[0:1]
	s_waitcnt lgkmcnt(1)
	v_fma_mix_f32 v2, v6, v8, 0 op_sel_hi:[0,1,0]
	v_fma_mix_f32 v3, v6, v8, 0 op_sel:[0,1,0] op_sel_hi:[0,1,0]
	v_add_nc_u32_e32 v8, v14, v1
	v_lshlrev_b32_e32 v19, 6, v20
	global_store_b64 v[4:5], v[10:11], off offset:256
	ds_load_2addr_stride64_b32 v[4:5], v14 offset0:1 offset1:18
	ds_load_2addr_b32 v[10:11], v8 offset1:32
	v_add_nc_u32_e32 v20, 10, v0
	v_add_co_u32 v14, s3, v222, v19
	s_waitcnt lgkmcnt(2)
	v_fma_mix_f32 v2, v7, v12, v2 op_sel_hi:[0,1,0]
	v_fma_mix_f32 v3, v7, v12, v3 op_sel:[0,1,0] op_sel_hi:[0,1,0]
	v_fma_mix_f32 v12, v6, v9, 0 op_sel_hi:[0,1,0]
	v_add_nc_u32_e32 v8, 0x1000, v8
	v_add_co_ci_u32_e64 v15, null, 0, 0, s3
	v_lshlrev_b32_e32 v23, 1, v20
	v_and_b32_e32 v24, 15, v20
	ds_load_2addr_b32 v[16:17], v8 offset0:64 offset1:96
	v_fma_mix_f32 v22, v6, v9, 0 op_sel:[0,1,0] op_sel_hi:[0,1,0]
	v_lshlrev_b64 v[8:9], 3, v[14:15]
	v_fma_mix_f32 v6, v7, v13, v12 op_sel_hi:[0,1,0]
	v_and_or_b32 v12, 0x7e0, v23, v24
	v_add_lshl_u32 v14, v222, v19, 3
	v_fma_mix_f32 v7, v7, v13, v22 op_sel:[0,1,0] op_sel_hi:[0,1,0]
	v_lshlrev_b32_e32 v19, 6, v21
	v_add_co_u32 v8, vcc_lo, s0, v8
	v_mad_u32_u24 v12, 0x110, v12, 0
	v_add_co_ci_u32_e32 v9, vcc_lo, s1, v9, vcc_lo
	global_store_b64 v14, v[2:3], s[0:1]
	s_waitcnt lgkmcnt(1)
	v_fma_mix_f32 v2, v4, v10, 0 op_sel_hi:[0,1,0]
	v_fma_mix_f32 v3, v4, v10, 0 op_sel:[0,1,0] op_sel_hi:[0,1,0]
	v_add_nc_u32_e32 v10, v12, v1
	global_store_b64 v[8:9], v[6:7], off offset:256
	ds_load_2addr_stride64_b32 v[6:7], v12 offset0:1 offset1:18
	ds_load_2addr_b32 v[8:9], v10 offset1:32
	v_add_nc_u32_e32 v21, 12, v0
	v_add_co_u32 v12, s3, v222, v19
	v_add_nc_u32_e32 v10, 0x1000, v10
	v_add_co_ci_u32_e64 v13, null, 0, 0, s3
	s_delay_alu instid0(VALU_DEP_4)
	v_lshlrev_b32_e32 v23, 1, v21
	v_and_b32_e32 v24, 15, v21
	s_waitcnt lgkmcnt(2)
	v_fma_mix_f32 v2, v5, v16, v2 op_sel_hi:[0,1,0]
	v_fma_mix_f32 v3, v5, v16, v3 op_sel:[0,1,0] op_sel_hi:[0,1,0]
	v_fma_mix_f32 v16, v4, v11, 0 op_sel_hi:[0,1,0]
	ds_load_2addr_b32 v[14:15], v10 offset0:64 offset1:96
	v_fma_mix_f32 v22, v4, v11, 0 op_sel:[0,1,0] op_sel_hi:[0,1,0]
	v_lshlrev_b64 v[10:11], 3, v[12:13]
	v_add_lshl_u32 v12, v222, v19, 3
	v_and_or_b32 v13, 0x7e0, v23, v24
	v_fma_mix_f32 v4, v5, v17, v16 op_sel_hi:[0,1,0]
	v_fma_mix_f32 v5, v5, v17, v22 op_sel:[0,1,0] op_sel_hi:[0,1,0]
	v_lshlrev_b32_e32 v19, 6, v20
	global_store_b64 v12, v[2:3], s[0:1]
	v_mad_u32_u24 v12, 0x110, v13, 0
	v_add_co_u32 v10, vcc_lo, s0, v10
	v_add_co_ci_u32_e32 v11, vcc_lo, s1, v11, vcc_lo
	s_waitcnt lgkmcnt(1)
	v_fma_mix_f32 v2, v6, v8, 0 op_sel_hi:[0,1,0]
	v_fma_mix_f32 v3, v6, v8, 0 op_sel:[0,1,0] op_sel_hi:[0,1,0]
	v_add_nc_u32_e32 v8, v12, v1
	global_store_b64 v[10:11], v[4:5], off offset:256
	ds_load_2addr_stride64_b32 v[4:5], v12 offset0:1 offset1:18
	ds_load_2addr_b32 v[10:11], v8 offset1:32
	v_add_nc_u32_e32 v20, 14, v0
	v_add_co_u32 v12, s3, v222, v19
	v_add_nc_u32_e32 v8, 0x1000, v8
	v_add_co_ci_u32_e64 v13, null, 0, 0, s3
	s_delay_alu instid0(VALU_DEP_4)
	v_lshlrev_b32_e32 v23, 1, v20
	v_and_b32_e32 v24, 15, v20
	s_waitcnt lgkmcnt(2)
	v_fma_mix_f32 v2, v7, v14, v2 op_sel_hi:[0,1,0]
	v_fma_mix_f32 v3, v7, v14, v3 op_sel:[0,1,0] op_sel_hi:[0,1,0]
	v_fma_mix_f32 v14, v6, v9, 0 op_sel_hi:[0,1,0]
	ds_load_2addr_b32 v[16:17], v8 offset0:64 offset1:96
	v_fma_mix_f32 v22, v6, v9, 0 op_sel:[0,1,0] op_sel_hi:[0,1,0]
	v_lshlrev_b64 v[8:9], 3, v[12:13]
	v_and_or_b32 v13, 0x7e0, v23, v24
	v_add_lshl_u32 v12, v222, v19, 3
	v_fma_mix_f32 v6, v7, v15, v14 op_sel_hi:[0,1,0]
	v_fma_mix_f32 v7, v7, v15, v22 op_sel:[0,1,0] op_sel_hi:[0,1,0]
	v_lshlrev_b32_e32 v19, 6, v21
	v_mad_u32_u24 v13, 0x110, v13, 0
	v_add_co_u32 v8, vcc_lo, s0, v8
	v_add_co_ci_u32_e32 v9, vcc_lo, s1, v9, vcc_lo
	global_store_b64 v12, v[2:3], s[0:1]
	s_waitcnt lgkmcnt(1)
	v_fma_mix_f32 v2, v4, v10, 0 op_sel_hi:[0,1,0]
	v_fma_mix_f32 v3, v4, v10, 0 op_sel:[0,1,0] op_sel_hi:[0,1,0]
	v_add_nc_u32_e32 v10, v13, v1
	global_store_b64 v[8:9], v[6:7], off offset:256
	ds_load_2addr_stride64_b32 v[6:7], v13 offset0:1 offset1:18
	ds_load_2addr_b32 v[8:9], v10 offset1:32
	v_add_nc_u32_e32 v21, 16, v0
	v_add_co_u32 v12, s3, v222, v19
	v_add_nc_u32_e32 v10, 0x1000, v10
	v_add_co_ci_u32_e64 v13, null, 0, 0, s3
	s_delay_alu instid0(VALU_DEP_4)
	v_lshlrev_b32_e32 v23, 1, v21
	s_waitcnt lgkmcnt(2)
	v_fma_mix_f32 v2, v5, v16, v2 op_sel_hi:[0,1,0]
	v_fma_mix_f32 v3, v5, v16, v3 op_sel:[0,1,0] op_sel_hi:[0,1,0]
	ds_load_2addr_b32 v[14:15], v10 offset0:64 offset1:96
	v_fma_mix_f32 v16, v4, v11, 0 op_sel_hi:[0,1,0]
	v_fma_mix_f32 v22, v4, v11, 0 op_sel:[0,1,0] op_sel_hi:[0,1,0]
	v_lshlrev_b64 v[10:11], 3, v[12:13]
	v_add_lshl_u32 v12, v222, v19, 3
	v_and_or_b32 v13, 0x7e0, v23, v18
	v_fma_mix_f32 v4, v5, v17, v16 op_sel_hi:[0,1,0]
	v_fma_mix_f32 v5, v5, v17, v22 op_sel:[0,1,0] op_sel_hi:[0,1,0]
	v_lshlrev_b32_e32 v18, 6, v20
	global_store_b64 v12, v[2:3], s[0:1]
	v_mad_u32_u24 v12, 0x110, v13, 0
	v_add_co_u32 v10, vcc_lo, s0, v10
	v_add_co_ci_u32_e32 v11, vcc_lo, s1, v11, vcc_lo
	s_waitcnt lgkmcnt(1)
	v_fma_mix_f32 v2, v6, v8, 0 op_sel_hi:[0,1,0]
	v_fma_mix_f32 v3, v6, v8, 0 op_sel:[0,1,0] op_sel_hi:[0,1,0]
	v_add_nc_u32_e32 v8, v12, v1
	global_store_b64 v[10:11], v[4:5], off offset:256
	ds_load_2addr_stride64_b32 v[4:5], v12 offset0:1 offset1:18
	ds_load_2addr_b32 v[10:11], v8 offset1:32
	v_add_nc_u32_e32 v19, 18, v0
	v_add_co_u32 v12, s3, v222, v18
	v_add_nc_u32_e32 v8, 0x1000, v8
	v_add_co_ci_u32_e64 v13, null, 0, 0, s3
	s_delay_alu instid0(VALU_DEP_4)
	v_lshlrev_b32_e32 v22, 1, v19
	v_and_b32_e32 v23, 15, v19
	s_waitcnt lgkmcnt(2)
	v_fma_mix_f32 v2, v7, v14, v2 op_sel_hi:[0,1,0]
	v_fma_mix_f32 v3, v7, v14, v3 op_sel:[0,1,0] op_sel_hi:[0,1,0]
	v_fma_mix_f32 v14, v6, v9, 0 op_sel_hi:[0,1,0]
	ds_load_2addr_b32 v[16:17], v8 offset0:64 offset1:96
	v_fma_mix_f32 v20, v6, v9, 0 op_sel:[0,1,0] op_sel_hi:[0,1,0]
	v_lshlrev_b64 v[8:9], 3, v[12:13]
	v_add_lshl_u32 v12, v222, v18, 3
	v_and_or_b32 v13, 0x7e0, v22, v23
	v_fma_mix_f32 v6, v7, v15, v14 op_sel_hi:[0,1,0]
	v_fma_mix_f32 v7, v7, v15, v20 op_sel:[0,1,0] op_sel_hi:[0,1,0]
	v_lshlrev_b32_e32 v18, 6, v21
	global_store_b64 v12, v[2:3], s[0:1]
	v_mad_u32_u24 v12, 0x110, v13, 0
	v_add_co_u32 v8, vcc_lo, s0, v8
	v_add_co_ci_u32_e32 v9, vcc_lo, s1, v9, vcc_lo
	s_waitcnt lgkmcnt(1)
	v_fma_mix_f32 v2, v4, v10, 0 op_sel_hi:[0,1,0]
	v_fma_mix_f32 v3, v4, v10, 0 op_sel:[0,1,0] op_sel_hi:[0,1,0]
	v_add_nc_u32_e32 v10, v12, v1
	global_store_b64 v[8:9], v[6:7], off offset:256
	ds_load_2addr_stride64_b32 v[6:7], v12 offset0:1 offset1:18
	ds_load_2addr_b32 v[8:9], v10 offset1:32
	v_add_nc_u32_e32 v20, 20, v0
	v_add_co_u32 v12, s3, v222, v18
	v_add_nc_u32_e32 v10, 0x1000, v10
	v_add_co_ci_u32_e64 v13, null, 0, 0, s3
	s_delay_alu instid0(VALU_DEP_4)
	v_lshlrev_b32_e32 v22, 1, v20
	v_and_b32_e32 v23, 15, v20
	s_waitcnt lgkmcnt(2)
	v_fma_mix_f32 v2, v5, v16, v2 op_sel_hi:[0,1,0]
	v_fma_mix_f32 v3, v5, v16, v3 op_sel:[0,1,0] op_sel_hi:[0,1,0]
	v_fma_mix_f32 v16, v4, v11, 0 op_sel_hi:[0,1,0]
	ds_load_2addr_b32 v[14:15], v10 offset0:64 offset1:96
	;; [unrolled: 30-line block ×3, first 2 shown]
	v_fma_mix_f32 v21, v6, v9, 0 op_sel:[0,1,0] op_sel_hi:[0,1,0]
	v_lshlrev_b64 v[8:9], 3, v[12:13]
	v_and_or_b32 v13, 0x7e0, v22, v23
	v_add_lshl_u32 v12, v222, v18, 3
	v_fma_mix_f32 v6, v7, v15, v14 op_sel_hi:[0,1,0]
	v_fma_mix_f32 v7, v7, v15, v21 op_sel:[0,1,0] op_sel_hi:[0,1,0]
	v_lshlrev_b32_e32 v18, 6, v20
	v_mad_u32_u24 v13, 0x110, v13, 0
	v_add_co_u32 v8, vcc_lo, s0, v8
	v_add_co_ci_u32_e32 v9, vcc_lo, s1, v9, vcc_lo
	global_store_b64 v12, v[2:3], s[0:1]
	s_waitcnt lgkmcnt(1)
	v_fma_mix_f32 v2, v4, v10, 0 op_sel_hi:[0,1,0]
	v_fma_mix_f32 v3, v4, v10, 0 op_sel:[0,1,0] op_sel_hi:[0,1,0]
	v_add_nc_u32_e32 v10, v13, v1
	global_store_b64 v[8:9], v[6:7], off offset:256
	ds_load_2addr_stride64_b32 v[6:7], v13 offset0:1 offset1:18
	ds_load_2addr_b32 v[8:9], v10 offset1:32
	v_add_nc_u32_e32 v10, 0x1000, v10
	v_add_nc_u32_e32 v20, 24, v0
	v_add_co_u32 v12, s3, v222, v18
	s_delay_alu instid0(VALU_DEP_1)
	v_add_co_ci_u32_e64 v13, null, 0, 0, s3
	ds_load_2addr_b32 v[14:15], v10 offset0:64 offset1:96
	v_lshlrev_b32_e32 v22, 1, v20
	v_and_b32_e32 v23, 15, v20
	s_waitcnt lgkmcnt(3)
	v_fma_mix_f32 v2, v5, v16, v2 op_sel_hi:[0,1,0]
	v_fma_mix_f32 v3, v5, v16, v3 op_sel:[0,1,0] op_sel_hi:[0,1,0]
	v_fma_mix_f32 v16, v4, v11, 0 op_sel_hi:[0,1,0]
	v_fma_mix_f32 v21, v4, v11, 0 op_sel:[0,1,0] op_sel_hi:[0,1,0]
	v_lshlrev_b64 v[10:11], 3, v[12:13]
	v_add_lshl_u32 v12, v222, v18, 3
	v_and_or_b32 v13, 0x7e0, v22, v23
	v_fma_mix_f32 v4, v5, v17, v16 op_sel_hi:[0,1,0]
	v_fma_mix_f32 v5, v5, v17, v21 op_sel:[0,1,0] op_sel_hi:[0,1,0]
	global_store_b64 v12, v[2:3], s[0:1]
	s_waitcnt lgkmcnt(1)
	v_fma_mix_f32 v2, v6, v8, 0 op_sel_hi:[0,1,0]
	v_fma_mix_f32 v3, v6, v8, 0 op_sel:[0,1,0] op_sel_hi:[0,1,0]
	v_mad_u32_u24 v12, 0x110, v13, 0
	v_add_co_u32 v10, vcc_lo, s0, v10
	v_add_co_ci_u32_e32 v11, vcc_lo, s1, v11, vcc_lo
	v_lshlrev_b32_e32 v8, 6, v19
	s_waitcnt lgkmcnt(0)
	v_fma_mix_f32 v2, v7, v14, v2 op_sel_hi:[0,1,0]
	v_fma_mix_f32 v3, v7, v14, v3 op_sel:[0,1,0] op_sel_hi:[0,1,0]
	v_add_nc_u32_e32 v14, 26, v0
	v_add_nc_u32_e32 v13, v12, v1
	global_store_b64 v[10:11], v[4:5], off offset:256
	ds_load_2addr_stride64_b32 v[4:5], v12 offset0:1 offset1:18
	ds_load_2addr_b32 v[10:11], v13 offset1:32
	v_lshlrev_b32_e32 v19, 1, v14
	v_and_b32_e32 v21, 15, v14
	v_add_co_u32 v12, s3, v222, v8
	v_add_nc_u32_e32 v16, 0x1000, v13
	v_add_co_ci_u32_e64 v13, null, 0, 0, s3
	s_delay_alu instid0(VALU_DEP_4)
	v_and_or_b32 v19, 0x7e0, v19, v21
	v_add_lshl_u32 v18, v222, v8, 3
	ds_load_2addr_b32 v[16:17], v16 offset0:64 offset1:96
	v_fma_mix_f32 v22, v6, v9, 0 op_sel_hi:[0,1,0]
	v_fma_mix_f32 v6, v6, v9, 0 op_sel:[0,1,0] op_sel_hi:[0,1,0]
	v_lshlrev_b64 v[8:9], 3, v[12:13]
	v_mad_u32_u24 v12, 0x110, v19, 0
	global_store_b64 v18, v[2:3], s[0:1]
	v_fma_mix_f32 v2, v7, v15, v22 op_sel_hi:[0,1,0]
	v_fma_mix_f32 v3, v7, v15, v6 op_sel:[0,1,0] op_sel_hi:[0,1,0]
	v_lshlrev_b32_e32 v18, 6, v20
	v_add_co_u32 v6, vcc_lo, s0, v8
	v_add_co_ci_u32_e32 v7, vcc_lo, s1, v9, vcc_lo
	v_add_nc_u32_e32 v15, v12, v1
	ds_load_2addr_stride64_b32 v[8:9], v12 offset0:1 offset1:18
	ds_load_2addr_b32 v[12:13], v15 offset1:32
	global_store_b64 v[6:7], v[2:3], off offset:256
	v_add_nc_u32_e32 v6, 0x1000, v15
	s_waitcnt lgkmcnt(3)
	v_fma_mix_f32 v19, v4, v10, 0 op_sel_hi:[0,1,0]
	v_fma_mix_f32 v10, v4, v10, 0 op_sel:[0,1,0] op_sel_hi:[0,1,0]
	v_fma_mix_f32 v15, v4, v11, 0 op_sel_hi:[0,1,0]
	v_add_nc_u32_e32 v20, 28, v0
	ds_load_2addr_b32 v[6:7], v6 offset0:64 offset1:96
	s_waitcnt lgkmcnt(3)
	v_fma_mix_f32 v2, v5, v16, v19 op_sel_hi:[0,1,0]
	v_fma_mix_f32 v19, v4, v11, 0 op_sel:[0,1,0] op_sel_hi:[0,1,0]
	v_fma_mix_f32 v3, v5, v16, v10 op_sel:[0,1,0] op_sel_hi:[0,1,0]
	v_add_co_u32 v10, s3, v222, v18
	s_delay_alu instid0(VALU_DEP_1)
	v_add_co_ci_u32_e64 v11, null, 0, 0, s3
	v_fma_mix_f32 v4, v5, v17, v15 op_sel_hi:[0,1,0]
	v_fma_mix_f32 v5, v5, v17, v19 op_sel:[0,1,0] op_sel_hi:[0,1,0]
	v_lshlrev_b32_e32 v15, 1, v20
	v_and_b32_e32 v17, 15, v20
	v_lshlrev_b64 v[10:11], 3, v[10:11]
	v_add_lshl_u32 v16, v222, v18, 3
	v_lshlrev_b32_e32 v18, 6, v14
	s_waitcnt lgkmcnt(1)
	v_fma_mix_f32 v14, v8, v12, 0 op_sel_hi:[0,1,0]
	v_and_or_b32 v15, 0x7e0, v15, v17
	v_fma_mix_f32 v12, v8, v12, 0 op_sel:[0,1,0] op_sel_hi:[0,1,0]
	v_add_co_u32 v10, vcc_lo, s0, v10
	v_add_co_ci_u32_e32 v11, vcc_lo, s1, v11, vcc_lo
	s_delay_alu instid0(VALU_DEP_4)
	v_mad_u32_u24 v17, 0x110, v15, 0
	s_waitcnt lgkmcnt(0)
	v_fma_mix_f32 v14, v9, v6, v14 op_sel_hi:[0,1,0]
	v_fma_mix_f32 v15, v9, v6, v12 op_sel:[0,1,0] op_sel_hi:[0,1,0]
	v_add_lshl_u32 v6, v222, v18, 3
	v_add_nc_u32_e32 v19, 30, v0
	v_add_nc_u32_e32 v12, v17, v1
	s_clause 0x2
	global_store_b64 v16, v[2:3], s[0:1]
	global_store_b64 v[10:11], v[4:5], off offset:256
	global_store_b64 v6, v[14:15], s[0:1]
	ds_load_2addr_stride64_b32 v[2:3], v17 offset0:1 offset1:18
	ds_load_2addr_b32 v[4:5], v12 offset1:32
	v_lshlrev_b32_e32 v0, 1, v19
	v_and_b32_e32 v6, 15, v19
	v_add_co_u32 v10, s3, v222, v18
	s_delay_alu instid0(VALU_DEP_1) | instskip(NEXT) | instid1(VALU_DEP_3)
	v_add_co_ci_u32_e64 v11, null, 0, 0, s3
	v_and_or_b32 v0, 0x7e0, v0, v6
	v_add_nc_u32_e32 v12, 0x1000, v12
	v_fma_mix_f32 v14, v8, v13, 0 op_sel_hi:[0,1,0]
	v_fma_mix_f32 v8, v8, v13, 0 op_sel:[0,1,0] op_sel_hi:[0,1,0]
	v_lshlrev_b64 v[10:11], 3, v[10:11]
	v_mad_u32_u24 v0, 0x110, v0, 0
	ds_load_2addr_b32 v[12:13], v12 offset0:64 offset1:96
	v_fma_mix_f32 v6, v9, v7, v14 op_sel_hi:[0,1,0]
	v_lshlrev_b32_e32 v18, 6, v20
	v_fma_mix_f32 v7, v9, v7, v8 op_sel:[0,1,0] op_sel_hi:[0,1,0]
	v_add_nc_u32_e32 v14, v0, v1
	v_add_co_u32 v8, vcc_lo, s0, v10
	v_add_co_ci_u32_e32 v9, vcc_lo, s1, v11, vcc_lo
	s_waitcnt lgkmcnt(1)
	v_fma_mix_f32 v20, v2, v4, 0 op_sel_hi:[0,1,0]
	v_fma_mix_f32 v21, v2, v4, 0 op_sel:[0,1,0] op_sel_hi:[0,1,0]
	ds_load_2addr_stride64_b32 v[0:1], v0 offset0:1 offset1:18
	ds_load_2addr_b32 v[10:11], v14 offset1:32
	v_add_nc_u32_e32 v4, 0x1000, v14
	v_add_co_u32 v14, s3, v222, v18
	s_delay_alu instid0(VALU_DEP_1)
	v_add_co_ci_u32_e64 v15, null, 0, 0, s3
	ds_load_2addr_b32 v[16:17], v4 offset0:64 offset1:96
	v_lshlrev_b32_e32 v19, 6, v19
	v_fma_mix_f32 v22, v2, v5, 0 op_sel:[0,1,0] op_sel_hi:[0,1,0]
	v_lshlrev_b64 v[14:15], 3, v[14:15]
	s_waitcnt lgkmcnt(3)
	v_fma_mix_f32 v4, v3, v12, v20 op_sel_hi:[0,1,0]
	v_fma_mix_f32 v20, v2, v5, 0 op_sel_hi:[0,1,0]
	v_fma_mix_f32 v5, v3, v12, v21 op_sel:[0,1,0] op_sel_hi:[0,1,0]
	v_add_lshl_u32 v18, v222, v18, 3
	v_add_co_u32 v12, vcc_lo, s0, v14
	v_add_co_u32 v14, s3, v222, v19
	v_fma_mix_f32 v2, v3, v13, v20 op_sel_hi:[0,1,0]
	v_fma_mix_f32 v3, v3, v13, v22 op_sel:[0,1,0] op_sel_hi:[0,1,0]
	v_add_co_ci_u32_e32 v13, vcc_lo, s1, v15, vcc_lo
	v_add_co_ci_u32_e64 v15, null, 0, 0, s3
	s_waitcnt lgkmcnt(1)
	v_fma_mix_f32 v20, v0, v10, 0 op_sel_hi:[0,1,0]
	v_fma_mix_f32 v21, v0, v10, 0 op_sel:[0,1,0] op_sel_hi:[0,1,0]
	v_fma_mix_f32 v22, v0, v11, 0 op_sel:[0,1,0] op_sel_hi:[0,1,0]
	v_lshlrev_b64 v[14:15], 3, v[14:15]
	s_waitcnt lgkmcnt(0)
	v_fma_mix_f32 v10, v1, v16, v20 op_sel_hi:[0,1,0]
	v_fma_mix_f32 v20, v0, v11, 0 op_sel_hi:[0,1,0]
	v_fma_mix_f32 v11, v1, v16, v21 op_sel:[0,1,0] op_sel_hi:[0,1,0]
	v_add_lshl_u32 v16, v222, v19, 3
	v_add_co_u32 v14, vcc_lo, s0, v14
	s_delay_alu instid0(VALU_DEP_4)
	v_fma_mix_f32 v0, v1, v17, v20 op_sel_hi:[0,1,0]
	v_fma_mix_f32 v1, v1, v17, v22 op_sel:[0,1,0] op_sel_hi:[0,1,0]
	v_add_co_ci_u32_e32 v15, vcc_lo, s1, v15, vcc_lo
	s_clause 0x4
	global_store_b64 v[8:9], v[6:7], off offset:256
	global_store_b64 v18, v[4:5], s[0:1]
	global_store_b64 v[12:13], v[2:3], off offset:256
	global_store_b64 v16, v[10:11], s[0:1]
	global_store_b64 v[14:15], v[0:1], off offset:256
.LBB24_323:
	s_or_b32 exec_lo, exec_lo, s2
	s_waitcnt_vscnt null, 0x0
	s_barrier
	buffer_gl0_inv
	s_endpgm
	.section	.rodata,"a",@progbits
	.p2align	6, 0x0
	.amdhsa_kernel _ZL18flash_attn_ext_f16ILi128ELi128ELi8ELi4ELb0ELb0EEvPKcS1_S1_S1_S1_PKiPfP15HIP_vector_typeIfLj2EEffffjfiS5_IjLj3EEiiiiiiiiiiiliiliiiiil
		.amdhsa_group_segment_fixed_size 0
		.amdhsa_private_segment_fixed_size 840
		.amdhsa_kernarg_size 464
		.amdhsa_user_sgpr_count 15
		.amdhsa_user_sgpr_dispatch_ptr 0
		.amdhsa_user_sgpr_queue_ptr 0
		.amdhsa_user_sgpr_kernarg_segment_ptr 1
		.amdhsa_user_sgpr_dispatch_id 0
		.amdhsa_user_sgpr_private_segment_size 0
		.amdhsa_wavefront_size32 1
		.amdhsa_uses_dynamic_stack 0
		.amdhsa_enable_private_segment 1
		.amdhsa_system_sgpr_workgroup_id_x 1
		.amdhsa_system_sgpr_workgroup_id_y 0
		.amdhsa_system_sgpr_workgroup_id_z 0
		.amdhsa_system_sgpr_workgroup_info 0
		.amdhsa_system_vgpr_workitem_id 1
		.amdhsa_next_free_vgpr 256
		.amdhsa_next_free_sgpr 105
		.amdhsa_reserve_vcc 1
		.amdhsa_float_round_mode_32 0
		.amdhsa_float_round_mode_16_64 0
		.amdhsa_float_denorm_mode_32 3
		.amdhsa_float_denorm_mode_16_64 3
		.amdhsa_dx10_clamp 1
		.amdhsa_ieee_mode 1
		.amdhsa_fp16_overflow 0
		.amdhsa_workgroup_processor_mode 1
		.amdhsa_memory_ordered 1
		.amdhsa_forward_progress 0
		.amdhsa_shared_vgpr_count 0
		.amdhsa_exception_fp_ieee_invalid_op 0
		.amdhsa_exception_fp_denorm_src 0
		.amdhsa_exception_fp_ieee_div_zero 0
		.amdhsa_exception_fp_ieee_overflow 0
		.amdhsa_exception_fp_ieee_underflow 0
		.amdhsa_exception_fp_ieee_inexact 0
		.amdhsa_exception_int_div_zero 0
	.end_amdhsa_kernel
	.section	.text._ZL18flash_attn_ext_f16ILi128ELi128ELi8ELi4ELb0ELb0EEvPKcS1_S1_S1_S1_PKiPfP15HIP_vector_typeIfLj2EEffffjfiS5_IjLj3EEiiiiiiiiiiiliiliiiiil,"axG",@progbits,_ZL18flash_attn_ext_f16ILi128ELi128ELi8ELi4ELb0ELb0EEvPKcS1_S1_S1_S1_PKiPfP15HIP_vector_typeIfLj2EEffffjfiS5_IjLj3EEiiiiiiiiiiiliiliiiiil,comdat
.Lfunc_end24:
	.size	_ZL18flash_attn_ext_f16ILi128ELi128ELi8ELi4ELb0ELb0EEvPKcS1_S1_S1_S1_PKiPfP15HIP_vector_typeIfLj2EEffffjfiS5_IjLj3EEiiiiiiiiiiiliiliiiiil, .Lfunc_end24-_ZL18flash_attn_ext_f16ILi128ELi128ELi8ELi4ELb0ELb0EEvPKcS1_S1_S1_S1_PKiPfP15HIP_vector_typeIfLj2EEffffjfiS5_IjLj3EEiiiiiiiiiiiliiliiiiil
                                        ; -- End function
	.section	.AMDGPU.csdata,"",@progbits
; Kernel info:
; codeLenInByte = 91704
; NumSgprs: 107
; NumVgprs: 256
; ScratchSize: 840
; MemoryBound: 0
; FloatMode: 240
; IeeeMode: 1
; LDSByteSize: 0 bytes/workgroup (compile time only)
; SGPRBlocks: 13
; VGPRBlocks: 31
; NumSGPRsForWavesPerEU: 107
; NumVGPRsForWavesPerEU: 256
; Occupancy: 5
; WaveLimiterHint : 1
; COMPUTE_PGM_RSRC2:SCRATCH_EN: 1
; COMPUTE_PGM_RSRC2:USER_SGPR: 15
; COMPUTE_PGM_RSRC2:TRAP_HANDLER: 0
; COMPUTE_PGM_RSRC2:TGID_X_EN: 1
; COMPUTE_PGM_RSRC2:TGID_Y_EN: 0
; COMPUTE_PGM_RSRC2:TGID_Z_EN: 0
; COMPUTE_PGM_RSRC2:TIDIG_COMP_CNT: 1
	.section	.text._ZL18flash_attn_ext_f16ILi128ELi128ELi8ELi4ELb1ELb0EEvPKcS1_S1_S1_S1_PKiPfP15HIP_vector_typeIfLj2EEffffjfiS5_IjLj3EEiiiiiiiiiiiliiliiiiil,"axG",@progbits,_ZL18flash_attn_ext_f16ILi128ELi128ELi8ELi4ELb1ELb0EEvPKcS1_S1_S1_S1_PKiPfP15HIP_vector_typeIfLj2EEffffjfiS5_IjLj3EEiiiiiiiiiiiliiliiiiil,comdat
	.globl	_ZL18flash_attn_ext_f16ILi128ELi128ELi8ELi4ELb1ELb0EEvPKcS1_S1_S1_S1_PKiPfP15HIP_vector_typeIfLj2EEffffjfiS5_IjLj3EEiiiiiiiiiiiliiliiiiil ; -- Begin function _ZL18flash_attn_ext_f16ILi128ELi128ELi8ELi4ELb1ELb0EEvPKcS1_S1_S1_S1_PKiPfP15HIP_vector_typeIfLj2EEffffjfiS5_IjLj3EEiiiiiiiiiiiliiliiiiil
	.p2align	8
	.type	_ZL18flash_attn_ext_f16ILi128ELi128ELi8ELi4ELb1ELb0EEvPKcS1_S1_S1_S1_PKiPfP15HIP_vector_typeIfLj2EEffffjfiS5_IjLj3EEiiiiiiiiiiiliiliiiiil,@function
_ZL18flash_attn_ext_f16ILi128ELi128ELi8ELi4ELb1ELb0EEvPKcS1_S1_S1_S1_PKiPfP15HIP_vector_typeIfLj2EEffffjfiS5_IjLj3EEiiiiiiiiiiiliiliiiiil: ; @_ZL18flash_attn_ext_f16ILi128ELi128ELi8ELi4ELb1ELb0EEvPKcS1_S1_S1_S1_PKiPfP15HIP_vector_typeIfLj2EEffffjfiS5_IjLj3EEiiiiiiiiiiiliiliiiiil
; %bb.0:
	s_clause 0x2
	s_load_b64 s[2:3], s[0:1], 0x80
	s_load_b128 s[8:11], s[0:1], 0x64
	s_load_b32 s37, s[0:1], 0xd0
                                        ; implicit-def: $vgpr255 : SGPR spill to VGPR lane
	s_mov_b32 s36, s15
	s_waitcnt lgkmcnt(0)
	s_abs_i32 s4, s3
	s_abs_i32 s7, s9
	v_cvt_f32_u32_e32 v1, s4
	s_sub_i32 s6, 0, s4
	v_cvt_f32_u32_e32 v3, s37
	s_delay_alu instid0(VALU_DEP_2) | instskip(SKIP_2) | instid1(VALU_DEP_1)
	v_rcp_iflag_f32_e32 v1, v1
	s_waitcnt_depctr 0xfff
	v_mul_f32_e32 v1, 0x4f7ffffe, v1
	v_cvt_u32_f32_e32 v1, v1
	s_delay_alu instid0(VALU_DEP_1) | instskip(SKIP_1) | instid1(VALU_DEP_2)
	v_readfirstlane_b32 s5, v1
	v_cvt_f32_ubyte0_e32 v1, 0
	s_mul_i32 s6, s6, s5
	s_delay_alu instid0(SALU_CYCLE_1) | instskip(NEXT) | instid1(SALU_CYCLE_1)
	s_mul_hi_u32 s6, s5, s6
	s_add_i32 s5, s5, s6
	s_xor_b32 s6, s9, s3
	s_mul_hi_u32 s5, s7, s5
	s_ashr_i32 s6, s6, 31
	s_mul_i32 s12, s5, s4
	s_delay_alu instid0(SALU_CYCLE_1)
	s_sub_i32 s7, s7, s12
	s_add_i32 s12, s5, 1
	s_sub_i32 s13, s7, s4
	s_cmp_ge_u32 s7, s4
	s_cselect_b32 s5, s12, s5
	s_cselect_b32 s7, s13, s7
	s_add_i32 s12, s5, 1
	s_cmp_ge_u32 s7, s4
	s_cselect_b32 s4, s12, s5
	s_add_i32 s2, s2, 63
	s_xor_b32 s4, s4, s6
	s_add_i32 s5, s8, 7
	s_ashr_i32 s7, s2, 31
	s_sub_i32 s76, s4, s6
	s_lshr_b32 s77, s5, 3
	s_add_i32 s4, s76, 3
	s_lshr_b32 s5, s7, 26
	s_ashr_i32 s6, s4, 31
	s_add_i32 s2, s2, s5
	s_lshr_b32 s5, s6, 30
	s_ashr_i32 s81, s2, 6
	s_add_i32 s4, s4, s5
	s_mul_i32 s5, s77, s81
	s_ashr_i32 s2, s4, 2
	v_writelane_b32 v255, s5, 0
	s_mul_i32 s2, s5, s2
	s_delay_alu instid0(SALU_CYCLE_1) | instskip(SKIP_1) | instid1(SALU_CYCLE_1)
	v_writelane_b32 v255, s2, 1
	s_mul_i32 s2, s2, s3
	s_mul_i32 s4, s2, s10
	s_delay_alu instid0(SALU_CYCLE_1)
	s_ashr_i32 s5, s4, 31
	s_mul_hi_u32 s3, s4, s15
	s_mul_i32 s6, s5, s15
	v_writelane_b32 v255, s2, 2
	s_mov_b32 s2, 0
	s_add_i32 s3, s3, s6
	s_mul_i32 s6, s4, s15
	s_cmp_lg_u64 s[2:3], 0
	s_cbranch_scc0 .LBB25_563
; %bb.1:
	v_fmamk_f32 v2, v1, 0x4f800000, v3
	s_sub_u32 s12, 0, s37
	s_subb_u32 s13, 0, 0
	s_delay_alu instid0(VALU_DEP_1) | instskip(SKIP_2) | instid1(VALU_DEP_1)
	v_rcp_f32_e32 v2, v2
	s_waitcnt_depctr 0xfff
	v_mul_f32_e32 v2, 0x5f7ffffc, v2
	v_mul_f32_e32 v4, 0x2f800000, v2
	s_delay_alu instid0(VALU_DEP_1) | instskip(NEXT) | instid1(VALU_DEP_1)
	v_trunc_f32_e32 v4, v4
	v_fmamk_f32 v2, v4, 0xcf800000, v2
	v_cvt_u32_f32_e32 v4, v4
	s_delay_alu instid0(VALU_DEP_2) | instskip(NEXT) | instid1(VALU_DEP_2)
	v_cvt_u32_f32_e32 v2, v2
	v_readfirstlane_b32 s7, v4
	s_delay_alu instid0(VALU_DEP_2) | instskip(NEXT) | instid1(VALU_DEP_2)
	v_readfirstlane_b32 s10, v2
	s_mul_i32 s14, s12, s7
	s_delay_alu instid0(VALU_DEP_1)
	s_mul_hi_u32 s16, s12, s10
	s_mul_i32 s15, s13, s10
	s_add_i32 s14, s16, s14
	s_mul_i32 s17, s12, s10
	s_add_i32 s14, s14, s15
	s_mul_hi_u32 s16, s10, s17
	s_mul_hi_u32 s18, s7, s17
	s_mul_i32 s15, s7, s17
	s_mul_hi_u32 s17, s10, s14
	s_mul_i32 s10, s10, s14
	s_mul_hi_u32 s19, s7, s14
	s_add_u32 s10, s16, s10
	s_addc_u32 s16, 0, s17
	s_add_u32 s10, s10, s15
	s_mul_i32 s14, s7, s14
	s_addc_u32 s10, s16, s18
	s_addc_u32 s15, s19, 0
	s_add_u32 s10, s10, s14
	s_addc_u32 s14, 0, s15
	v_add_co_u32 v2, s10, v2, s10
	s_delay_alu instid0(VALU_DEP_1) | instskip(SKIP_1) | instid1(VALU_DEP_1)
	s_cmp_lg_u32 s10, 0
	s_addc_u32 s7, s7, s14
	v_readfirstlane_b32 s10, v2
	s_mul_i32 s14, s12, s7
	s_delay_alu instid0(VALU_DEP_1)
	s_mul_hi_u32 s15, s12, s10
	s_mul_i32 s13, s13, s10
	s_add_i32 s14, s15, s14
	s_mul_i32 s12, s12, s10
	s_add_i32 s14, s14, s13
	s_mul_hi_u32 s15, s7, s12
	s_mul_i32 s16, s7, s12
	s_mul_hi_u32 s12, s10, s12
	s_mul_hi_u32 s17, s10, s14
	s_mul_i32 s10, s10, s14
	s_mul_hi_u32 s13, s7, s14
	s_add_u32 s10, s12, s10
	s_addc_u32 s12, 0, s17
	s_add_u32 s10, s10, s16
	s_mul_i32 s14, s7, s14
	s_addc_u32 s10, s12, s15
	s_addc_u32 s12, s13, 0
	s_add_u32 s10, s10, s14
	s_addc_u32 s12, 0, s12
	v_add_co_u32 v2, s10, v2, s10
	s_delay_alu instid0(VALU_DEP_1) | instskip(SKIP_2) | instid1(SALU_CYCLE_1)
	s_cmp_lg_u32 s10, 0
	s_addc_u32 s7, s7, s12
	s_ashr_i32 s12, s3, 31
	s_add_u32 s14, s6, s12
	s_addc_u32 s15, s3, s12
	v_readfirstlane_b32 s3, v2
	s_mov_b32 s13, s12
	s_delay_alu instid0(SALU_CYCLE_1) | instskip(NEXT) | instid1(SALU_CYCLE_1)
	s_xor_b64 s[14:15], s[14:15], s[12:13]
	s_mul_i32 s16, s14, s7
	s_delay_alu instid0(VALU_DEP_1)
	s_mul_hi_u32 s17, s14, s3
	s_mul_hi_u32 s10, s14, s7
	;; [unrolled: 1-line block ×3, first 2 shown]
	s_mul_i32 s3, s15, s3
	s_add_u32 s16, s17, s16
	s_addc_u32 s10, 0, s10
	s_mul_hi_u32 s18, s15, s7
	s_add_u32 s3, s16, s3
	s_mul_i32 s7, s15, s7
	s_addc_u32 s3, s10, s19
	s_addc_u32 s10, s18, 0
	s_add_u32 s3, s3, s7
	s_addc_u32 s7, 0, s10
	s_mul_i32 s16, s37, s3
	s_add_u32 s10, s3, 1
	v_sub_co_u32 v2, s14, s14, s16
	s_mul_hi_u32 s16, s37, s3
	s_addc_u32 s17, s7, 0
	s_mul_i32 s18, s37, s7
	s_delay_alu instid0(VALU_DEP_1)
	v_sub_co_u32 v4, s19, v2, s37
	s_add_u32 s20, s3, 2
	s_addc_u32 s21, s7, 0
	s_add_i32 s16, s16, s18
	s_cmp_lg_u32 s14, 0
	v_readfirstlane_b32 s14, v4
	s_subb_u32 s15, s15, s16
	s_cmp_lg_u32 s19, 0
	s_subb_u32 s16, s15, 0
	s_delay_alu instid0(VALU_DEP_1) | instskip(SKIP_4) | instid1(SALU_CYCLE_1)
	s_cmp_ge_u32 s14, s37
	s_cselect_b32 s14, -1, 0
	s_cmp_eq_u32 s16, 0
	v_readfirstlane_b32 s16, v2
	s_cselect_b32 s14, s14, -1
	s_cmp_lg_u32 s14, 0
	s_cselect_b32 s10, s20, s10
	s_cselect_b32 s14, s21, s17
	s_cmp_ge_u32 s16, s37
	s_cselect_b32 s16, -1, 0
	s_cmp_eq_u32 s15, 0
	s_cselect_b32 s15, s16, -1
	s_delay_alu instid0(SALU_CYCLE_1) | instskip(SKIP_2) | instid1(SALU_CYCLE_1)
	s_cmp_lg_u32 s15, 0
	s_cselect_b32 s15, s14, s7
	s_cselect_b32 s14, s10, s3
	s_xor_b64 s[14:15], s[14:15], s[12:13]
	s_delay_alu instid0(SALU_CYCLE_1)
	s_sub_u32 s58, s14, s12
	s_load_b64 s[56:57], s[0:1], 0x74
	v_cvt_f32_u32_e32 v2, s37
	s_and_not1_b32 vcc_lo, exec_lo, s2
	s_cbranch_vccnz .LBB25_3
.LBB25_2:
	s_delay_alu instid0(VALU_DEP_1) | instskip(SKIP_3) | instid1(VALU_DEP_1)
	v_rcp_iflag_f32_e32 v4, v2
	s_sub_i32 s3, 0, s37
	s_waitcnt_depctr 0xfff
	v_mul_f32_e32 v4, 0x4f7ffffe, v4
	v_cvt_u32_f32_e32 v4, v4
	s_delay_alu instid0(VALU_DEP_1) | instskip(NEXT) | instid1(VALU_DEP_1)
	v_readfirstlane_b32 s2, v4
	s_mul_i32 s3, s3, s2
	s_delay_alu instid0(SALU_CYCLE_1) | instskip(NEXT) | instid1(SALU_CYCLE_1)
	s_mul_hi_u32 s3, s2, s3
	s_add_i32 s2, s2, s3
	s_delay_alu instid0(SALU_CYCLE_1) | instskip(NEXT) | instid1(SALU_CYCLE_1)
	s_mul_hi_u32 s2, s6, s2
	s_mul_i32 s3, s2, s37
	s_delay_alu instid0(SALU_CYCLE_1)
	s_sub_i32 s3, s6, s3
	s_add_i32 s6, s2, 1
	s_sub_i32 s7, s3, s37
	s_cmp_ge_u32 s3, s37
	s_cselect_b32 s2, s6, s2
	s_cselect_b32 s3, s7, s3
	s_add_i32 s6, s2, 1
	s_cmp_ge_u32 s3, s37
	s_cselect_b32 s58, s6, s2
.LBB25_3:
	s_add_i32 s6, s36, 1
	s_delay_alu instid0(SALU_CYCLE_1) | instskip(SKIP_4) | instid1(SALU_CYCLE_1)
	s_mul_i32 s2, s5, s6
	s_mul_hi_u32 s3, s4, s6
	s_mul_i32 s4, s4, s6
	s_add_i32 s3, s3, s2
	s_mov_b32 s2, 0
	s_cmp_lg_u64 s[2:3], 0
	s_cbranch_scc0 .LBB25_564
; %bb.4:
	v_fmamk_f32 v1, v1, 0x4f800000, v3
	s_sub_u32 s7, 0, s37
	s_subb_u32 s10, 0, 0
	s_delay_alu instid0(VALU_DEP_1) | instskip(SKIP_2) | instid1(VALU_DEP_1)
	v_rcp_f32_e32 v1, v1
	s_waitcnt_depctr 0xfff
	v_mul_f32_e32 v1, 0x5f7ffffc, v1
	v_mul_f32_e32 v3, 0x2f800000, v1
	s_delay_alu instid0(VALU_DEP_1) | instskip(NEXT) | instid1(VALU_DEP_1)
	v_trunc_f32_e32 v3, v3
	v_fmamk_f32 v1, v3, 0xcf800000, v1
	v_cvt_u32_f32_e32 v3, v3
	s_delay_alu instid0(VALU_DEP_2) | instskip(NEXT) | instid1(VALU_DEP_2)
	v_cvt_u32_f32_e32 v1, v1
	v_readfirstlane_b32 s5, v3
	s_delay_alu instid0(VALU_DEP_2) | instskip(NEXT) | instid1(VALU_DEP_2)
	v_readfirstlane_b32 s6, v1
	s_mul_i32 s12, s7, s5
	s_delay_alu instid0(VALU_DEP_1)
	s_mul_hi_u32 s14, s7, s6
	s_mul_i32 s13, s10, s6
	s_add_i32 s12, s14, s12
	s_mul_i32 s15, s7, s6
	s_add_i32 s12, s12, s13
	s_mul_hi_u32 s14, s6, s15
	s_mul_hi_u32 s16, s5, s15
	s_mul_i32 s13, s5, s15
	s_mul_hi_u32 s15, s6, s12
	s_mul_i32 s6, s6, s12
	s_mul_hi_u32 s17, s5, s12
	s_add_u32 s6, s14, s6
	s_addc_u32 s14, 0, s15
	s_add_u32 s6, s6, s13
	s_mul_i32 s12, s5, s12
	s_addc_u32 s6, s14, s16
	s_addc_u32 s13, s17, 0
	s_add_u32 s6, s6, s12
	s_addc_u32 s12, 0, s13
	v_add_co_u32 v1, s6, v1, s6
	s_delay_alu instid0(VALU_DEP_1) | instskip(SKIP_1) | instid1(VALU_DEP_1)
	s_cmp_lg_u32 s6, 0
	s_addc_u32 s5, s5, s12
	v_readfirstlane_b32 s6, v1
	s_mul_i32 s12, s7, s5
	s_delay_alu instid0(VALU_DEP_1)
	s_mul_hi_u32 s13, s7, s6
	s_mul_i32 s10, s10, s6
	s_add_i32 s12, s13, s12
	s_mul_i32 s7, s7, s6
	s_add_i32 s12, s12, s10
	s_mul_hi_u32 s13, s5, s7
	s_mul_i32 s14, s5, s7
	s_mul_hi_u32 s7, s6, s7
	s_mul_hi_u32 s15, s6, s12
	s_mul_i32 s6, s6, s12
	s_mul_hi_u32 s10, s5, s12
	s_add_u32 s6, s7, s6
	s_addc_u32 s7, 0, s15
	s_add_u32 s6, s6, s14
	s_mul_i32 s12, s5, s12
	s_addc_u32 s6, s7, s13
	s_addc_u32 s7, s10, 0
	s_add_u32 s6, s6, s12
	s_addc_u32 s7, 0, s7
	v_add_co_u32 v1, s6, v1, s6
	s_delay_alu instid0(VALU_DEP_1) | instskip(SKIP_2) | instid1(SALU_CYCLE_1)
	s_cmp_lg_u32 s6, 0
	s_addc_u32 s5, s5, s7
	s_ashr_i32 s6, s3, 31
	s_add_u32 s12, s4, s6
	s_addc_u32 s13, s3, s6
	v_readfirstlane_b32 s3, v1
	s_mov_b32 s7, s6
	s_delay_alu instid0(SALU_CYCLE_1) | instskip(NEXT) | instid1(SALU_CYCLE_1)
	s_xor_b64 s[12:13], s[12:13], s[6:7]
	s_mul_i32 s14, s12, s5
	s_delay_alu instid0(VALU_DEP_1)
	s_mul_hi_u32 s15, s12, s3
	s_mul_hi_u32 s10, s12, s5
	;; [unrolled: 1-line block ×3, first 2 shown]
	s_mul_i32 s3, s13, s3
	s_add_u32 s14, s15, s14
	s_addc_u32 s10, 0, s10
	s_mul_hi_u32 s16, s13, s5
	s_add_u32 s3, s14, s3
	s_mul_i32 s5, s13, s5
	s_addc_u32 s3, s10, s17
	s_addc_u32 s10, s16, 0
	s_add_u32 s3, s3, s5
	s_addc_u32 s5, 0, s10
	s_mul_i32 s14, s37, s3
	s_add_u32 s10, s3, 1
	v_sub_co_u32 v1, s12, s12, s14
	s_mul_hi_u32 s14, s37, s3
	s_addc_u32 s15, s5, 0
	s_mul_i32 s16, s37, s5
	s_delay_alu instid0(VALU_DEP_1)
	v_sub_co_u32 v3, s17, v1, s37
	s_add_u32 s18, s3, 2
	s_addc_u32 s19, s5, 0
	s_add_i32 s14, s14, s16
	s_cmp_lg_u32 s12, 0
	v_readfirstlane_b32 s12, v3
	s_subb_u32 s13, s13, s14
	s_cmp_lg_u32 s17, 0
	s_subb_u32 s14, s13, 0
	s_delay_alu instid0(VALU_DEP_1) | instskip(SKIP_4) | instid1(SALU_CYCLE_1)
	s_cmp_ge_u32 s12, s37
	s_cselect_b32 s12, -1, 0
	s_cmp_eq_u32 s14, 0
	v_readfirstlane_b32 s14, v1
	s_cselect_b32 s12, s12, -1
	s_cmp_lg_u32 s12, 0
	s_cselect_b32 s10, s18, s10
	s_cselect_b32 s12, s19, s15
	s_cmp_ge_u32 s14, s37
	s_cselect_b32 s14, -1, 0
	s_cmp_eq_u32 s13, 0
	s_cselect_b32 s13, s14, -1
	s_delay_alu instid0(SALU_CYCLE_1) | instskip(SKIP_2) | instid1(SALU_CYCLE_1)
	s_cmp_lg_u32 s13, 0
	s_cselect_b32 s13, s12, s5
	s_cselect_b32 s12, s10, s3
	s_xor_b64 s[12:13], s[12:13], s[6:7]
	s_delay_alu instid0(SALU_CYCLE_1)
	s_sub_u32 s62, s12, s6
	s_load_b64 s[34:35], s[0:1], 0x5c
	s_and_not1_b32 vcc_lo, exec_lo, s2
	s_cbranch_vccnz .LBB25_6
.LBB25_5:
	v_rcp_iflag_f32_e32 v1, v2
	s_sub_i32 s3, 0, s37
	s_waitcnt_depctr 0xfff
	v_mul_f32_e32 v1, 0x4f7ffffe, v1
	s_delay_alu instid0(VALU_DEP_1) | instskip(NEXT) | instid1(VALU_DEP_1)
	v_cvt_u32_f32_e32 v1, v1
	v_readfirstlane_b32 s2, v1
	s_delay_alu instid0(VALU_DEP_1) | instskip(NEXT) | instid1(SALU_CYCLE_1)
	s_mul_i32 s3, s3, s2
	s_mul_hi_u32 s3, s2, s3
	s_delay_alu instid0(SALU_CYCLE_1) | instskip(NEXT) | instid1(SALU_CYCLE_1)
	s_add_i32 s2, s2, s3
	s_mul_hi_u32 s2, s4, s2
	s_delay_alu instid0(SALU_CYCLE_1) | instskip(NEXT) | instid1(SALU_CYCLE_1)
	s_mul_i32 s3, s2, s37
	s_sub_i32 s3, s4, s3
	s_add_i32 s4, s2, 1
	s_sub_i32 s5, s3, s37
	s_cmp_ge_u32 s3, s37
	s_cselect_b32 s2, s4, s2
	s_cselect_b32 s3, s5, s3
	s_add_i32 s4, s2, 1
	s_cmp_ge_u32 s3, s37
	s_cselect_b32 s62, s4, s2
.LBB25_6:
	s_abs_i32 s82, s81
	v_bfe_u32 v96, v0, 10, 10
	v_cvt_f32_u32_e32 v1, s82
	s_clause 0x7
	s_load_b32 s2, s[0:1], 0x40
	s_load_b32 s33, s[0:1], 0x54
	s_load_b64 s[90:91], s[0:1], 0x8c
	s_load_b64 s[50:51], s[0:1], 0xa8
	;; [unrolled: 1-line block ×3, first 2 shown]
	s_load_b128 s[44:47], s[0:1], 0x98
	s_load_b64 s[52:53], s[0:1], 0xc8
	s_load_b512 s[16:31], s[0:1], 0x0
	s_sub_i32 s1, 0, s82
	v_rcp_iflag_f32_e32 v1, v1
	s_abs_i32 s3, s58
	s_ashr_i32 s59, s11, 3
	s_waitcnt lgkmcnt(0)
	s_ashr_i32 s42, s56, 3
	s_ashr_i32 s0, s58, 31
	;; [unrolled: 1-line block ×3, first 2 shown]
	v_and_b32_e32 v209, 0x3ff, v0
	v_lshrrev_b32_e32 v0, 2, v96
	v_add_nc_u32_e32 v97, 4, v96
	v_and_b32_e32 v71, 1, v96
	s_waitcnt_depctr 0xfff
	v_dual_mul_f32 v1, 0x4f7ffffe, v1 :: v_dual_lshlrev_b32 v70, 3, v96
	scratch_store_b32 off, v0, off offset:184 ; 4-byte Folded Spill
	v_cvt_f16_f32_e32 v0, s2
	s_ashr_i32 s12, s90, 2
	v_cvt_u32_f32_e32 v1, v1
	s_ashr_i32 s48, s15, 1
	s_ashr_i32 s10, s46, 2
	v_and_b32_e32 v72, 3, v96
	v_add_nc_u32_e32 v78, 8, v96
	v_readfirstlane_b32 s84, v1
	v_add_nc_u32_e32 v77, 12, v96
	v_add_nc_u32_e32 v76, 16, v96
	;; [unrolled: 1-line block ×4, first 2 shown]
	s_mul_i32 s1, s1, s84
	v_pack_b32_f16 v0, v0, v0
	s_mul_hi_u32 s1, s84, s1
	v_add_nc_u32_e32 v73, 28, v96
	s_add_i32 s84, s84, s1
	s_mov_b32 s65, 0
	s_mul_hi_u32 s1, s3, s84
	scratch_store_b32 off, v0, off offset:156 ; 4-byte Folded Spill
	s_mul_i32 s1, s1, s82
	s_clause 0x2
	scratch_store_b32 off, v96, off offset:176
	scratch_store_b32 off, v70, off offset:476
	;; [unrolled: 1-line block ×3, first 2 shown]
	s_sub_i32 s1, s3, s1
	s_delay_alu instid0(SALU_CYCLE_1) | instskip(SKIP_2) | instid1(SALU_CYCLE_1)
	s_sub_i32 s3, s1, s82
	s_cmp_ge_u32 s1, s82
	s_cselect_b32 s1, s3, s1
	s_sub_i32 s3, s1, s82
	s_cmp_ge_u32 s1, s82
	s_cselect_b32 s1, s3, s1
	s_sub_i32 s3, s62, s58
	s_xor_b32 s1, s1, s0
	s_delay_alu instid0(SALU_CYCLE_1) | instskip(NEXT) | instid1(SALU_CYCLE_1)
	s_sub_i32 s102, s1, s0
	s_add_i32 s0, s3, s102
	s_delay_alu instid0(SALU_CYCLE_1)
	s_min_i32 s101, s81, s0
	s_cmp_gt_i32 s62, s58
	s_cselect_b32 s3, -1, 0
	s_cmp_le_i32 s62, s58
	s_cselect_b32 s1, -1, 0
	s_cmp_gt_i32 s81, s0
	s_cselect_b32 s0, -1, 0
	s_delay_alu instid0(SALU_CYCLE_1) | instskip(NEXT) | instid1(SALU_CYCLE_1)
	s_or_b32 s0, s0, s1
	s_and_b32 vcc_lo, exec_lo, s0
	s_cbranch_vccz .LBB25_9
; %bb.7:
	s_and_not1_b32 vcc_lo, exec_lo, s3
	s_cbranch_vccz .LBB25_527
.LBB25_8:
	s_endpgm
.LBB25_9:
	v_and_b32_e32 v27, 8, v70
	v_lshrrev_b32_e32 v241, 4, v209
	v_and_b32_e32 v33, 15, v209
	v_and_b32_e32 v1, 0x3f0, v70
	v_lshlrev_b32_e32 v36, 4, v96
	v_mul_u32_u24_e32 v31, 0x220, v27
	v_lshl_add_u32 v3, v96, 1, v241
	v_lshlrev_b32_e32 v35, 2, v33
	v_lshrrev_b32_e32 v40, 1, v96
	s_cmp_eq_u64 s[24:25], 0
	v_add3_u32 v37, 0, 64, v31
	v_mul_lo_u32 v0, s12, v3
	v_mul_lo_u32 v16, s10, v3
	v_lshlrev_b32_e32 v32, 2, v209
	v_mad_u32_u24 v2, 0x110, v1, 0
	v_and_b32_e32 v5, 16, v36
	v_add3_u32 v248, v37, v35, 0x2200
	v_add_nc_u32_e32 v37, 4, v40
	s_cselect_b32 s54, -1, 0
	s_cmp_lg_u64 s[26:27], 0
	v_add_nc_u32_e32 v79, 0, v32
	s_cselect_b32 s61, -1, 0
	s_lshl_b32 s0, s12, 3
	s_lshl_b32 s1, s10, 3
	v_mul_u32_u24_e32 v6, 0x110, v5
	v_add_nc_u32_e32 v18, s1, v16
	v_lshlrev_b32_e32 v41, 1, v37
	v_and_b32_e32 v42, 15, v37
	v_lshrrev_b32_e32 v37, 2, v37
	scratch_store_b32 off, v2, off offset:192 ; 4-byte Folded Spill
	v_add_nc_u32_e32 v2, s0, v0
	v_add_nc_u32_e32 v20, s1, v18
	v_add3_u32 v38, 0, 0x80, v31
	s_clause 0x1
	scratch_store_b32 off, v6, off offset:8
	scratch_store_b32 off, v79, off
	v_add_nc_u32_e32 v4, s0, v2
	v_add_nc_u32_e32 v22, s1, v20
	v_add3_u32 v249, v38, v35, 0x2200
	v_add_nc_u32_e32 v38, 6, v40
	v_add3_u32 v39, 0, 0xc0, v31
	v_add_nc_u32_e32 v6, s0, v4
	v_add_nc_u32_e32 v24, s1, v22
	v_add3_u32 v247, 0, v31, v35
	v_lshlrev_b32_e32 v43, 1, v38
	v_and_b32_e32 v44, 15, v38
	v_add_nc_u32_e32 v8, s0, v6
	v_add_nc_u32_e32 v26, s1, v24
	v_add3_u32 v250, v39, v35, 0x2200
	v_add_nc_u32_e32 v35, 2, v40
	v_and_or_b32 v41, 0xe0, v41, v42
	v_add_nc_u32_e32 v10, s0, v8
	v_and_or_b32 v42, 0xe0, v43, v44
	v_add_nc_u32_e32 v43, 10, v40
	v_add_nc_u32_e32 v44, 12, v40
	;; [unrolled: 1-line block ×3, first 2 shown]
	v_writelane_b32 v255, s37, 3
	v_add_nc_u32_e32 v12, s0, v10
	v_add_nc_u32_e32 v28, s1, v26
	v_lshlrev_b32_e32 v31, 1, v35
	v_and_b32_e32 v39, 15, v35
	v_add_nc_u32_e32 v45, 8, v40
	v_lshlrev_b32_e32 v48, 1, v43
	v_and_b32_e32 v49, 15, v43
	v_lshlrev_b32_e32 v50, 1, v44
	v_and_b32_e32 v51, 15, v44
	;; [unrolled: 2-line block ×3, first 2 shown]
	s_lshl_b32 s64, s36, 5
	v_writelane_b32 v255, s36, 4
	v_add_nc_u32_e32 v14, s0, v12
	v_add_nc_u32_e32 v30, s1, v28
	s_lshl_b64 s[0:1], s[64:65], 3
	s_ashr_i32 s49, s48, 31
	s_ashr_i32 s13, s12, 31
	;; [unrolled: 1-line block ×3, first 2 shown]
	v_and_or_b32 v39, 0xe0, v31, v39
	v_lshlrev_b32_e32 v31, 1, v45
	v_and_b32_e32 v46, 15, v45
	v_add_nc_u32_e32 v54, 18, v40
	v_and_or_b32 v48, 0xe0, v48, v49
	v_and_or_b32 v49, 0xe0, v50, v51
	;; [unrolled: 1-line block ×3, first 2 shown]
	v_add_nc_u32_e32 v51, 20, v40
	v_add_nc_u32_e32 v52, 22, v40
	;; [unrolled: 1-line block ×3, first 2 shown]
	s_add_u32 s3, s30, s0
	s_mov_b32 s0, s14
	s_addc_u32 s4, s31, s1
	v_readlane_b32 s36, v255, 2
	v_writelane_b32 v255, s0, 5
	v_and_or_b32 v46, 0xe0, v31, v46
	v_lshlrev_b32_e32 v31, 1, v54
	v_and_b32_e32 v53, 15, v54
	v_lshlrev_b32_e32 v56, 1, v51
	v_and_b32_e32 v57, 15, v51
	;; [unrolled: 2-line block ×4, first 2 shown]
	v_add_nc_u32_e32 v62, 26, v40
	s_abs_i32 s85, s36
	v_writelane_b32 v255, s1, 6
	s_abs_i32 s86, s14
	v_and_or_b32 v53, 0xe0, v31, v53
	v_and_or_b32 v56, 0xe0, v56, v57
	;; [unrolled: 1-line block ×4, first 2 shown]
	v_lshlrev_b32_e32 v31, 1, v62
	v_and_b32_e32 v60, 15, v62
	v_cvt_f32_u32_e32 v61, s85
	v_cvt_f32_u32_e32 v64, s86
	v_readlane_b32 s15, v255, 1
	s_mul_i32 s14, s77, s81
	v_and_or_b32 v60, 0xe0, v31, v60
	v_rcp_iflag_f32_e32 v61, v61
	v_rcp_iflag_f32_e32 v31, v64
	s_abs_i32 s87, s15
	s_abs_i32 s88, s14
	v_cvt_f32_u32_e32 v64, s87
	v_add_nc_u32_e32 v59, 28, v40
	v_cvt_f32_u32_e32 v67, s88
	v_add_nc_u32_e32 v66, 30, v40
	s_sub_i32 s1, 0, s86
	v_rcp_iflag_f32_e32 v64, v64
	v_mul_f32_e32 v61, 0x4f7ffffe, v61
	v_mul_f32_e32 v69, 0x4f7ffffe, v31
	v_lshlrev_b32_e32 v63, 1, v59
	v_and_b32_e32 v65, 15, v59
	v_rcp_iflag_f32_e32 v67, v67
	v_cvt_u32_f32_e32 v61, v61
	v_cvt_u32_f32_e32 v69, v69
	v_and_b32_e32 v68, 15, v66
	v_and_or_b32 v63, 0xe0, v63, v65
	v_lshlrev_b32_e32 v65, 1, v66
	v_readfirstlane_b32 s5, v61
	v_mul_f32_e32 v61, 0x4f7ffffe, v64
	v_mul_lo_u32 v64, s1, v69
	scratch_store_b32 off, v37, off offset:464 ; 4-byte Folded Spill
	v_and_or_b32 v65, 0xe0, v65, v68
	v_mul_f32_e32 v67, 0x4f7ffffe, v67
	v_or_b32_e32 v68, v70, v209
	v_cvt_u32_f32_e32 v61, v61
	v_mul_u32_u24_e32 v37, 0x44, v41
	v_add_nc_u32_e32 v40, 16, v40
	v_mul_hi_u32 v64, v69, v64
	v_cvt_u32_f32_e32 v67, v67
	v_lshlrev_b32_e32 v68, 3, v68
	v_readfirstlane_b32 s6, v61
	v_or_b32_e32 v61, v36, v33
	v_lshl_add_u32 v37, v37, 2, v79
	v_readfirstlane_b32 s7, v67
	v_add_co_u32 v67, s3, s3, v68
	s_delay_alu instid0(VALU_DEP_1)
	v_add_co_ci_u32_e64 v68, null, s4, 0, s3
	v_add_nc_u32_e32 v64, v69, v64
	v_mad_u32_u24 v61, 0x44, v61, v241
	v_add_nc_u32_e32 v69, 32, v209
	scratch_store_b64 off, v[67:68], off offset:444 ; 8-byte Folded Spill
	v_mul_u32_u24_e32 v67, 0x44, v96
	scratch_store_b32 off, v64, off offset:240 ; 4-byte Folded Spill
	v_or_b32_e32 v64, v36, v209
	v_add_nc_u32_e32 v36, v36, v209
	v_bfe_u32 v68, v96, 1, 4
	v_lshl_add_u32 v70, v67, 2, v79
	scratch_store_b32 off, v37, off offset:488 ; 4-byte Folded Spill
	v_mul_u32_u24_e32 v64, 0x110, v64
	v_mul_u32_u24_e32 v36, 0x110, v36
	v_and_or_b32 v67, 0x60, v96, v68
	v_and_b32_e32 v34, 60, v32
	v_and_or_b32 v1, v209, 12, v1
	v_mul_u32_u24_e32 v3, 0x110, v3
	scratch_store_b32 off, v36, off offset:272 ; 4-byte Folded Spill
	v_lshl_add_u32 v36, v61, 2, 0
	v_mul_u32_u24_e32 v61, 0x44, v67
	v_lshlrev_b32_e32 v9, 2, v34
	v_lshrrev_b32_e32 v1, 2, v1
	v_lshlrev_b32_e32 v7, 1, v241
	scratch_store_b32 off, v36, off offset:200 ; 4-byte Folded Spill
	v_lshl_add_u32 v61, v61, 2, v79
	scratch_store_b32 off, v64, off offset:268 ; 4-byte Folded Spill
	v_lshlrev_b32_e32 v64, 1, v40
	v_add3_u32 v245, 0, v3, v9
	v_mad_u32_u24 v3, 0x90, v1, 0
	scratch_store_b32 off, v61, off offset:296 ; 4-byte Folded Spill
	v_ashrrev_i32_e32 v1, 31, v0
	v_and_or_b32 v36, 0xe0, v64, v68
	v_mad_u32_u24 v64, 0x44, v67, v69
	v_mul_u32_u24_e32 v67, 0x110, v67
	v_mad_u32_u24 v68, 0x44, v39, v69
	v_lshlrev_b32_e32 v5, 1, v5
	s_sub_i32 s3, 0, s85
	v_lshl_add_u32 v61, v64, 2, 0
	scratch_store_b32 off, v67, off offset:292 ; 4-byte Folded Spill
	v_mul_u32_u24_e32 v67, 0x44, v39
	v_mul_u32_u24_e32 v39, 0x110, v39
	v_add3_u32 v246, v3, v7, v5
	scratch_store_b32 off, v61, off offset:300 ; 4-byte Folded Spill
	v_mad_u32_u24 v61, 0x44, v42, v69
	v_ashrrev_i32_e32 v3, 31, v2
	scratch_store_b32 off, v39, off offset:452 ; 4-byte Folded Spill
	v_lshl_add_u32 v39, v67, 2, v79
	s_mul_i32 s3, s3, s5
	s_sub_i32 s4, 0, s88
	s_mul_hi_u32 s3, s5, s3
	s_mul_i32 s4, s4, s7
	scratch_store_b32 off, v39, off offset:456 ; 4-byte Folded Spill
	v_lshl_add_u32 v39, v68, 2, 0
	s_add_i32 s90, s5, s3
	s_sub_i32 s3, 0, s87
	v_ashrrev_i32_e32 v17, 31, v16
	s_mul_i32 s3, s3, s6
	scratch_store_b32 off, v39, off offset:460 ; 4-byte Folded Spill
	v_mad_u32_u24 v39, 0x44, v41, v69
	v_mul_u32_u24_e32 v41, 0x110, v41
	s_mul_hi_u32 s3, s6, s3
	v_lshlrev_b64 v[16:17], 2, v[16:17]
	s_add_i32 s92, s6, s3
	v_lshl_add_u32 v37, v39, 2, 0
	scratch_store_b32 off, v41, off offset:484 ; 4-byte Folded Spill
	v_mul_u32_u24_e32 v41, 0x44, v42
	v_mad_u32_u24 v39, 0x44, v46, v69
	s_mul_hi_u32 s3, s7, s4
	scratch_store_b32 off, v37, off offset:492 ; 4-byte Folded Spill
	v_mul_u32_u24_e32 v37, 0x110, v42
	v_mad_u32_u24 v42, 0x44, v48, v69
	s_add_i32 s94, s7, s3
	v_ashrrev_i32_e32 v19, 31, v18
	v_ashrrev_i32_e32 v21, 31, v20
	scratch_store_b32 off, v37, off offset:500 ; 4-byte Folded Spill
	v_lshl_add_u32 v37, v41, 2, v79
	v_mul_u32_u24_e32 v41, 0x110, v46
	v_lshlrev_b64 v[18:19], 2, v[18:19]
	v_lshlrev_b64 v[20:21], 2, v[20:21]
	v_ashrrev_i32_e32 v23, 31, v22
	scratch_store_b32 off, v37, off offset:504 ; 4-byte Folded Spill
	v_lshl_add_u32 v37, v61, 2, 0
	v_ashrrev_i32_e32 v25, 31, v24
	v_ashrrev_i32_e32 v27, 31, v26
	v_lshlrev_b64 v[22:23], 2, v[22:23]
	v_ashrrev_i32_e32 v29, 31, v28
	scratch_store_b32 off, v37, off offset:508 ; 4-byte Folded Spill
	v_lshrrev_b32_e32 v37, 2, v45
	v_lshlrev_b64 v[24:25], 2, v[24:25]
	v_lshlrev_b64 v[26:27], 2, v[26:27]
	;; [unrolled: 1-line block ×3, first 2 shown]
	v_ashrrev_i32_e32 v31, 31, v30
	scratch_store_b32 off, v37, off offset:512 ; 4-byte Folded Spill
	v_mul_u32_u24_e32 v37, 0x44, v46
	v_ashrrev_i32_e32 v5, 31, v4
	v_ashrrev_i32_e32 v7, 31, v6
	v_lshlrev_b64 v[30:31], 2, v[30:31]
	v_ashrrev_i32_e32 v9, 31, v8
	v_lshl_add_u32 v37, v37, 2, v79
	scratch_store_b32 off, v41, off offset:548 ; 4-byte Folded Spill
	v_mul_u32_u24_e32 v41, 0x44, v48
	v_ashrrev_i32_e32 v11, 31, v10
	v_ashrrev_i32_e32 v13, 31, v12
	scratch_store_b32 off, v37, off offset:552 ; 4-byte Folded Spill
	v_lshl_add_u32 v37, v39, 2, 0
	v_mad_u32_u24 v39, 0x44, v49, v69
	v_ashrrev_i32_e32 v15, 31, v14
	s_lshl_b64 s[4:5], s[48:49], 1
	v_cmp_eq_u32_e64 s0, 0, v71
	scratch_store_b32 off, v37, off offset:556 ; 4-byte Folded Spill
	v_mul_u32_u24_e32 v37, 0x110, v48
	v_writelane_b32 v255, s4, 7
	v_cmp_eq_u32_e64 s1, 1, v71
	v_cmp_gt_u32_e64 s2, 16, v209
	v_lshlrev_b32_e32 v213, 4, v33
	scratch_store_b32 off, v37, off offset:564 ; 4-byte Folded Spill
	v_lshl_add_u32 v37, v41, 2, v79
	v_mul_u32_u24_e32 v41, 0x110, v49
	v_writelane_b32 v255, s5, 8
	v_lshlrev_b32_e32 v234, 2, v34
	v_add_nc_u32_e32 v238, 0x880, v245
	scratch_store_b32 off, v37, off offset:568 ; 4-byte Folded Spill
	v_lshl_add_u32 v37, v42, 2, 0
	v_mad_u32_u24 v42, 0x44, v50, v69
	v_add_nc_u32_e32 v239, 0x1100, v245
	v_add_nc_u32_e32 v216, 0x1980, v245
	;; [unrolled: 1-line block ×3, first 2 shown]
	scratch_store_b32 off, v37, off offset:572 ; 4-byte Folded Spill
	v_lshrrev_b32_e32 v37, 2, v44
	v_add_nc_u32_e32 v212, 0x2a80, v245
	v_add_nc_u32_e32 v229, 0x3300, v245
	;; [unrolled: 1-line block ×4, first 2 shown]
	scratch_store_b32 off, v37, off offset:576 ; 4-byte Folded Spill
	v_mul_u32_u24_e32 v37, 0x44, v49
	v_xor_b32_e32 v177, 1, v241
	v_add_nc_u32_e32 v253, 0x2200, v247
	v_add_nc_u32_e32 v254, 64, v247
	;; [unrolled: 1-line block ×3, first 2 shown]
	v_lshl_add_u32 v37, v37, 2, v79
	scratch_store_b32 off, v41, off offset:588 ; 4-byte Folded Spill
	v_mul_u32_u24_e32 v41, 0x44, v50
	v_add_nc_u32_e32 v218, 0xc0, v247
	v_writelane_b32 v255, s42, 9
	scratch_store_b32 off, v37, off offset:592 ; 4-byte Folded Spill
	v_lshl_add_u32 v37, v39, 2, 0
	v_mad_u32_u24 v39, 0x44, v36, v69
	s_ashr_i32 s89, s36, 31
	s_ashr_i32 s80, s15, 31
	;; [unrolled: 1-line block ×3, first 2 shown]
	scratch_store_b32 off, v37, off offset:596 ; 4-byte Folded Spill
	v_mul_u32_u24_e32 v37, 0x110, v50
	s_lshl_b64 s[68:69], s[10:11], 8
	s_lshl_b64 s[70:71], s[12:13], 8
	s_mov_b32 s36, s65
	s_mov_b32 s37, s65
	scratch_store_b32 off, v37, off offset:604 ; 4-byte Folded Spill
	v_lshl_add_u32 v37, v41, 2, v79
	s_mov_b32 s38, s65
	s_mov_b32 s39, s65
	;; [unrolled: 1-line block ×4, first 2 shown]
	scratch_store_b32 off, v37, off offset:608 ; 4-byte Folded Spill
	v_lshl_add_u32 v37, v42, 2, 0
	s_mov_b32 s43, s65
	s_mov_b32 s49, 0xbbbac73d
	scratch_store_b32 off, v37, off offset:612 ; 4-byte Folded Spill
	v_lshrrev_b32_e32 v37, 2, v40
	v_mad_u32_u24 v40, 0x44, v53, v69
	scratch_store_b32 off, v37, off offset:616 ; 4-byte Folded Spill
	v_mul_u32_u24_e32 v37, 0x44, v36
	v_mul_u32_u24_e32 v36, 0x110, v36
	s_delay_alu instid0(VALU_DEP_2) | instskip(SKIP_2) | instid1(VALU_DEP_1)
	v_lshl_add_u32 v37, v37, 2, v79
	scratch_store_b32 off, v36, off offset:628 ; 4-byte Folded Spill
	v_mul_u32_u24_e32 v36, 0x44, v53
	v_lshl_add_u32 v36, v36, 2, v79
	scratch_store_b32 off, v37, off offset:632 ; 4-byte Folded Spill
	v_lshl_add_u32 v37, v39, 2, 0
	v_mul_u32_u24_e32 v39, 0x110, v56
	scratch_store_b32 off, v36, off offset:648 ; 4-byte Folded Spill
	v_lshl_add_u32 v36, v40, 2, 0
	scratch_store_b32 off, v37, off offset:636 ; 4-byte Folded Spill
	v_mul_u32_u24_e32 v37, 0x110, v53
	v_mad_u32_u24 v40, 0x44, v57, v69
	scratch_store_b32 off, v36, off offset:652 ; 4-byte Folded Spill
	v_lshrrev_b32_e32 v36, 2, v51
	scratch_store_b32 off, v37, off offset:644 ; 4-byte Folded Spill
	v_mad_u32_u24 v37, 0x44, v56, v69
	scratch_store_b32 off, v36, off offset:656 ; 4-byte Folded Spill
	v_mul_u32_u24_e32 v36, 0x44, v56
	s_delay_alu instid0(VALU_DEP_1)
	v_lshl_add_u32 v36, v36, 2, v79
	scratch_store_b32 off, v39, off offset:668 ; 4-byte Folded Spill
	v_mul_u32_u24_e32 v39, 0x44, v57
	scratch_store_b32 off, v36, off offset:672 ; 4-byte Folded Spill
	v_lshl_add_u32 v36, v37, 2, 0
	v_lshrrev_b32_e32 v37, 2, v55
	scratch_store_b32 off, v36, off offset:676 ; 4-byte Folded Spill
	v_mul_u32_u24_e32 v36, 0x110, v57
	scratch_store_b32 off, v36, off offset:684 ; 4-byte Folded Spill
	v_lshl_add_u32 v36, v39, 2, v79
	v_mul_u32_u24_e32 v39, 0x110, v58
	scratch_store_b32 off, v36, off offset:688 ; 4-byte Folded Spill
	v_lshl_add_u32 v36, v40, 2, 0
	scratch_store_b32 off, v36, off offset:692 ; 4-byte Folded Spill
	v_mul_u32_u24_e32 v36, 0x44, v58
	s_delay_alu instid0(VALU_DEP_1) | instskip(SKIP_2) | instid1(VALU_DEP_1)
	v_lshl_add_u32 v36, v36, 2, v79
	scratch_store_b32 off, v36, off offset:712 ; 4-byte Folded Spill
	v_mad_u32_u24 v36, 0x44, v60, v69
	v_lshl_add_u32 v36, v36, 2, 0
	scratch_store_b32 off, v36, off offset:732 ; 4-byte Folded Spill
	v_mad_u32_u24 v36, 0x44, v63, v69
	s_delay_alu instid0(VALU_DEP_1) | instskip(SKIP_2) | instid1(VALU_DEP_1)
	v_lshl_add_u32 v36, v36, 2, 0
	scratch_store_b32 off, v36, off offset:756 ; 4-byte Folded Spill
	v_mad_u32_u24 v36, 0x44, v65, v69
	v_lshl_add_u32 v36, v36, 2, 0
	scratch_store_b32 off, v36, off offset:772 ; 4-byte Folded Spill
	v_mul_u32_u24_e32 v36, 0x110, v33
	scratch_store_b32 off, v39, off offset:708 ; 4-byte Folded Spill
	v_mul_u32_u24_e32 v39, 0x44, v60
	scratch_store_b32 off, v36, off offset:204 ; 4-byte Folded Spill
	v_mad_u32_u24 v36, 0x110, v33, 0
	scratch_store_b32 off, v37, off offset:696 ; 4-byte Folded Spill
	v_mad_u32_u24 v37, 0x44, v58, v69
	scratch_store_b32 off, v36, off offset:16 ; 4-byte Folded Spill
	v_lshl_add_u32 v37, v37, 2, 0
	scratch_store_b32 off, v37, off offset:716 ; 4-byte Folded Spill
	v_mul_u32_u24_e32 v37, 0x110, v60
	scratch_store_b32 off, v37, off offset:724 ; 4-byte Folded Spill
	v_lshl_add_u32 v37, v39, 2, v79
	v_lshrrev_b32_e32 v39, 2, v59
	scratch_store_b32 off, v37, off offset:728 ; 4-byte Folded Spill
	v_mul_u32_u24_e32 v37, 0x44, v63
	s_delay_alu instid0(VALU_DEP_1) | instskip(SKIP_2) | instid1(VALU_DEP_1)
	v_lshl_add_u32 v37, v37, 2, v79
	scratch_store_b32 off, v37, off offset:752 ; 4-byte Folded Spill
	v_mul_u32_u24_e32 v37, 0x44, v65
	v_lshl_add_u32 v37, v37, 2, v79
	scratch_store_b32 off, v37, off offset:768 ; 4-byte Folded Spill
	v_lshlrev_b64 v[36:37], 2, v[0:1]
	v_lshlrev_b32_e32 v0, 1, v209
	v_lshlrev_b64 v[1:2], 2, v[2:3]
	v_lshlrev_b64 v[3:4], 2, v[4:5]
	;; [unrolled: 1-line block ×4, first 2 shown]
	scratch_store_b32 off, v0, off offset:172 ; 4-byte Folded Spill
	v_mul_u32_u24_e32 v0, 0x90, v96
	scratch_store_b32 off, v39, off offset:736 ; 4-byte Folded Spill
	v_mul_u32_u24_e32 v39, 0x110, v63
	v_lshlrev_b64 v[9:10], 2, v[10:11]
	v_lshlrev_b64 v[11:12], 2, v[12:13]
	scratch_store_b32 off, v0, off offset:20 ; 4-byte Folded Spill
	v_mov_b32_e32 v0, v209
	v_lshlrev_b64 v[13:14], 2, v[14:15]
	s_delay_alu instid0(VALU_DEP_2)
	v_and_b32_e32 v0, 3, v0
	scratch_store_b32 off, v39, off offset:748 ; 4-byte Folded Spill
	v_mul_u32_u24_e32 v39, 0x110, v65
	scratch_store_b32 off, v0, off offset:276 ; 4-byte Folded Spill
	v_mul_lo_u32 v0, v72, s42
	s_clause 0x2
	scratch_store_b32 off, v39, off offset:764
	scratch_store_b32 off, v0, off offset:160
	;; [unrolled: 1-line block ×3, first 2 shown]
	v_lshrrev_b32_e32 v0, 2, v97
	s_clause 0x1
	scratch_store_b32 off, v0, off offset:208
	scratch_store_b32 off, v70, off offset:196
	v_add_nc_u32_e32 v0, 0x440, v70
	s_clause 0x1
	scratch_store_b32 off, v0, off offset:152
	scratch_store_b32 off, v78, off offset:536
	v_lshrrev_b32_e32 v0, 2, v78
	s_clause 0x1
	scratch_store_b32 off, v0, off offset:212
	scratch_store_b32 off, v77, off offset:532
	v_lshrrev_b32_e32 v0, 2, v77
	s_clause 0x1
	scratch_store_b32 off, v0, off offset:216
	scratch_store_b32 off, v76, off offset:528
	v_lshrrev_b32_e32 v0, 2, v76
	s_clause 0x1
	scratch_store_b32 off, v0, off offset:220
	scratch_store_b32 off, v75, off offset:524
	v_lshrrev_b32_e32 v0, 2, v75
	s_clause 0x1
	scratch_store_b32 off, v0, off offset:224
	scratch_store_b32 off, v74, off offset:520
	v_lshrrev_b32_e32 v0, 2, v74
	s_clause 0x1
	scratch_store_b32 off, v0, off offset:228
	scratch_store_b32 off, v73, off offset:516
	v_lshrrev_b32_e32 v0, 2, v73
	s_mov_b32 s42, s65
	scratch_store_b32 off, v0, off offset:232 ; 4-byte Folded Spill
	v_lshrrev_b32_e32 v0, 3, v96
	scratch_store_b32 off, v0, off offset:280 ; 4-byte Folded Spill
	v_lshrrev_b32_e32 v0, 2, v35
	scratch_store_b32 off, v0, off offset:304 ; 4-byte Folded Spill
	v_and_b32_e32 v0, 3, v35
	scratch_store_b64 off, v[0:1], off offset:284 ; 8-byte Folded Spill
	v_lshrrev_b32_e32 v0, 2, v38
	scratch_store_b32 off, v0, off offset:496 ; 4-byte Folded Spill
	v_and_b32_e32 v0, 3, v38
	scratch_store_b64 off, v[0:1], off offset:468 ; 8-byte Folded Spill
	;; [unrolled: 4-line block ×8, first 2 shown]
	v_add_co_u32 v0, s3, s22, v32
	scratch_store_b32 off, v0, off offset:308 ; 4-byte Folded Spill
	v_add_co_ci_u32_e64 v0, null, s23, 0, s3
	scratch_store_b32 off, v0, off offset:312 ; 4-byte Folded Spill
	v_add_co_u32 v0, vcc_lo, s20, v16
	s_clause 0x1
	scratch_store_b32 off, v0, off offset:316
	scratch_store_b64 off, v[16:17], off offset:24
	v_add_co_ci_u32_e32 v0, vcc_lo, s21, v17, vcc_lo
	scratch_store_b32 off, v0, off offset:320 ; 4-byte Folded Spill
	v_add_co_u32 v0, vcc_lo, s20, v18
	s_clause 0x1
	scratch_store_b32 off, v0, off offset:324
	scratch_store_b64 off, v[18:19], off offset:32
	v_add_co_ci_u32_e32 v0, vcc_lo, s21, v19, vcc_lo
	;; [unrolled: 6-line block ×16, first 2 shown]
	s_clause 0x1
	scratch_store_b32 off, v72, off offset:236
	scratch_store_b32 off, v0, off offset:440
	v_bfe_u32 v0, v96, 1, 2
	scratch_store_b64 off, v[0:1], off offset:260 ; 8-byte Folded Spill
.LBB25_10:                              ; =>This Loop Header: Depth=1
                                        ;     Child Loop BB25_307 Depth 2
                                        ;     Child Loop BB25_51 Depth 2
	s_abs_i32 s3, s58
	s_ashr_i32 s5, s58, 31
	s_mul_hi_u32 s4, s3, s90
	s_xor_b32 s5, s5, s89
	s_mul_i32 s6, s4, s85
	s_delay_alu instid0(SALU_CYCLE_1)
	s_sub_i32 s3, s3, s6
	s_add_i32 s6, s4, 1
	s_sub_i32 s7, s3, s85
	s_cmp_ge_u32 s3, s85
	s_cselect_b32 s4, s6, s4
	s_cselect_b32 s3, s7, s3
	s_add_i32 s6, s4, 1
	s_cmp_ge_u32 s3, s85
	s_cselect_b32 s3, s6, s4
	v_readlane_b32 s4, v255, 2
	s_xor_b32 s3, s3, s5
	s_delay_alu instid0(SALU_CYCLE_1)
	s_sub_i32 s3, s3, s5
	s_delay_alu instid0(VALU_DEP_1) | instid1(SALU_CYCLE_1)
	s_mul_i32 s4, s3, s4
	s_delay_alu instid0(SALU_CYCLE_1) | instskip(NEXT) | instid1(SALU_CYCLE_1)
	s_sub_i32 s5, s58, s4
	s_abs_i32 s4, s5
	s_ashr_i32 s7, s5, 31
	s_mul_hi_u32 s6, s4, s92
	s_xor_b32 s7, s7, s80
	s_mul_i32 s14, s6, s87
	s_delay_alu instid0(SALU_CYCLE_1)
	s_sub_i32 s4, s4, s14
	s_add_i32 s14, s6, 1
	s_sub_i32 s15, s4, s87
	s_cmp_ge_u32 s4, s87
	s_cselect_b32 s6, s14, s6
	s_cselect_b32 s4, s15, s4
	s_add_i32 s14, s6, 1
	s_cmp_ge_u32 s4, s87
	s_cselect_b32 s4, s14, s6
	v_readlane_b32 s6, v255, 1
	s_xor_b32 s4, s4, s7
	s_delay_alu instid0(SALU_CYCLE_1)
	s_sub_i32 s4, s4, s7
	s_delay_alu instid0(VALU_DEP_1) | instid1(SALU_CYCLE_1)
	s_mul_i32 s6, s4, s6
	s_delay_alu instid0(SALU_CYCLE_1) | instskip(NEXT) | instid1(SALU_CYCLE_1)
	s_sub_i32 s6, s5, s6
	s_abs_i32 s5, s6
	s_ashr_i32 s14, s6, 31
	s_mul_hi_u32 s7, s5, s94
	s_xor_b32 s14, s14, s93
	s_mul_i32 s15, s7, s88
	s_delay_alu instid0(SALU_CYCLE_1)
	s_sub_i32 s5, s5, s15
	s_add_i32 s15, s7, 1
	s_sub_i32 s46, s5, s88
	s_cmp_ge_u32 s5, s88
	s_cselect_b32 s7, s15, s7
	s_cselect_b32 s5, s46, s5
	s_add_i32 s15, s7, 1
	s_cmp_ge_u32 s5, s88
	s_cselect_b32 s5, s15, s7
	s_mul_i32 s7, s77, s81
	s_xor_b32 s5, s5, s14
	s_delay_alu instid0(SALU_CYCLE_1) | instskip(NEXT) | instid1(SALU_CYCLE_1)
	s_sub_i32 s5, s5, s14
	s_mul_i32 s7, s5, s7
	s_delay_alu instid0(SALU_CYCLE_1) | instskip(NEXT) | instid1(SALU_CYCLE_1)
	s_sub_i32 s6, s6, s7
	s_abs_i32 s7, s6
	s_ashr_i32 s6, s6, 31
	s_mul_hi_u32 s14, s7, s84
	s_xor_b32 s6, s6, s83
	s_mul_i32 s15, s14, s82
	s_delay_alu instid0(SALU_CYCLE_1)
	s_sub_i32 s7, s7, s15
	s_add_i32 s15, s14, 1
	s_sub_i32 s46, s7, s82
	s_cmp_ge_u32 s7, s82
	s_cselect_b32 s14, s15, s14
	s_cselect_b32 s7, s46, s7
	s_add_i32 s15, s14, 1
	s_cmp_ge_u32 s7, s82
	s_cselect_b32 s7, s15, s14
	s_and_not1_b32 vcc_lo, exec_lo, s61
	s_xor_b32 s7, s7, s6
	s_delay_alu instid0(SALU_CYCLE_1)
	s_sub_i32 s55, s7, s6
	s_cbranch_vccnz .LBB25_12
; %bb.11:                               ;   in Loop: Header=BB25_10 Depth=1
	s_mul_i32 s6, s3, s77
	v_mov_b32_e32 v0, 0
	s_add_i32 s6, s55, s6
	s_delay_alu instid0(SALU_CYCLE_1) | instskip(NEXT) | instid1(SALU_CYCLE_1)
	s_ashr_i32 s7, s6, 31
	s_lshl_b64 s[6:7], s[6:7], 2
	s_delay_alu instid0(SALU_CYCLE_1) | instskip(SKIP_4) | instid1(VALU_DEP_1)
	s_add_u32 s6, s26, s6
	s_addc_u32 s7, s27, s7
	global_load_b32 v0, v0, s[6:7]
	s_waitcnt vmcnt(0)
	v_readfirstlane_b32 s6, v0
	s_ashr_i32 s7, s6, 31
	s_delay_alu instid0(SALU_CYCLE_1) | instskip(NEXT) | instid1(SALU_CYCLE_1)
	s_lshr_b32 s7, s7, 26
	s_add_i32 s6, s6, s7
	s_delay_alu instid0(SALU_CYCLE_1) | instskip(NEXT) | instid1(SALU_CYCLE_1)
	s_ashr_i32 s6, s6, 6
	s_min_i32 s101, s101, s6
.LBB25_12:                              ;   in Loop: Header=BB25_10 Depth=1
	scratch_load_b32 v0, off, off offset:240 ; 4-byte Folded Reload
	s_mul_i32 s6, s4, s76
	s_lshl_b32 s96, s5, 2
	s_mul_i32 s5, s3, s57
	s_add_i32 s6, s96, s6
	s_ashr_i32 s7, s5, 31
	s_mul_i32 s14, s6, s56
	s_add_u32 s5, s16, s5
	s_addc_u32 s7, s17, s7
	s_ashr_i32 s15, s14, 31
	s_add_u32 s46, s5, s14
	s_addc_u32 s66, s7, s15
	s_mul_i32 s5, s3, s45
	s_mul_hi_u32 s7, s3, s44
	s_ashr_i32 s72, s3, 31
	s_add_i32 s5, s7, s5
	s_mul_i32 s7, s72, s44
	s_mul_i32 s103, s3, s44
	s_add_i32 s104, s5, s7
	s_mul_i32 vcc_hi, s4, s91
	s_add_u32 s5, s18, s103
	s_addc_u32 s7, s19, s104
	s_ashr_i32 s60, vcc_hi, 31
	s_add_u32 s99, s5, vcc_hi
	s_addc_u32 s100, s7, s60
	s_abs_i32 s5, s3
	s_mul_i32 s7, s3, s51
	s_mul_hi_u32 s73, s3, s50
	s_mul_i32 s63, s3, s50
	s_waitcnt vmcnt(1)
	v_or_b32_e32 v225, s96, v72
	s_waitcnt vmcnt(0)
	v_mul_hi_u32 v0, s5, v0
	s_delay_alu instid0(VALU_DEP_1) | instskip(NEXT) | instid1(VALU_DEP_1)
	v_mul_lo_u32 v0, v0, s86
	v_sub_nc_u32_e32 v0, s5, v0
	s_mul_i32 s5, s8, s9
	s_delay_alu instid0(SALU_CYCLE_1) | instskip(SKIP_1) | instid1(VALU_DEP_1)
	s_mul_i32 s5, s5, s3
	s_mul_i32 s3, s72, s50
	v_subrev_nc_u32_e32 v1, s86, v0
	v_cmp_le_u32_e32 vcc_lo, s86, v0
	s_add_i32 s5, s6, s5
	s_delay_alu instid0(SALU_CYCLE_1) | instskip(NEXT) | instid1(VALU_DEP_2)
	s_lshl_b32 s64, s5, 6
	v_cndmask_b32_e32 v0, v0, v1, vcc_lo
	s_lshl_b64 s[14:15], s[64:65], 3
	s_delay_alu instid0(SALU_CYCLE_1) | instskip(SKIP_1) | instid1(VALU_DEP_1)
	s_add_u32 s67, s28, s14
	s_addc_u32 s95, s29, s15
	v_subrev_nc_u32_e32 v1, s86, v0
	v_cmp_le_u32_e32 vcc_lo, s86, v0
	s_add_i32 s5, s73, s7
	s_mul_i32 s14, s4, s47
	s_add_i32 s64, s5, s3
	s_add_u32 s3, s20, s63
	v_cndmask_b32_e32 v0, v0, v1, vcc_lo
	s_addc_u32 s4, s21, s64
	s_ashr_i32 s15, s14, 31
	s_add_u32 s97, s3, s14
	s_addc_u32 s98, s4, s15
	v_xor_b32_e32 v0, s72, v0
	s_ashr_i32 s7, s6, 31
	s_delay_alu instid0(SALU_CYCLE_1) | instskip(NEXT) | instid1(VALU_DEP_1)
	s_lshl_b64 s[4:5], s[6:7], 2
	v_subrev_nc_u32_e32 v0, s72, v0
	s_add_u32 s3, s24, s4
	s_addc_u32 s4, s25, s5
	s_and_b32 s5, s54, exec_lo
	s_cselect_b32 s73, 0, s4
	v_ashrrev_i32_e32 v1, 31, v0
	v_mul_lo_u32 v2, v0, s53
	v_mul_hi_u32 v3, v0, s52
	v_mul_lo_u32 v219, v0, s52
	s_cselect_b32 s72, 0, s3
	v_mul_lo_u32 v1, v1, s52
	s_cmp_lg_u32 s102, 0
	s_delay_alu instid0(VALU_DEP_3) | instskip(NEXT) | instid1(VALU_DEP_1)
	v_add_nc_u32_e32 v0, v3, v2
	v_add_nc_u32_e32 v220, v0, v1
	s_delay_alu instid0(VALU_DEP_4)
	v_add_co_u32 v0, vcc_lo, s22, v219
	scratch_store_b32 off, v0, off offset:168 ; 4-byte Folded Spill
	v_add_co_ci_u32_e32 v0, vcc_lo, s23, v220, vcc_lo
	v_cmp_gt_i32_e32 vcc_lo, s76, v225
	scratch_store_b32 off, v0, off offset:164 ; 4-byte Folded Spill
	s_cbranch_scc0 .LBB25_47
; %bb.13:                               ;   in Loop: Header=BB25_10 Depth=1
	scratch_load_b32 v0, off, off offset:184 ; 4-byte Folded Reload
	s_lshl_b32 s78, s55, 3
	s_xor_b32 s4, vcc_lo, -1
	s_waitcnt vmcnt(0)
	v_add_nc_u32_e32 v0, s78, v0
	s_delay_alu instid0(VALU_DEP_1) | instskip(NEXT) | instid1(VALU_DEP_1)
	v_cmp_le_i32_e64 s3, s8, v0
	s_or_b32 s3, s3, s4
	s_delay_alu instid0(SALU_CYCLE_1) | instskip(NEXT) | instid1(SALU_CYCLE_1)
	s_and_saveexec_b32 s5, s3
	s_xor_b32 s3, exec_lo, s5
	s_cbranch_execz .LBB25_15
; %bb.14:                               ;   in Loop: Header=BB25_10 Depth=1
	scratch_load_b32 v0, off, off offset:196 ; 4-byte Folded Reload
	v_mov_b32_e32 v1, 0
	s_waitcnt vmcnt(0)
	ds_store_2addr_b32 v0, v1, v1 offset1:32
                                        ; implicit-def: $vgpr0
.LBB25_15:                              ;   in Loop: Header=BB25_10 Depth=1
	s_and_not1_saveexec_b32 s3, s3
	s_cbranch_execz .LBB25_17
; %bb.16:                               ;   in Loop: Header=BB25_10 Depth=1
	scratch_load_b32 v1, off, off offset:160 ; 4-byte Folded Reload
	v_mul_lo_u32 v0, v0, s59
	s_waitcnt vmcnt(0)
	s_delay_alu instid0(VALU_DEP_1) | instskip(NEXT) | instid1(VALU_DEP_1)
	v_add3_u32 v0, v0, v1, v209
	v_ashrrev_i32_e32 v1, 31, v0
	s_delay_alu instid0(VALU_DEP_1) | instskip(NEXT) | instid1(VALU_DEP_1)
	v_lshlrev_b64 v[0:1], 3, v[0:1]
	v_add_co_u32 v0, vcc_lo, s46, v0
	s_delay_alu instid0(VALU_DEP_2)
	v_add_co_ci_u32_e32 v1, vcc_lo, s66, v1, vcc_lo
	s_clause 0x1
	global_load_b64 v[2:3], v[0:1], off
	global_load_b64 v[0:1], v[0:1], off offset:256
	s_waitcnt vmcnt(1)
	v_cvt_f16_f32_e32 v2, v2
	v_cvt_f16_f32_e32 v3, v3
	s_waitcnt vmcnt(0)
	v_cvt_f16_f32_e32 v0, v0
	v_cvt_f16_f32_e32 v1, v1
	s_delay_alu instid0(VALU_DEP_3)
	v_pack_b32_f16 v2, v2, v3
	scratch_load_b32 v3, off, off offset:156 ; 4-byte Folded Reload
	v_pack_b32_f16 v0, v0, v1
	s_waitcnt vmcnt(0)
	v_pk_mul_f16 v1, v3, v2
	scratch_load_b32 v2, off, off offset:196 ; 4-byte Folded Reload
	v_pk_mul_f16 v0, v3, v0
	s_waitcnt vmcnt(0)
	ds_store_2addr_b32 v2, v1, v0 offset1:32
.LBB25_17:                              ;   in Loop: Header=BB25_10 Depth=1
	s_or_b32 exec_lo, exec_lo, s3
	scratch_load_b32 v0, off, off offset:208 ; 4-byte Folded Reload
	s_waitcnt vmcnt(0)
	v_add_nc_u32_e32 v0, s78, v0
	s_delay_alu instid0(VALU_DEP_1) | instskip(SKIP_1) | instid1(SALU_CYCLE_1)
	v_cmp_le_i32_e32 vcc_lo, s8, v0
	s_or_b32 s3, vcc_lo, s4
	s_and_saveexec_b32 s5, s3
	s_delay_alu instid0(SALU_CYCLE_1)
	s_xor_b32 s3, exec_lo, s5
	s_cbranch_execz .LBB25_19
; %bb.18:                               ;   in Loop: Header=BB25_10 Depth=1
	scratch_load_b32 v1, off, off offset:152 ; 4-byte Folded Reload
	v_mov_b32_e32 v0, 0
	s_waitcnt vmcnt(0)
	ds_store_2addr_b32 v1, v0, v0 offset1:32
                                        ; implicit-def: $vgpr0
.LBB25_19:                              ;   in Loop: Header=BB25_10 Depth=1
	s_and_not1_saveexec_b32 s3, s3
	s_cbranch_execz .LBB25_21
; %bb.20:                               ;   in Loop: Header=BB25_10 Depth=1
	scratch_load_b32 v1, off, off offset:160 ; 4-byte Folded Reload
	v_mul_lo_u32 v0, v0, s59
	s_waitcnt vmcnt(0)
	s_delay_alu instid0(VALU_DEP_1) | instskip(NEXT) | instid1(VALU_DEP_1)
	v_add3_u32 v0, v0, v1, v209
	v_ashrrev_i32_e32 v1, 31, v0
	s_delay_alu instid0(VALU_DEP_1) | instskip(NEXT) | instid1(VALU_DEP_1)
	v_lshlrev_b64 v[0:1], 3, v[0:1]
	v_add_co_u32 v0, vcc_lo, s46, v0
	s_delay_alu instid0(VALU_DEP_2)
	v_add_co_ci_u32_e32 v1, vcc_lo, s66, v1, vcc_lo
	s_clause 0x1
	global_load_b64 v[2:3], v[0:1], off
	global_load_b64 v[0:1], v[0:1], off offset:256
	s_waitcnt vmcnt(1)
	v_cvt_f16_f32_e32 v2, v2
	v_cvt_f16_f32_e32 v3, v3
	s_waitcnt vmcnt(0)
	v_cvt_f16_f32_e32 v0, v0
	v_cvt_f16_f32_e32 v1, v1
	s_delay_alu instid0(VALU_DEP_3)
	v_pack_b32_f16 v2, v2, v3
	scratch_load_b32 v3, off, off offset:156 ; 4-byte Folded Reload
	v_pack_b32_f16 v0, v0, v1
	s_waitcnt vmcnt(0)
	v_pk_mul_f16 v1, v3, v2
	scratch_load_b32 v2, off, off offset:152 ; 4-byte Folded Reload
	v_pk_mul_f16 v0, v3, v0
	s_waitcnt vmcnt(0)
	ds_store_2addr_b32 v2, v1, v0 offset1:32
.LBB25_21:                              ;   in Loop: Header=BB25_10 Depth=1
	s_or_b32 exec_lo, exec_lo, s3
	scratch_load_b32 v0, off, off offset:212 ; 4-byte Folded Reload
	s_waitcnt vmcnt(0)
	v_add_nc_u32_e32 v0, s78, v0
	s_delay_alu instid0(VALU_DEP_1) | instskip(SKIP_1) | instid1(SALU_CYCLE_1)
	v_cmp_le_i32_e32 vcc_lo, s8, v0
	s_or_b32 s3, vcc_lo, s4
	s_and_saveexec_b32 s5, s3
	s_delay_alu instid0(SALU_CYCLE_1)
	s_xor_b32 s3, exec_lo, s5
	s_cbranch_execz .LBB25_23
; %bb.22:                               ;   in Loop: Header=BB25_10 Depth=1
	scratch_load_b32 v0, off, off offset:152 ; 4-byte Folded Reload
	s_waitcnt vmcnt(0)
	v_dual_mov_b32 v1, 0 :: v_dual_add_nc_u32 v0, 0x400, v0
	ds_store_2addr_b32 v0, v1, v1 offset0:16 offset1:48
                                        ; implicit-def: $vgpr0
.LBB25_23:                              ;   in Loop: Header=BB25_10 Depth=1
	s_and_not1_saveexec_b32 s3, s3
	s_cbranch_execz .LBB25_25
; %bb.24:                               ;   in Loop: Header=BB25_10 Depth=1
	scratch_load_b32 v1, off, off offset:160 ; 4-byte Folded Reload
	v_mul_lo_u32 v0, v0, s59
	s_waitcnt vmcnt(0)
	s_delay_alu instid0(VALU_DEP_1) | instskip(NEXT) | instid1(VALU_DEP_1)
	v_add3_u32 v0, v0, v1, v209
	v_ashrrev_i32_e32 v1, 31, v0
	s_delay_alu instid0(VALU_DEP_1) | instskip(NEXT) | instid1(VALU_DEP_1)
	v_lshlrev_b64 v[0:1], 3, v[0:1]
	v_add_co_u32 v0, vcc_lo, s46, v0
	s_delay_alu instid0(VALU_DEP_2)
	v_add_co_ci_u32_e32 v1, vcc_lo, s66, v1, vcc_lo
	s_clause 0x1
	global_load_b64 v[2:3], v[0:1], off
	global_load_b64 v[0:1], v[0:1], off offset:256
	s_waitcnt vmcnt(1)
	v_cvt_f16_f32_e32 v2, v2
	v_cvt_f16_f32_e32 v3, v3
	s_waitcnt vmcnt(0)
	v_cvt_f16_f32_e32 v0, v0
	v_cvt_f16_f32_e32 v1, v1
	s_delay_alu instid0(VALU_DEP_3)
	v_pack_b32_f16 v2, v2, v3
	scratch_load_b32 v3, off, off offset:156 ; 4-byte Folded Reload
	v_pack_b32_f16 v0, v0, v1
	s_waitcnt vmcnt(0)
	v_pk_mul_f16 v1, v3, v2
	scratch_load_b32 v2, off, off offset:152 ; 4-byte Folded Reload
	v_pk_mul_f16 v0, v3, v0
	s_waitcnt vmcnt(0)
	v_add_nc_u32_e32 v2, 0x400, v2
	ds_store_2addr_b32 v2, v1, v0 offset0:16 offset1:48
.LBB25_25:                              ;   in Loop: Header=BB25_10 Depth=1
	s_or_b32 exec_lo, exec_lo, s3
	scratch_load_b32 v0, off, off offset:216 ; 4-byte Folded Reload
	s_waitcnt vmcnt(0)
	v_add_nc_u32_e32 v0, s78, v0
	s_delay_alu instid0(VALU_DEP_1) | instskip(SKIP_1) | instid1(SALU_CYCLE_1)
	v_cmp_le_i32_e32 vcc_lo, s8, v0
	s_or_b32 s3, vcc_lo, s4
	s_and_saveexec_b32 s5, s3
	s_delay_alu instid0(SALU_CYCLE_1)
	s_xor_b32 s3, exec_lo, s5
	s_cbranch_execz .LBB25_27
; %bb.26:                               ;   in Loop: Header=BB25_10 Depth=1
	scratch_load_b32 v0, off, off offset:152 ; 4-byte Folded Reload
	s_waitcnt vmcnt(0)
	v_dual_mov_b32 v1, 0 :: v_dual_add_nc_u32 v0, 0x800, v0
	ds_store_2addr_b32 v0, v1, v1 offset0:32 offset1:64
                                        ; implicit-def: $vgpr0
.LBB25_27:                              ;   in Loop: Header=BB25_10 Depth=1
	s_and_not1_saveexec_b32 s3, s3
	s_cbranch_execz .LBB25_29
; %bb.28:                               ;   in Loop: Header=BB25_10 Depth=1
	scratch_load_b32 v1, off, off offset:160 ; 4-byte Folded Reload
	v_mul_lo_u32 v0, v0, s59
	s_waitcnt vmcnt(0)
	s_delay_alu instid0(VALU_DEP_1) | instskip(NEXT) | instid1(VALU_DEP_1)
	v_add3_u32 v0, v0, v1, v209
	v_ashrrev_i32_e32 v1, 31, v0
	s_delay_alu instid0(VALU_DEP_1) | instskip(NEXT) | instid1(VALU_DEP_1)
	v_lshlrev_b64 v[0:1], 3, v[0:1]
	v_add_co_u32 v0, vcc_lo, s46, v0
	s_delay_alu instid0(VALU_DEP_2)
	v_add_co_ci_u32_e32 v1, vcc_lo, s66, v1, vcc_lo
	s_clause 0x1
	global_load_b64 v[2:3], v[0:1], off
	global_load_b64 v[0:1], v[0:1], off offset:256
	s_waitcnt vmcnt(1)
	v_cvt_f16_f32_e32 v2, v2
	v_cvt_f16_f32_e32 v3, v3
	s_waitcnt vmcnt(0)
	v_cvt_f16_f32_e32 v0, v0
	v_cvt_f16_f32_e32 v1, v1
	s_delay_alu instid0(VALU_DEP_3)
	v_pack_b32_f16 v2, v2, v3
	scratch_load_b32 v3, off, off offset:156 ; 4-byte Folded Reload
	v_pack_b32_f16 v0, v0, v1
	s_waitcnt vmcnt(0)
	v_pk_mul_f16 v1, v3, v2
	scratch_load_b32 v2, off, off offset:152 ; 4-byte Folded Reload
	v_pk_mul_f16 v0, v3, v0
	s_waitcnt vmcnt(0)
	v_add_nc_u32_e32 v2, 0x800, v2
	ds_store_2addr_b32 v2, v1, v0 offset0:32 offset1:64
.LBB25_29:                              ;   in Loop: Header=BB25_10 Depth=1
	;; [unrolled: 53-line block ×6, first 2 shown]
	s_or_b32 exec_lo, exec_lo, s3
	s_clause 0x1
	scratch_load_b32 v0, off, off offset:192
	scratch_load_b32 v1, off, off offset:204
	s_waitcnt vmcnt(0) lgkmcnt(0)
	s_waitcnt_vscnt null, 0x0
	s_barrier
	buffer_gl0_inv
	s_add_i32 s79, s101, -1
	s_delay_alu instid0(SALU_CYCLE_1)
	s_cmp_gt_i32 s79, s102
	v_add_nc_u32_e32 v0, v0, v1
	ds_load_b128 v[40:43], v0
	ds_load_b128 v[44:47], v0 offset:16
	ds_load_b128 v[32:35], v0 offset:32
	;; [unrolled: 1-line block ×15, first 2 shown]
	s_waitcnt lgkmcnt(0)
	s_barrier
	buffer_gl0_inv
	scratch_load_b32 v0, off, off offset:176 ; 4-byte Folded Reload
	s_waitcnt vmcnt(0)
	v_add_nc_u32_e32 v97, s78, v0
	scratch_load_b32 v0, off, off offset:188 ; 4-byte Folded Reload
	v_mul_hi_u32 v99, s34, v97
	s_waitcnt vmcnt(0)
	v_add_nc_u32_e32 v96, s78, v0
	s_delay_alu instid0(VALU_DEP_1)
	v_mul_hi_u32 v98, s34, v96
	s_cbranch_scc1 .LBB25_48
; %bb.46:                               ;   in Loop: Header=BB25_10 Depth=1
	s_delay_alu instid0(VALU_DEP_3) | instskip(NEXT) | instid1(VALU_DEP_2)
	v_add_nc_u32_e32 v0, v97, v99
	v_add_nc_u32_e32 v1, v96, v98
	s_mov_b32 s3, 0
	s_mov_b32 s4, 0xfeffffff
	;; [unrolled: 1-line block ×3, first 2 shown]
	v_lshrrev_b32_e32 v0, s35, v0
	v_lshrrev_b32_e32 v1, s35, v1
	s_mov_b32 s5, 0
	s_delay_alu instid0(VALU_DEP_2) | instskip(NEXT) | instid1(VALU_DEP_2)
	v_mul_lo_u32 v0, v0, s8
	v_mul_lo_u32 v1, v1, s8
	s_delay_alu instid0(VALU_DEP_2) | instskip(NEXT) | instid1(VALU_DEP_2)
	v_sub_nc_u32_e32 v0, v97, v0
	v_sub_nc_u32_e32 v1, v96, v1
	s_delay_alu instid0(VALU_DEP_2) | instskip(NEXT) | instid1(VALU_DEP_2)
	v_mad_i64_i32 v[223:224], null, v0, s48, 0
	v_mad_i64_i32 v[221:222], null, v1, s48, 0
	s_branch .LBB25_49
.LBB25_47:                              ;   in Loop: Header=BB25_10 Depth=1
	s_cbranch_execnz .LBB25_270
	s_branch .LBB25_524
.LBB25_48:                              ;   in Loop: Header=BB25_10 Depth=1
	s_mov_b32 s3, -1
                                        ; implicit-def: $sgpr5
                                        ; implicit-def: $sgpr6
                                        ; implicit-def: $sgpr4
                                        ; implicit-def: $vgpr223_vgpr224
                                        ; implicit-def: $vgpr221_vgpr222
.LBB25_49:                              ;   in Loop: Header=BB25_10 Depth=1
	v_dual_mov_b32 v31, s5 :: v_dual_mov_b32 v226, s6
	v_dual_mov_b32 v178, s4 :: v_dual_mov_b32 v29, s5
	;; [unrolled: 1-line block ×16, first 2 shown]
	v_mov_b32_e32 v2, s5
	v_mov_b32_e32 v0, s5
	s_and_not1_b32 vcc_lo, exec_lo, s3
	s_cbranch_vccnz .LBB25_117
; %bb.50:                               ;   in Loop: Header=BB25_10 Depth=1
	v_mbcnt_lo_u32_b32 v5, -1, 0
	v_dual_mov_b32 v233, 0 :: v_dual_add_nc_u32 v0, v97, v99
	scratch_load_b32 v2, off, off offset:172 ; 4-byte Folded Reload
	v_add_nc_u32_e32 v1, v96, v98
	v_xor_b32_e32 v4, 16, v5
	v_lshrrev_b32_e32 v0, s35, v0
	s_lshl_b32 s74, s102, 6
	v_mov_b32_e32 v179, 0xfeffffff
	s_delay_alu instid0(VALU_DEP_3) | instskip(NEXT) | instid1(VALU_DEP_3)
	v_cmp_gt_i32_e32 vcc_lo, 32, v4
	v_mul_lo_u32 v3, v0, s8
	v_mov_b32_e32 v0, 0
	v_lshrrev_b32_e32 v1, s35, v1
	v_cndmask_b32_e32 v4, v5, v4, vcc_lo
	scratch_load_b32 v5, off, off offset:168 ; 4-byte Folded Reload
	v_mov_b32_e32 v6, v0
	v_mul_lo_u32 v1, v1, s8
	v_sub_nc_u32_e32 v3, v97, v3
	v_mov_b32_e32 v7, v0
	v_mov_b32_e32 v8, v0
	v_mov_b32_e32 v9, v0
	v_mov_b32_e32 v10, v0
	v_mad_i64_i32 v[223:224], null, v3, s48, 0
	v_sub_nc_u32_e32 v1, v96, v1
	v_mov_b32_e32 v3, v0
	v_mov_b32_e32 v11, v0
	;; [unrolled: 1-line block ×4, first 2 shown]
	v_mad_i64_i32 v[221:222], null, v1, s48, 0
	v_dual_mov_b32 v1, v0 :: v_dual_lshlrev_b32 v228, 2, v4
	v_mov_b32_e32 v4, v0
	v_mov_b32_e32 v14, v0
	;; [unrolled: 1-line block ×18, first 2 shown]
	s_waitcnt vmcnt(1)
	v_dual_mov_b32 v31, v0 :: v_dual_lshlrev_b32 v2, 1, v2
	s_waitcnt vmcnt(0)
	s_delay_alu instid0(VALU_DEP_1)
	v_add_co_u32 v231, vcc_lo, v5, v2
	scratch_load_b32 v2, off, off offset:164 ; 4-byte Folded Reload
	v_mov_b32_e32 v5, v0
	s_waitcnt vmcnt(0)
	v_add_co_ci_u32_e32 v235, vcc_lo, 0, v2, vcc_lo
	v_mov_b32_e32 v2, v0
.LBB25_51:                              ;   Parent Loop BB25_10 Depth=1
                                        ; =>  This Inner Loop Header: Depth=2
	s_ashr_i32 s75, s74, 31
	v_lshlrev_b64 v[96:97], 1, v[223:224]
	s_lshl_b64 s[4:5], s[74:75], 1
	v_lshlrev_b64 v[98:99], 1, v[221:222]
	v_add_co_u32 v100, vcc_lo, v231, s4
	v_add_co_ci_u32_e32 v101, vcc_lo, s5, v235, vcc_lo
	s_mul_hi_i32 s5, s74, s12
	s_delay_alu instid0(VALU_DEP_2) | instskip(NEXT) | instid1(VALU_DEP_2)
	v_add_co_u32 v96, vcc_lo, v100, v96
	v_add_co_ci_u32_e32 v97, vcc_lo, v101, v97, vcc_lo
	v_add_co_u32 v98, vcc_lo, v100, v98
	v_add_co_ci_u32_e32 v99, vcc_lo, v101, v99, vcc_lo
	s_mul_i32 s4, s74, s12
	s_clause 0x1
	global_load_b32 v96, v[96:97], off
	global_load_b32 v97, v[98:99], off
	s_clause 0x1
	scratch_load_b32 v98, off, off
	scratch_load_b32 v99, off, off offset:20
	s_lshl_b64 s[4:5], s[4:5], 2
	v_mov_b32_e32 v119, s43
	s_add_u32 s3, s99, s4
	s_addc_u32 s4, s100, s5
	v_dual_mov_b32 v118, s42 :: v_dual_mov_b32 v113, s37
	v_mov_b32_e32 v116, s40
	v_mov_b32_e32 v114, s38
	v_dual_mov_b32 v112, s36 :: v_dual_mov_b32 v117, s41
	s_waitcnt vmcnt(0)
	v_dual_mov_b32 v115, s39 :: v_dual_add_nc_u32 v98, v98, v99
	s_delay_alu instid0(VALU_DEP_1)
	v_add_nc_u32_e32 v98, 0x4400, v98
	ds_store_2addr_b32 v98, v96, v97 offset1:144
	s_clause 0x1
	scratch_load_b64 v[96:97], off, off offset:88
	scratch_load_b64 v[98:99], off, off offset:96
	s_waitcnt vmcnt(1)
	v_add_co_u32 v96, vcc_lo, s3, v96
	v_add_co_ci_u32_e32 v97, vcc_lo, s4, v97, vcc_lo
	s_delay_alu instid0(VALU_DEP_2) | instskip(NEXT) | instid1(VALU_DEP_2)
	v_add_co_u32 v96, vcc_lo, v96, v234
	v_add_co_ci_u32_e32 v97, vcc_lo, 0, v97, vcc_lo
	s_waitcnt vmcnt(0)
	v_add_co_u32 v98, vcc_lo, s3, v98
	v_add_co_ci_u32_e32 v99, vcc_lo, s4, v99, vcc_lo
	s_delay_alu instid0(VALU_DEP_2) | instskip(NEXT) | instid1(VALU_DEP_2)
	v_add_co_u32 v100, vcc_lo, v98, v234
	v_add_co_ci_u32_e32 v101, vcc_lo, 0, v99, vcc_lo
	s_clause 0x1
	global_load_b128 v[96:99], v[96:97], off
	global_load_b128 v[100:103], v[100:101], off
	s_waitcnt vmcnt(1)
	ds_store_b128 v245, v[96:99]
	s_waitcnt vmcnt(0)
	ds_store_b128 v238, v[100:103]
	s_clause 0x1
	scratch_load_b64 v[96:97], off, off offset:104
	scratch_load_b64 v[98:99], off, off offset:112
	s_waitcnt vmcnt(1)
	v_add_co_u32 v96, vcc_lo, s3, v96
	v_add_co_ci_u32_e32 v97, vcc_lo, s4, v97, vcc_lo
	s_delay_alu instid0(VALU_DEP_2) | instskip(NEXT) | instid1(VALU_DEP_2)
	v_add_co_u32 v96, vcc_lo, v96, v234
	v_add_co_ci_u32_e32 v97, vcc_lo, 0, v97, vcc_lo
	s_waitcnt vmcnt(0)
	v_add_co_u32 v98, vcc_lo, s3, v98
	v_add_co_ci_u32_e32 v99, vcc_lo, s4, v99, vcc_lo
	s_delay_alu instid0(VALU_DEP_2) | instskip(NEXT) | instid1(VALU_DEP_2)
	v_add_co_u32 v100, vcc_lo, v98, v234
	v_add_co_ci_u32_e32 v101, vcc_lo, 0, v99, vcc_lo
	s_clause 0x1
	global_load_b128 v[96:99], v[96:97], off
	global_load_b128 v[100:103], v[100:101], off
	s_waitcnt vmcnt(1)
	ds_store_b128 v239, v[96:99]
	s_waitcnt vmcnt(0)
	ds_store_b128 v216, v[100:103]
	;; [unrolled: 22-line block ×4, first 2 shown]
	s_waitcnt lgkmcnt(0)
	s_barrier
	buffer_gl0_inv
	s_clause 0x1
	scratch_load_b32 v96, off, off offset:8
	scratch_load_b32 v97, off, off offset:16
	s_waitcnt vmcnt(0)
	v_add_nc_u32_e32 v178, v97, v96
	ds_load_b128 v[104:107], v178
	ds_load_b128 v[108:111], v178 offset:16
	s_waitcnt lgkmcnt(0)
	v_wmma_f32_16x16x16_f16 v[96:103], v[104:111], v[40:47], v[112:119]
	ds_load_b128 v[104:107], v178 offset:32
	ds_load_b128 v[108:111], v178 offset:48
	s_waitcnt lgkmcnt(0)
	v_wmma_f32_16x16x16_f16 v[96:103], v[104:111], v[32:39], v[96:103]
	ds_load_b128 v[104:107], v178 offset:64
	;; [unrolled: 4-line block ×7, first 2 shown]
	ds_load_b128 v[108:111], v178 offset:240
	ds_load_b128 v[168:171], v178 offset:8704
	;; [unrolled: 1-line block ×17, first 2 shown]
	s_waitcnt lgkmcnt(0)
	s_barrier
	buffer_gl0_inv
                                        ; implicit-def: $vgpr178
	v_wmma_f32_16x16x16_f16 v[96:103], v[104:111], v[88:95], v[96:103]
	s_delay_alu instid0(VALU_DEP_1) | instskip(NEXT) | instid1(VALU_DEP_1)
	v_cmp_ngt_f32_e64 s3, 0x3f200000, |v96|
	s_and_saveexec_b32 s4, s3
	s_delay_alu instid0(SALU_CYCLE_1)
	s_xor_b32 s3, exec_lo, s4
	s_cbranch_execz .LBB25_53
; %bb.52:                               ;   in Loop: Header=BB25_51 Depth=2
	v_add_f32_e64 v104, |v96|, |v96|
	s_delay_alu instid0(VALU_DEP_1) | instskip(SKIP_1) | instid1(VALU_DEP_2)
	v_mul_f32_e32 v105, 0x3fb8aa3b, v104
	v_cmp_ngt_f32_e32 vcc_lo, 0xc2ce8ed0, v104
	v_rndne_f32_e32 v106, v105
	v_fma_f32 v107, 0x3fb8aa3b, v104, -v105
	s_delay_alu instid0(VALU_DEP_2) | instskip(NEXT) | instid1(VALU_DEP_2)
	v_sub_f32_e32 v105, v105, v106
	v_fmac_f32_e32 v107, 0x32a5705f, v104
	v_cvt_i32_f32_e32 v106, v106
	s_delay_alu instid0(VALU_DEP_2) | instskip(NEXT) | instid1(VALU_DEP_1)
	v_add_f32_e32 v105, v105, v107
	v_exp_f32_e32 v105, v105
	s_waitcnt_depctr 0xfff
	v_ldexp_f32 v105, v105, v106
	s_delay_alu instid0(VALU_DEP_1) | instskip(SKIP_1) | instid1(VALU_DEP_2)
	v_cndmask_b32_e32 v105, 0, v105, vcc_lo
	v_cmp_nlt_f32_e32 vcc_lo, 0x42b17218, v104
	v_cndmask_b32_e32 v104, 0x7f800000, v105, vcc_lo
	s_delay_alu instid0(VALU_DEP_1) | instskip(NEXT) | instid1(VALU_DEP_1)
	v_add_f32_e32 v104, 1.0, v104
	v_rcp_f32_e32 v104, v104
	s_waitcnt_depctr 0xfff
	v_fma_f32 v178, v104, -2.0, 1.0
.LBB25_53:                              ;   in Loop: Header=BB25_51 Depth=2
	s_and_not1_saveexec_b32 s3, s3
; %bb.54:                               ;   in Loop: Header=BB25_51 Depth=2
	v_mul_f32_e32 v104, v96, v96
	s_delay_alu instid0(VALU_DEP_1) | instskip(NEXT) | instid1(VALU_DEP_1)
	v_fmaak_f32 v105, s49, v104, 0x3ca908c9
	v_fmaak_f32 v105, v104, v105, 0xbd5c1c4e
	s_delay_alu instid0(VALU_DEP_1) | instskip(NEXT) | instid1(VALU_DEP_1)
	v_fmaak_f32 v105, v104, v105, 0x3e088382
	v_fmaak_f32 v105, v104, v105, 0xbeaaaa99
	s_delay_alu instid0(VALU_DEP_1) | instskip(NEXT) | instid1(VALU_DEP_1)
	v_mul_f32_e64 v105, |v96|, v105
	v_fma_f32 v178, v104, v105, |v96|
; %bb.55:                               ;   in Loop: Header=BB25_51 Depth=2
	s_or_b32 exec_lo, exec_lo, s3
	v_cmp_ngt_f32_e64 s3, 0x3f200000, |v97|
                                        ; implicit-def: $vgpr180
	s_delay_alu instid0(VALU_DEP_1) | instskip(NEXT) | instid1(SALU_CYCLE_1)
	s_and_saveexec_b32 s4, s3
	s_xor_b32 s3, exec_lo, s4
	s_cbranch_execz .LBB25_57
; %bb.56:                               ;   in Loop: Header=BB25_51 Depth=2
	v_add_f32_e64 v104, |v97|, |v97|
	s_delay_alu instid0(VALU_DEP_1) | instskip(SKIP_1) | instid1(VALU_DEP_2)
	v_mul_f32_e32 v105, 0x3fb8aa3b, v104
	v_cmp_ngt_f32_e32 vcc_lo, 0xc2ce8ed0, v104
	v_rndne_f32_e32 v106, v105
	v_fma_f32 v107, 0x3fb8aa3b, v104, -v105
	s_delay_alu instid0(VALU_DEP_2) | instskip(NEXT) | instid1(VALU_DEP_2)
	v_sub_f32_e32 v105, v105, v106
	v_fmac_f32_e32 v107, 0x32a5705f, v104
	v_cvt_i32_f32_e32 v106, v106
	s_delay_alu instid0(VALU_DEP_2) | instskip(NEXT) | instid1(VALU_DEP_1)
	v_add_f32_e32 v105, v105, v107
	v_exp_f32_e32 v105, v105
	s_waitcnt_depctr 0xfff
	v_ldexp_f32 v105, v105, v106
	s_delay_alu instid0(VALU_DEP_1) | instskip(SKIP_1) | instid1(VALU_DEP_2)
	v_cndmask_b32_e32 v105, 0, v105, vcc_lo
	v_cmp_nlt_f32_e32 vcc_lo, 0x42b17218, v104
	v_cndmask_b32_e32 v104, 0x7f800000, v105, vcc_lo
	s_delay_alu instid0(VALU_DEP_1) | instskip(NEXT) | instid1(VALU_DEP_1)
	v_add_f32_e32 v104, 1.0, v104
	v_rcp_f32_e32 v104, v104
	s_waitcnt_depctr 0xfff
	v_fma_f32 v180, v104, -2.0, 1.0
.LBB25_57:                              ;   in Loop: Header=BB25_51 Depth=2
	s_and_not1_saveexec_b32 s3, s3
; %bb.58:                               ;   in Loop: Header=BB25_51 Depth=2
	v_mul_f32_e32 v104, v97, v97
	s_delay_alu instid0(VALU_DEP_1) | instskip(NEXT) | instid1(VALU_DEP_1)
	v_fmaak_f32 v105, s49, v104, 0x3ca908c9
	v_fmaak_f32 v105, v104, v105, 0xbd5c1c4e
	s_delay_alu instid0(VALU_DEP_1) | instskip(NEXT) | instid1(VALU_DEP_1)
	v_fmaak_f32 v105, v104, v105, 0x3e088382
	v_fmaak_f32 v105, v104, v105, 0xbeaaaa99
	s_delay_alu instid0(VALU_DEP_1) | instskip(NEXT) | instid1(VALU_DEP_1)
	v_mul_f32_e64 v105, |v97|, v105
	v_fma_f32 v180, v104, v105, |v97|
; %bb.59:                               ;   in Loop: Header=BB25_51 Depth=2
	s_or_b32 exec_lo, exec_lo, s3
	v_cmp_ngt_f32_e64 s3, 0x3f200000, |v98|
                                        ; implicit-def: $vgpr181
	s_delay_alu instid0(VALU_DEP_1) | instskip(NEXT) | instid1(SALU_CYCLE_1)
	s_and_saveexec_b32 s4, s3
	s_xor_b32 s3, exec_lo, s4
	s_cbranch_execz .LBB25_61
; %bb.60:                               ;   in Loop: Header=BB25_51 Depth=2
	v_add_f32_e64 v104, |v98|, |v98|
	s_delay_alu instid0(VALU_DEP_1) | instskip(SKIP_1) | instid1(VALU_DEP_2)
	v_mul_f32_e32 v105, 0x3fb8aa3b, v104
	v_cmp_ngt_f32_e32 vcc_lo, 0xc2ce8ed0, v104
	v_rndne_f32_e32 v106, v105
	v_fma_f32 v107, 0x3fb8aa3b, v104, -v105
	s_delay_alu instid0(VALU_DEP_2) | instskip(NEXT) | instid1(VALU_DEP_2)
	v_sub_f32_e32 v105, v105, v106
	v_fmac_f32_e32 v107, 0x32a5705f, v104
	v_cvt_i32_f32_e32 v106, v106
	s_delay_alu instid0(VALU_DEP_2) | instskip(NEXT) | instid1(VALU_DEP_1)
	v_add_f32_e32 v105, v105, v107
	v_exp_f32_e32 v105, v105
	s_waitcnt_depctr 0xfff
	v_ldexp_f32 v105, v105, v106
	s_delay_alu instid0(VALU_DEP_1) | instskip(SKIP_1) | instid1(VALU_DEP_2)
	v_cndmask_b32_e32 v105, 0, v105, vcc_lo
	v_cmp_nlt_f32_e32 vcc_lo, 0x42b17218, v104
	v_cndmask_b32_e32 v104, 0x7f800000, v105, vcc_lo
	s_delay_alu instid0(VALU_DEP_1) | instskip(NEXT) | instid1(VALU_DEP_1)
	v_add_f32_e32 v104, 1.0, v104
	v_rcp_f32_e32 v104, v104
	s_waitcnt_depctr 0xfff
	v_fma_f32 v181, v104, -2.0, 1.0
.LBB25_61:                              ;   in Loop: Header=BB25_51 Depth=2
	s_and_not1_saveexec_b32 s3, s3
; %bb.62:                               ;   in Loop: Header=BB25_51 Depth=2
	v_mul_f32_e32 v104, v98, v98
	s_delay_alu instid0(VALU_DEP_1) | instskip(NEXT) | instid1(VALU_DEP_1)
	v_fmaak_f32 v105, s49, v104, 0x3ca908c9
	v_fmaak_f32 v105, v104, v105, 0xbd5c1c4e
	s_delay_alu instid0(VALU_DEP_1) | instskip(NEXT) | instid1(VALU_DEP_1)
	v_fmaak_f32 v105, v104, v105, 0x3e088382
	v_fmaak_f32 v105, v104, v105, 0xbeaaaa99
	s_delay_alu instid0(VALU_DEP_1) | instskip(NEXT) | instid1(VALU_DEP_1)
	v_mul_f32_e64 v105, |v98|, v105
	v_fma_f32 v181, v104, v105, |v98|
; %bb.63:                               ;   in Loop: Header=BB25_51 Depth=2
	s_or_b32 exec_lo, exec_lo, s3
	v_cmp_ngt_f32_e64 s3, 0x3f200000, |v99|
                                        ; implicit-def: $vgpr182
	s_delay_alu instid0(VALU_DEP_1) | instskip(NEXT) | instid1(SALU_CYCLE_1)
	s_and_saveexec_b32 s4, s3
	s_xor_b32 s3, exec_lo, s4
	s_cbranch_execz .LBB25_65
; %bb.64:                               ;   in Loop: Header=BB25_51 Depth=2
	v_add_f32_e64 v104, |v99|, |v99|
	s_delay_alu instid0(VALU_DEP_1) | instskip(SKIP_1) | instid1(VALU_DEP_2)
	v_mul_f32_e32 v105, 0x3fb8aa3b, v104
	v_cmp_ngt_f32_e32 vcc_lo, 0xc2ce8ed0, v104
	v_rndne_f32_e32 v106, v105
	v_fma_f32 v107, 0x3fb8aa3b, v104, -v105
	s_delay_alu instid0(VALU_DEP_2) | instskip(NEXT) | instid1(VALU_DEP_2)
	v_sub_f32_e32 v105, v105, v106
	v_fmac_f32_e32 v107, 0x32a5705f, v104
	v_cvt_i32_f32_e32 v106, v106
	s_delay_alu instid0(VALU_DEP_2) | instskip(NEXT) | instid1(VALU_DEP_1)
	v_add_f32_e32 v105, v105, v107
	v_exp_f32_e32 v105, v105
	s_waitcnt_depctr 0xfff
	v_ldexp_f32 v105, v105, v106
	s_delay_alu instid0(VALU_DEP_1) | instskip(SKIP_1) | instid1(VALU_DEP_2)
	v_cndmask_b32_e32 v105, 0, v105, vcc_lo
	v_cmp_nlt_f32_e32 vcc_lo, 0x42b17218, v104
	v_cndmask_b32_e32 v104, 0x7f800000, v105, vcc_lo
	s_delay_alu instid0(VALU_DEP_1) | instskip(NEXT) | instid1(VALU_DEP_1)
	v_add_f32_e32 v104, 1.0, v104
	v_rcp_f32_e32 v104, v104
	s_waitcnt_depctr 0xfff
	v_fma_f32 v182, v104, -2.0, 1.0
.LBB25_65:                              ;   in Loop: Header=BB25_51 Depth=2
	s_and_not1_saveexec_b32 s3, s3
; %bb.66:                               ;   in Loop: Header=BB25_51 Depth=2
	v_mul_f32_e32 v104, v99, v99
	s_delay_alu instid0(VALU_DEP_1) | instskip(NEXT) | instid1(VALU_DEP_1)
	v_fmaak_f32 v105, s49, v104, 0x3ca908c9
	v_fmaak_f32 v105, v104, v105, 0xbd5c1c4e
	s_delay_alu instid0(VALU_DEP_1) | instskip(NEXT) | instid1(VALU_DEP_1)
	v_fmaak_f32 v105, v104, v105, 0x3e088382
	v_fmaak_f32 v105, v104, v105, 0xbeaaaa99
	s_delay_alu instid0(VALU_DEP_1) | instskip(NEXT) | instid1(VALU_DEP_1)
	v_mul_f32_e64 v105, |v99|, v105
	v_fma_f32 v182, v104, v105, |v99|
; %bb.67:                               ;   in Loop: Header=BB25_51 Depth=2
	s_or_b32 exec_lo, exec_lo, s3
	v_cmp_ngt_f32_e64 s3, 0x3f200000, |v100|
                                        ; implicit-def: $vgpr183
	s_delay_alu instid0(VALU_DEP_1) | instskip(NEXT) | instid1(SALU_CYCLE_1)
	s_and_saveexec_b32 s4, s3
	s_xor_b32 s3, exec_lo, s4
	s_cbranch_execz .LBB25_69
; %bb.68:                               ;   in Loop: Header=BB25_51 Depth=2
	v_add_f32_e64 v104, |v100|, |v100|
	s_delay_alu instid0(VALU_DEP_1) | instskip(SKIP_1) | instid1(VALU_DEP_2)
	v_mul_f32_e32 v105, 0x3fb8aa3b, v104
	v_cmp_ngt_f32_e32 vcc_lo, 0xc2ce8ed0, v104
	v_rndne_f32_e32 v106, v105
	v_fma_f32 v107, 0x3fb8aa3b, v104, -v105
	s_delay_alu instid0(VALU_DEP_2) | instskip(NEXT) | instid1(VALU_DEP_2)
	v_sub_f32_e32 v105, v105, v106
	v_fmac_f32_e32 v107, 0x32a5705f, v104
	v_cvt_i32_f32_e32 v106, v106
	s_delay_alu instid0(VALU_DEP_2) | instskip(NEXT) | instid1(VALU_DEP_1)
	v_add_f32_e32 v105, v105, v107
	v_exp_f32_e32 v105, v105
	s_waitcnt_depctr 0xfff
	v_ldexp_f32 v105, v105, v106
	s_delay_alu instid0(VALU_DEP_1) | instskip(SKIP_1) | instid1(VALU_DEP_2)
	v_cndmask_b32_e32 v105, 0, v105, vcc_lo
	v_cmp_nlt_f32_e32 vcc_lo, 0x42b17218, v104
	v_cndmask_b32_e32 v104, 0x7f800000, v105, vcc_lo
	s_delay_alu instid0(VALU_DEP_1) | instskip(NEXT) | instid1(VALU_DEP_1)
	v_add_f32_e32 v104, 1.0, v104
	v_rcp_f32_e32 v104, v104
	s_waitcnt_depctr 0xfff
	v_fma_f32 v183, v104, -2.0, 1.0
.LBB25_69:                              ;   in Loop: Header=BB25_51 Depth=2
	s_and_not1_saveexec_b32 s3, s3
; %bb.70:                               ;   in Loop: Header=BB25_51 Depth=2
	v_mul_f32_e32 v104, v100, v100
	s_delay_alu instid0(VALU_DEP_1) | instskip(NEXT) | instid1(VALU_DEP_1)
	v_fmaak_f32 v105, s49, v104, 0x3ca908c9
	v_fmaak_f32 v105, v104, v105, 0xbd5c1c4e
	s_delay_alu instid0(VALU_DEP_1) | instskip(NEXT) | instid1(VALU_DEP_1)
	v_fmaak_f32 v105, v104, v105, 0x3e088382
	v_fmaak_f32 v105, v104, v105, 0xbeaaaa99
	s_delay_alu instid0(VALU_DEP_1) | instskip(NEXT) | instid1(VALU_DEP_1)
	v_mul_f32_e64 v105, |v100|, v105
	v_fma_f32 v183, v104, v105, |v100|
; %bb.71:                               ;   in Loop: Header=BB25_51 Depth=2
	s_or_b32 exec_lo, exec_lo, s3
	v_cmp_ngt_f32_e64 s3, 0x3f200000, |v101|
                                        ; implicit-def: $vgpr184
	s_delay_alu instid0(VALU_DEP_1) | instskip(NEXT) | instid1(SALU_CYCLE_1)
	s_and_saveexec_b32 s4, s3
	s_xor_b32 s3, exec_lo, s4
	s_cbranch_execz .LBB25_73
; %bb.72:                               ;   in Loop: Header=BB25_51 Depth=2
	v_add_f32_e64 v104, |v101|, |v101|
	s_delay_alu instid0(VALU_DEP_1) | instskip(SKIP_1) | instid1(VALU_DEP_2)
	v_mul_f32_e32 v105, 0x3fb8aa3b, v104
	v_cmp_ngt_f32_e32 vcc_lo, 0xc2ce8ed0, v104
	v_rndne_f32_e32 v106, v105
	v_fma_f32 v107, 0x3fb8aa3b, v104, -v105
	s_delay_alu instid0(VALU_DEP_2) | instskip(NEXT) | instid1(VALU_DEP_2)
	v_sub_f32_e32 v105, v105, v106
	v_fmac_f32_e32 v107, 0x32a5705f, v104
	v_cvt_i32_f32_e32 v106, v106
	s_delay_alu instid0(VALU_DEP_2) | instskip(NEXT) | instid1(VALU_DEP_1)
	v_add_f32_e32 v105, v105, v107
	v_exp_f32_e32 v105, v105
	s_waitcnt_depctr 0xfff
	v_ldexp_f32 v105, v105, v106
	s_delay_alu instid0(VALU_DEP_1) | instskip(SKIP_1) | instid1(VALU_DEP_2)
	v_cndmask_b32_e32 v105, 0, v105, vcc_lo
	v_cmp_nlt_f32_e32 vcc_lo, 0x42b17218, v104
	v_cndmask_b32_e32 v104, 0x7f800000, v105, vcc_lo
	s_delay_alu instid0(VALU_DEP_1) | instskip(NEXT) | instid1(VALU_DEP_1)
	v_add_f32_e32 v104, 1.0, v104
	v_rcp_f32_e32 v104, v104
	s_waitcnt_depctr 0xfff
	v_fma_f32 v184, v104, -2.0, 1.0
.LBB25_73:                              ;   in Loop: Header=BB25_51 Depth=2
	s_and_not1_saveexec_b32 s3, s3
; %bb.74:                               ;   in Loop: Header=BB25_51 Depth=2
	v_mul_f32_e32 v104, v101, v101
	s_delay_alu instid0(VALU_DEP_1) | instskip(NEXT) | instid1(VALU_DEP_1)
	v_fmaak_f32 v105, s49, v104, 0x3ca908c9
	v_fmaak_f32 v105, v104, v105, 0xbd5c1c4e
	s_delay_alu instid0(VALU_DEP_1) | instskip(NEXT) | instid1(VALU_DEP_1)
	v_fmaak_f32 v105, v104, v105, 0x3e088382
	v_fmaak_f32 v105, v104, v105, 0xbeaaaa99
	s_delay_alu instid0(VALU_DEP_1) | instskip(NEXT) | instid1(VALU_DEP_1)
	v_mul_f32_e64 v105, |v101|, v105
	v_fma_f32 v184, v104, v105, |v101|
; %bb.75:                               ;   in Loop: Header=BB25_51 Depth=2
	s_or_b32 exec_lo, exec_lo, s3
	v_cmp_ngt_f32_e64 s3, 0x3f200000, |v102|
                                        ; implicit-def: $vgpr185
	s_delay_alu instid0(VALU_DEP_1) | instskip(NEXT) | instid1(SALU_CYCLE_1)
	s_and_saveexec_b32 s4, s3
	s_xor_b32 s3, exec_lo, s4
	s_cbranch_execz .LBB25_77
; %bb.76:                               ;   in Loop: Header=BB25_51 Depth=2
	v_add_f32_e64 v104, |v102|, |v102|
	s_delay_alu instid0(VALU_DEP_1) | instskip(SKIP_1) | instid1(VALU_DEP_2)
	v_mul_f32_e32 v105, 0x3fb8aa3b, v104
	v_cmp_ngt_f32_e32 vcc_lo, 0xc2ce8ed0, v104
	v_rndne_f32_e32 v106, v105
	v_fma_f32 v107, 0x3fb8aa3b, v104, -v105
	s_delay_alu instid0(VALU_DEP_2) | instskip(NEXT) | instid1(VALU_DEP_2)
	v_sub_f32_e32 v105, v105, v106
	v_fmac_f32_e32 v107, 0x32a5705f, v104
	v_cvt_i32_f32_e32 v106, v106
	s_delay_alu instid0(VALU_DEP_2) | instskip(NEXT) | instid1(VALU_DEP_1)
	v_add_f32_e32 v105, v105, v107
	v_exp_f32_e32 v105, v105
	s_waitcnt_depctr 0xfff
	v_ldexp_f32 v105, v105, v106
	s_delay_alu instid0(VALU_DEP_1) | instskip(SKIP_1) | instid1(VALU_DEP_2)
	v_cndmask_b32_e32 v105, 0, v105, vcc_lo
	v_cmp_nlt_f32_e32 vcc_lo, 0x42b17218, v104
	v_cndmask_b32_e32 v104, 0x7f800000, v105, vcc_lo
	s_delay_alu instid0(VALU_DEP_1) | instskip(NEXT) | instid1(VALU_DEP_1)
	v_add_f32_e32 v104, 1.0, v104
	v_rcp_f32_e32 v104, v104
	s_waitcnt_depctr 0xfff
	v_fma_f32 v185, v104, -2.0, 1.0
.LBB25_77:                              ;   in Loop: Header=BB25_51 Depth=2
	s_and_not1_saveexec_b32 s3, s3
; %bb.78:                               ;   in Loop: Header=BB25_51 Depth=2
	v_mul_f32_e32 v104, v102, v102
	s_delay_alu instid0(VALU_DEP_1) | instskip(NEXT) | instid1(VALU_DEP_1)
	v_fmaak_f32 v105, s49, v104, 0x3ca908c9
	v_fmaak_f32 v105, v104, v105, 0xbd5c1c4e
	s_delay_alu instid0(VALU_DEP_1) | instskip(NEXT) | instid1(VALU_DEP_1)
	v_fmaak_f32 v105, v104, v105, 0x3e088382
	v_fmaak_f32 v105, v104, v105, 0xbeaaaa99
	s_delay_alu instid0(VALU_DEP_1) | instskip(NEXT) | instid1(VALU_DEP_1)
	v_mul_f32_e64 v105, |v102|, v105
	v_fma_f32 v185, v104, v105, |v102|
; %bb.79:                               ;   in Loop: Header=BB25_51 Depth=2
	s_or_b32 exec_lo, exec_lo, s3
	v_cmp_ngt_f32_e64 s3, 0x3f200000, |v103|
                                        ; implicit-def: $vgpr186
	s_delay_alu instid0(VALU_DEP_1) | instskip(NEXT) | instid1(SALU_CYCLE_1)
	s_and_saveexec_b32 s4, s3
	s_xor_b32 s3, exec_lo, s4
	s_cbranch_execz .LBB25_81
; %bb.80:                               ;   in Loop: Header=BB25_51 Depth=2
	v_add_f32_e64 v104, |v103|, |v103|
	s_delay_alu instid0(VALU_DEP_1) | instskip(SKIP_1) | instid1(VALU_DEP_2)
	v_mul_f32_e32 v105, 0x3fb8aa3b, v104
	v_cmp_ngt_f32_e32 vcc_lo, 0xc2ce8ed0, v104
	v_rndne_f32_e32 v106, v105
	v_fma_f32 v107, 0x3fb8aa3b, v104, -v105
	s_delay_alu instid0(VALU_DEP_2) | instskip(NEXT) | instid1(VALU_DEP_2)
	v_sub_f32_e32 v105, v105, v106
	v_fmac_f32_e32 v107, 0x32a5705f, v104
	v_cvt_i32_f32_e32 v106, v106
	s_delay_alu instid0(VALU_DEP_2) | instskip(NEXT) | instid1(VALU_DEP_1)
	v_add_f32_e32 v105, v105, v107
	v_exp_f32_e32 v105, v105
	s_waitcnt_depctr 0xfff
	v_ldexp_f32 v105, v105, v106
	s_delay_alu instid0(VALU_DEP_1) | instskip(SKIP_1) | instid1(VALU_DEP_2)
	v_cndmask_b32_e32 v105, 0, v105, vcc_lo
	v_cmp_nlt_f32_e32 vcc_lo, 0x42b17218, v104
	v_cndmask_b32_e32 v104, 0x7f800000, v105, vcc_lo
	s_delay_alu instid0(VALU_DEP_1) | instskip(NEXT) | instid1(VALU_DEP_1)
	v_add_f32_e32 v104, 1.0, v104
	v_rcp_f32_e32 v104, v104
	s_waitcnt_depctr 0xfff
	v_fma_f32 v186, v104, -2.0, 1.0
.LBB25_81:                              ;   in Loop: Header=BB25_51 Depth=2
	s_and_not1_saveexec_b32 s3, s3
; %bb.82:                               ;   in Loop: Header=BB25_51 Depth=2
	v_mul_f32_e32 v104, v103, v103
	s_delay_alu instid0(VALU_DEP_1) | instskip(NEXT) | instid1(VALU_DEP_1)
	v_fmaak_f32 v105, s49, v104, 0x3ca908c9
	v_fmaak_f32 v105, v104, v105, 0xbd5c1c4e
	s_delay_alu instid0(VALU_DEP_1) | instskip(NEXT) | instid1(VALU_DEP_1)
	v_fmaak_f32 v105, v104, v105, 0x3e088382
	v_fmaak_f32 v105, v104, v105, 0xbeaaaa99
	s_delay_alu instid0(VALU_DEP_1) | instskip(NEXT) | instid1(VALU_DEP_1)
	v_mul_f32_e64 v105, |v103|, v105
	v_fma_f32 v186, v104, v105, |v103|
; %bb.83:                               ;   in Loop: Header=BB25_51 Depth=2
	s_or_b32 exec_lo, exec_lo, s3
	v_dual_mov_b32 v194, s43 :: v_dual_mov_b32 v193, s42
	v_dual_mov_b32 v192, s41 :: v_dual_mov_b32 v191, s40
	v_dual_mov_b32 v190, s39 :: v_dual_mov_b32 v189, s38
	v_dual_mov_b32 v188, s37 :: v_dual_mov_b32 v187, s36
	s_delay_alu instid0(VALU_DEP_1) | instskip(NEXT) | instid1(VALU_DEP_1)
	v_wmma_f32_16x16x16_f16 v[104:111], v[168:175], v[40:47], v[187:194]
	v_wmma_f32_16x16x16_f16 v[104:111], v[160:167], v[32:39], v[104:111]
	s_delay_alu instid0(VALU_DEP_1) | instskip(NEXT) | instid1(VALU_DEP_1)
	v_wmma_f32_16x16x16_f16 v[104:111], v[152:159], v[48:55], v[104:111]
	v_wmma_f32_16x16x16_f16 v[104:111], v[144:151], v[56:63], v[104:111]
	;; [unrolled: 3-line block ×4, first 2 shown]
                                        ; implicit-def: $vgpr116
	s_delay_alu instid0(VALU_DEP_1) | instskip(NEXT) | instid1(VALU_DEP_1)
	v_cmp_ngt_f32_e64 s3, 0x3f200000, |v104|
	s_and_saveexec_b32 s4, s3
	s_delay_alu instid0(SALU_CYCLE_1)
	s_xor_b32 s3, exec_lo, s4
	s_cbranch_execz .LBB25_85
; %bb.84:                               ;   in Loop: Header=BB25_51 Depth=2
	v_add_f32_e64 v112, |v104|, |v104|
	s_delay_alu instid0(VALU_DEP_1) | instskip(SKIP_1) | instid1(VALU_DEP_2)
	v_mul_f32_e32 v113, 0x3fb8aa3b, v112
	v_cmp_ngt_f32_e32 vcc_lo, 0xc2ce8ed0, v112
	v_rndne_f32_e32 v114, v113
	v_fma_f32 v115, 0x3fb8aa3b, v112, -v113
	s_delay_alu instid0(VALU_DEP_2) | instskip(NEXT) | instid1(VALU_DEP_2)
	v_sub_f32_e32 v113, v113, v114
	v_fmac_f32_e32 v115, 0x32a5705f, v112
	v_cvt_i32_f32_e32 v114, v114
	s_delay_alu instid0(VALU_DEP_2) | instskip(NEXT) | instid1(VALU_DEP_1)
	v_add_f32_e32 v113, v113, v115
	v_exp_f32_e32 v113, v113
	s_waitcnt_depctr 0xfff
	v_ldexp_f32 v113, v113, v114
	s_delay_alu instid0(VALU_DEP_1) | instskip(SKIP_1) | instid1(VALU_DEP_2)
	v_cndmask_b32_e32 v113, 0, v113, vcc_lo
	v_cmp_nlt_f32_e32 vcc_lo, 0x42b17218, v112
	v_cndmask_b32_e32 v112, 0x7f800000, v113, vcc_lo
	s_delay_alu instid0(VALU_DEP_1) | instskip(NEXT) | instid1(VALU_DEP_1)
	v_add_f32_e32 v112, 1.0, v112
	v_rcp_f32_e32 v112, v112
	s_waitcnt_depctr 0xfff
	v_fma_f32 v116, v112, -2.0, 1.0
.LBB25_85:                              ;   in Loop: Header=BB25_51 Depth=2
	s_and_not1_saveexec_b32 s3, s3
; %bb.86:                               ;   in Loop: Header=BB25_51 Depth=2
	v_mul_f32_e32 v112, v104, v104
	s_delay_alu instid0(VALU_DEP_1) | instskip(NEXT) | instid1(VALU_DEP_1)
	v_fmaak_f32 v113, s49, v112, 0x3ca908c9
	v_fmaak_f32 v113, v112, v113, 0xbd5c1c4e
	s_delay_alu instid0(VALU_DEP_1) | instskip(NEXT) | instid1(VALU_DEP_1)
	v_fmaak_f32 v113, v112, v113, 0x3e088382
	v_fmaak_f32 v113, v112, v113, 0xbeaaaa99
	s_delay_alu instid0(VALU_DEP_1) | instskip(NEXT) | instid1(VALU_DEP_1)
	v_mul_f32_e64 v113, |v104|, v113
	v_fma_f32 v116, v112, v113, |v104|
; %bb.87:                               ;   in Loop: Header=BB25_51 Depth=2
	s_or_b32 exec_lo, exec_lo, s3
	v_cmp_ngt_f32_e64 s3, 0x3f200000, |v105|
                                        ; implicit-def: $vgpr117
	s_delay_alu instid0(VALU_DEP_1) | instskip(NEXT) | instid1(SALU_CYCLE_1)
	s_and_saveexec_b32 s4, s3
	s_xor_b32 s3, exec_lo, s4
	s_cbranch_execz .LBB25_89
; %bb.88:                               ;   in Loop: Header=BB25_51 Depth=2
	v_add_f32_e64 v112, |v105|, |v105|
	s_delay_alu instid0(VALU_DEP_1) | instskip(SKIP_1) | instid1(VALU_DEP_2)
	v_mul_f32_e32 v113, 0x3fb8aa3b, v112
	v_cmp_ngt_f32_e32 vcc_lo, 0xc2ce8ed0, v112
	v_rndne_f32_e32 v114, v113
	v_fma_f32 v115, 0x3fb8aa3b, v112, -v113
	s_delay_alu instid0(VALU_DEP_2) | instskip(NEXT) | instid1(VALU_DEP_2)
	v_sub_f32_e32 v113, v113, v114
	v_fmac_f32_e32 v115, 0x32a5705f, v112
	v_cvt_i32_f32_e32 v114, v114
	s_delay_alu instid0(VALU_DEP_2) | instskip(NEXT) | instid1(VALU_DEP_1)
	v_add_f32_e32 v113, v113, v115
	v_exp_f32_e32 v113, v113
	s_waitcnt_depctr 0xfff
	v_ldexp_f32 v113, v113, v114
	s_delay_alu instid0(VALU_DEP_1) | instskip(SKIP_1) | instid1(VALU_DEP_2)
	v_cndmask_b32_e32 v113, 0, v113, vcc_lo
	v_cmp_nlt_f32_e32 vcc_lo, 0x42b17218, v112
	v_cndmask_b32_e32 v112, 0x7f800000, v113, vcc_lo
	s_delay_alu instid0(VALU_DEP_1) | instskip(NEXT) | instid1(VALU_DEP_1)
	v_add_f32_e32 v112, 1.0, v112
	v_rcp_f32_e32 v112, v112
	s_waitcnt_depctr 0xfff
	v_fma_f32 v117, v112, -2.0, 1.0
.LBB25_89:                              ;   in Loop: Header=BB25_51 Depth=2
	s_and_not1_saveexec_b32 s3, s3
; %bb.90:                               ;   in Loop: Header=BB25_51 Depth=2
	v_mul_f32_e32 v112, v105, v105
	s_delay_alu instid0(VALU_DEP_1) | instskip(NEXT) | instid1(VALU_DEP_1)
	v_fmaak_f32 v113, s49, v112, 0x3ca908c9
	v_fmaak_f32 v113, v112, v113, 0xbd5c1c4e
	s_delay_alu instid0(VALU_DEP_1) | instskip(NEXT) | instid1(VALU_DEP_1)
	v_fmaak_f32 v113, v112, v113, 0x3e088382
	v_fmaak_f32 v113, v112, v113, 0xbeaaaa99
	s_delay_alu instid0(VALU_DEP_1) | instskip(NEXT) | instid1(VALU_DEP_1)
	v_mul_f32_e64 v113, |v105|, v113
	v_fma_f32 v117, v112, v113, |v105|
; %bb.91:                               ;   in Loop: Header=BB25_51 Depth=2
	s_or_b32 exec_lo, exec_lo, s3
	v_cmp_ngt_f32_e64 s3, 0x3f200000, |v106|
                                        ; implicit-def: $vgpr118
	s_delay_alu instid0(VALU_DEP_1) | instskip(NEXT) | instid1(SALU_CYCLE_1)
	s_and_saveexec_b32 s4, s3
	s_xor_b32 s3, exec_lo, s4
	s_cbranch_execz .LBB25_93
; %bb.92:                               ;   in Loop: Header=BB25_51 Depth=2
	v_add_f32_e64 v112, |v106|, |v106|
	s_delay_alu instid0(VALU_DEP_1) | instskip(SKIP_1) | instid1(VALU_DEP_2)
	v_mul_f32_e32 v113, 0x3fb8aa3b, v112
	v_cmp_ngt_f32_e32 vcc_lo, 0xc2ce8ed0, v112
	v_rndne_f32_e32 v114, v113
	v_fma_f32 v115, 0x3fb8aa3b, v112, -v113
	s_delay_alu instid0(VALU_DEP_2) | instskip(NEXT) | instid1(VALU_DEP_2)
	v_sub_f32_e32 v113, v113, v114
	v_fmac_f32_e32 v115, 0x32a5705f, v112
	v_cvt_i32_f32_e32 v114, v114
	s_delay_alu instid0(VALU_DEP_2) | instskip(NEXT) | instid1(VALU_DEP_1)
	v_add_f32_e32 v113, v113, v115
	v_exp_f32_e32 v113, v113
	s_waitcnt_depctr 0xfff
	v_ldexp_f32 v113, v113, v114
	s_delay_alu instid0(VALU_DEP_1) | instskip(SKIP_1) | instid1(VALU_DEP_2)
	v_cndmask_b32_e32 v113, 0, v113, vcc_lo
	v_cmp_nlt_f32_e32 vcc_lo, 0x42b17218, v112
	v_cndmask_b32_e32 v112, 0x7f800000, v113, vcc_lo
	s_delay_alu instid0(VALU_DEP_1) | instskip(NEXT) | instid1(VALU_DEP_1)
	v_add_f32_e32 v112, 1.0, v112
	v_rcp_f32_e32 v112, v112
	s_waitcnt_depctr 0xfff
	v_fma_f32 v118, v112, -2.0, 1.0
.LBB25_93:                              ;   in Loop: Header=BB25_51 Depth=2
	s_and_not1_saveexec_b32 s3, s3
; %bb.94:                               ;   in Loop: Header=BB25_51 Depth=2
	v_mul_f32_e32 v112, v106, v106
	s_delay_alu instid0(VALU_DEP_1) | instskip(NEXT) | instid1(VALU_DEP_1)
	v_fmaak_f32 v113, s49, v112, 0x3ca908c9
	v_fmaak_f32 v113, v112, v113, 0xbd5c1c4e
	s_delay_alu instid0(VALU_DEP_1) | instskip(NEXT) | instid1(VALU_DEP_1)
	v_fmaak_f32 v113, v112, v113, 0x3e088382
	v_fmaak_f32 v113, v112, v113, 0xbeaaaa99
	s_delay_alu instid0(VALU_DEP_1) | instskip(NEXT) | instid1(VALU_DEP_1)
	v_mul_f32_e64 v113, |v106|, v113
	v_fma_f32 v118, v112, v113, |v106|
; %bb.95:                               ;   in Loop: Header=BB25_51 Depth=2
	s_or_b32 exec_lo, exec_lo, s3
	v_cmp_ngt_f32_e64 s3, 0x3f200000, |v107|
                                        ; implicit-def: $vgpr119
	s_delay_alu instid0(VALU_DEP_1) | instskip(NEXT) | instid1(SALU_CYCLE_1)
	s_and_saveexec_b32 s4, s3
	s_xor_b32 s3, exec_lo, s4
	s_cbranch_execz .LBB25_97
; %bb.96:                               ;   in Loop: Header=BB25_51 Depth=2
	v_add_f32_e64 v112, |v107|, |v107|
	s_delay_alu instid0(VALU_DEP_1) | instskip(SKIP_1) | instid1(VALU_DEP_2)
	v_mul_f32_e32 v113, 0x3fb8aa3b, v112
	v_cmp_ngt_f32_e32 vcc_lo, 0xc2ce8ed0, v112
	v_rndne_f32_e32 v114, v113
	v_fma_f32 v115, 0x3fb8aa3b, v112, -v113
	s_delay_alu instid0(VALU_DEP_2) | instskip(NEXT) | instid1(VALU_DEP_2)
	v_sub_f32_e32 v113, v113, v114
	v_fmac_f32_e32 v115, 0x32a5705f, v112
	v_cvt_i32_f32_e32 v114, v114
	s_delay_alu instid0(VALU_DEP_2) | instskip(NEXT) | instid1(VALU_DEP_1)
	v_add_f32_e32 v113, v113, v115
	v_exp_f32_e32 v113, v113
	s_waitcnt_depctr 0xfff
	v_ldexp_f32 v113, v113, v114
	s_delay_alu instid0(VALU_DEP_1) | instskip(SKIP_1) | instid1(VALU_DEP_2)
	v_cndmask_b32_e32 v113, 0, v113, vcc_lo
	v_cmp_nlt_f32_e32 vcc_lo, 0x42b17218, v112
	v_cndmask_b32_e32 v112, 0x7f800000, v113, vcc_lo
	s_delay_alu instid0(VALU_DEP_1) | instskip(NEXT) | instid1(VALU_DEP_1)
	v_add_f32_e32 v112, 1.0, v112
	v_rcp_f32_e32 v112, v112
	s_waitcnt_depctr 0xfff
	v_fma_f32 v119, v112, -2.0, 1.0
.LBB25_97:                              ;   in Loop: Header=BB25_51 Depth=2
	s_and_not1_saveexec_b32 s3, s3
; %bb.98:                               ;   in Loop: Header=BB25_51 Depth=2
	v_mul_f32_e32 v112, v107, v107
	s_delay_alu instid0(VALU_DEP_1) | instskip(NEXT) | instid1(VALU_DEP_1)
	v_fmaak_f32 v113, s49, v112, 0x3ca908c9
	v_fmaak_f32 v113, v112, v113, 0xbd5c1c4e
	s_delay_alu instid0(VALU_DEP_1) | instskip(NEXT) | instid1(VALU_DEP_1)
	v_fmaak_f32 v113, v112, v113, 0x3e088382
	v_fmaak_f32 v113, v112, v113, 0xbeaaaa99
	s_delay_alu instid0(VALU_DEP_1) | instskip(NEXT) | instid1(VALU_DEP_1)
	v_mul_f32_e64 v113, |v107|, v113
	v_fma_f32 v119, v112, v113, |v107|
; %bb.99:                               ;   in Loop: Header=BB25_51 Depth=2
	s_or_b32 exec_lo, exec_lo, s3
	v_cmp_ngt_f32_e64 s3, 0x3f200000, |v108|
                                        ; implicit-def: $vgpr120
	s_delay_alu instid0(VALU_DEP_1) | instskip(NEXT) | instid1(SALU_CYCLE_1)
	s_and_saveexec_b32 s4, s3
	s_xor_b32 s3, exec_lo, s4
	s_cbranch_execz .LBB25_101
; %bb.100:                              ;   in Loop: Header=BB25_51 Depth=2
	v_add_f32_e64 v112, |v108|, |v108|
	s_delay_alu instid0(VALU_DEP_1) | instskip(SKIP_1) | instid1(VALU_DEP_2)
	v_mul_f32_e32 v113, 0x3fb8aa3b, v112
	v_cmp_ngt_f32_e32 vcc_lo, 0xc2ce8ed0, v112
	v_rndne_f32_e32 v114, v113
	v_fma_f32 v115, 0x3fb8aa3b, v112, -v113
	s_delay_alu instid0(VALU_DEP_2) | instskip(NEXT) | instid1(VALU_DEP_2)
	v_sub_f32_e32 v113, v113, v114
	v_fmac_f32_e32 v115, 0x32a5705f, v112
	v_cvt_i32_f32_e32 v114, v114
	s_delay_alu instid0(VALU_DEP_2) | instskip(NEXT) | instid1(VALU_DEP_1)
	v_add_f32_e32 v113, v113, v115
	v_exp_f32_e32 v113, v113
	s_waitcnt_depctr 0xfff
	v_ldexp_f32 v113, v113, v114
	s_delay_alu instid0(VALU_DEP_1) | instskip(SKIP_1) | instid1(VALU_DEP_2)
	v_cndmask_b32_e32 v113, 0, v113, vcc_lo
	v_cmp_nlt_f32_e32 vcc_lo, 0x42b17218, v112
	v_cndmask_b32_e32 v112, 0x7f800000, v113, vcc_lo
	s_delay_alu instid0(VALU_DEP_1) | instskip(NEXT) | instid1(VALU_DEP_1)
	v_add_f32_e32 v112, 1.0, v112
	v_rcp_f32_e32 v112, v112
	s_waitcnt_depctr 0xfff
	v_fma_f32 v120, v112, -2.0, 1.0
.LBB25_101:                             ;   in Loop: Header=BB25_51 Depth=2
	s_and_not1_saveexec_b32 s3, s3
; %bb.102:                              ;   in Loop: Header=BB25_51 Depth=2
	v_mul_f32_e32 v112, v108, v108
	s_delay_alu instid0(VALU_DEP_1) | instskip(NEXT) | instid1(VALU_DEP_1)
	v_fmaak_f32 v113, s49, v112, 0x3ca908c9
	v_fmaak_f32 v113, v112, v113, 0xbd5c1c4e
	s_delay_alu instid0(VALU_DEP_1) | instskip(NEXT) | instid1(VALU_DEP_1)
	v_fmaak_f32 v113, v112, v113, 0x3e088382
	v_fmaak_f32 v113, v112, v113, 0xbeaaaa99
	s_delay_alu instid0(VALU_DEP_1) | instskip(NEXT) | instid1(VALU_DEP_1)
	v_mul_f32_e64 v113, |v108|, v113
	v_fma_f32 v120, v112, v113, |v108|
; %bb.103:                              ;   in Loop: Header=BB25_51 Depth=2
	s_or_b32 exec_lo, exec_lo, s3
	v_cmp_ngt_f32_e64 s3, 0x3f200000, |v109|
                                        ; implicit-def: $vgpr121
	s_delay_alu instid0(VALU_DEP_1) | instskip(NEXT) | instid1(SALU_CYCLE_1)
	s_and_saveexec_b32 s4, s3
	s_xor_b32 s3, exec_lo, s4
	s_cbranch_execz .LBB25_105
; %bb.104:                              ;   in Loop: Header=BB25_51 Depth=2
	v_add_f32_e64 v112, |v109|, |v109|
	s_delay_alu instid0(VALU_DEP_1) | instskip(SKIP_1) | instid1(VALU_DEP_2)
	v_mul_f32_e32 v113, 0x3fb8aa3b, v112
	v_cmp_ngt_f32_e32 vcc_lo, 0xc2ce8ed0, v112
	v_rndne_f32_e32 v114, v113
	v_fma_f32 v115, 0x3fb8aa3b, v112, -v113
	s_delay_alu instid0(VALU_DEP_2) | instskip(NEXT) | instid1(VALU_DEP_2)
	v_sub_f32_e32 v113, v113, v114
	v_fmac_f32_e32 v115, 0x32a5705f, v112
	v_cvt_i32_f32_e32 v114, v114
	s_delay_alu instid0(VALU_DEP_2) | instskip(NEXT) | instid1(VALU_DEP_1)
	v_add_f32_e32 v113, v113, v115
	v_exp_f32_e32 v113, v113
	s_waitcnt_depctr 0xfff
	v_ldexp_f32 v113, v113, v114
	s_delay_alu instid0(VALU_DEP_1) | instskip(SKIP_1) | instid1(VALU_DEP_2)
	v_cndmask_b32_e32 v113, 0, v113, vcc_lo
	v_cmp_nlt_f32_e32 vcc_lo, 0x42b17218, v112
	v_cndmask_b32_e32 v112, 0x7f800000, v113, vcc_lo
	s_delay_alu instid0(VALU_DEP_1) | instskip(NEXT) | instid1(VALU_DEP_1)
	v_add_f32_e32 v112, 1.0, v112
	v_rcp_f32_e32 v112, v112
	s_waitcnt_depctr 0xfff
	v_fma_f32 v121, v112, -2.0, 1.0
.LBB25_105:                             ;   in Loop: Header=BB25_51 Depth=2
	s_and_not1_saveexec_b32 s3, s3
; %bb.106:                              ;   in Loop: Header=BB25_51 Depth=2
	v_mul_f32_e32 v112, v109, v109
	s_delay_alu instid0(VALU_DEP_1) | instskip(NEXT) | instid1(VALU_DEP_1)
	v_fmaak_f32 v113, s49, v112, 0x3ca908c9
	v_fmaak_f32 v113, v112, v113, 0xbd5c1c4e
	s_delay_alu instid0(VALU_DEP_1) | instskip(NEXT) | instid1(VALU_DEP_1)
	v_fmaak_f32 v113, v112, v113, 0x3e088382
	v_fmaak_f32 v113, v112, v113, 0xbeaaaa99
	s_delay_alu instid0(VALU_DEP_1) | instskip(NEXT) | instid1(VALU_DEP_1)
	v_mul_f32_e64 v113, |v109|, v113
	v_fma_f32 v121, v112, v113, |v109|
; %bb.107:                              ;   in Loop: Header=BB25_51 Depth=2
	s_or_b32 exec_lo, exec_lo, s3
	v_cmp_ngt_f32_e64 s3, 0x3f200000, |v110|
                                        ; implicit-def: $vgpr122
	s_delay_alu instid0(VALU_DEP_1) | instskip(NEXT) | instid1(SALU_CYCLE_1)
	s_and_saveexec_b32 s4, s3
	s_xor_b32 s3, exec_lo, s4
	s_cbranch_execz .LBB25_109
; %bb.108:                              ;   in Loop: Header=BB25_51 Depth=2
	v_add_f32_e64 v112, |v110|, |v110|
	s_delay_alu instid0(VALU_DEP_1) | instskip(SKIP_1) | instid1(VALU_DEP_2)
	v_mul_f32_e32 v113, 0x3fb8aa3b, v112
	v_cmp_ngt_f32_e32 vcc_lo, 0xc2ce8ed0, v112
	v_rndne_f32_e32 v114, v113
	v_fma_f32 v115, 0x3fb8aa3b, v112, -v113
	s_delay_alu instid0(VALU_DEP_2) | instskip(NEXT) | instid1(VALU_DEP_2)
	v_sub_f32_e32 v113, v113, v114
	v_fmac_f32_e32 v115, 0x32a5705f, v112
	v_cvt_i32_f32_e32 v114, v114
	s_delay_alu instid0(VALU_DEP_2) | instskip(NEXT) | instid1(VALU_DEP_1)
	v_add_f32_e32 v113, v113, v115
	v_exp_f32_e32 v113, v113
	s_waitcnt_depctr 0xfff
	v_ldexp_f32 v113, v113, v114
	s_delay_alu instid0(VALU_DEP_1) | instskip(SKIP_1) | instid1(VALU_DEP_2)
	v_cndmask_b32_e32 v113, 0, v113, vcc_lo
	v_cmp_nlt_f32_e32 vcc_lo, 0x42b17218, v112
	v_cndmask_b32_e32 v112, 0x7f800000, v113, vcc_lo
	s_delay_alu instid0(VALU_DEP_1) | instskip(NEXT) | instid1(VALU_DEP_1)
	v_add_f32_e32 v112, 1.0, v112
	v_rcp_f32_e32 v112, v112
	s_waitcnt_depctr 0xfff
	v_fma_f32 v122, v112, -2.0, 1.0
.LBB25_109:                             ;   in Loop: Header=BB25_51 Depth=2
	s_and_not1_saveexec_b32 s3, s3
; %bb.110:                              ;   in Loop: Header=BB25_51 Depth=2
	v_mul_f32_e32 v112, v110, v110
	s_delay_alu instid0(VALU_DEP_1) | instskip(NEXT) | instid1(VALU_DEP_1)
	v_fmaak_f32 v113, s49, v112, 0x3ca908c9
	v_fmaak_f32 v113, v112, v113, 0xbd5c1c4e
	s_delay_alu instid0(VALU_DEP_1) | instskip(NEXT) | instid1(VALU_DEP_1)
	v_fmaak_f32 v113, v112, v113, 0x3e088382
	v_fmaak_f32 v113, v112, v113, 0xbeaaaa99
	s_delay_alu instid0(VALU_DEP_1) | instskip(NEXT) | instid1(VALU_DEP_1)
	v_mul_f32_e64 v113, |v110|, v113
	v_fma_f32 v122, v112, v113, |v110|
; %bb.111:                              ;   in Loop: Header=BB25_51 Depth=2
	s_or_b32 exec_lo, exec_lo, s3
	v_cmp_ngt_f32_e64 s3, 0x3f200000, |v111|
                                        ; implicit-def: $vgpr123
	s_delay_alu instid0(VALU_DEP_1) | instskip(NEXT) | instid1(SALU_CYCLE_1)
	s_and_saveexec_b32 s4, s3
	s_xor_b32 s3, exec_lo, s4
	s_cbranch_execz .LBB25_113
; %bb.112:                              ;   in Loop: Header=BB25_51 Depth=2
	v_add_f32_e64 v112, |v111|, |v111|
	s_delay_alu instid0(VALU_DEP_1) | instskip(SKIP_1) | instid1(VALU_DEP_2)
	v_mul_f32_e32 v113, 0x3fb8aa3b, v112
	v_cmp_ngt_f32_e32 vcc_lo, 0xc2ce8ed0, v112
	v_rndne_f32_e32 v114, v113
	v_fma_f32 v115, 0x3fb8aa3b, v112, -v113
	s_delay_alu instid0(VALU_DEP_2) | instskip(NEXT) | instid1(VALU_DEP_2)
	v_sub_f32_e32 v113, v113, v114
	v_fmac_f32_e32 v115, 0x32a5705f, v112
	v_cvt_i32_f32_e32 v114, v114
	s_delay_alu instid0(VALU_DEP_2) | instskip(NEXT) | instid1(VALU_DEP_1)
	v_add_f32_e32 v113, v113, v115
	v_exp_f32_e32 v113, v113
	s_waitcnt_depctr 0xfff
	v_ldexp_f32 v113, v113, v114
	s_delay_alu instid0(VALU_DEP_1) | instskip(SKIP_1) | instid1(VALU_DEP_2)
	v_cndmask_b32_e32 v113, 0, v113, vcc_lo
	v_cmp_nlt_f32_e32 vcc_lo, 0x42b17218, v112
	v_cndmask_b32_e32 v112, 0x7f800000, v113, vcc_lo
	s_delay_alu instid0(VALU_DEP_1) | instskip(NEXT) | instid1(VALU_DEP_1)
	v_add_f32_e32 v112, 1.0, v112
	v_rcp_f32_e32 v112, v112
	s_waitcnt_depctr 0xfff
	v_fma_f32 v123, v112, -2.0, 1.0
.LBB25_113:                             ;   in Loop: Header=BB25_51 Depth=2
	s_and_not1_saveexec_b32 s3, s3
; %bb.114:                              ;   in Loop: Header=BB25_51 Depth=2
	v_mul_f32_e32 v112, v111, v111
	s_delay_alu instid0(VALU_DEP_1) | instskip(NEXT) | instid1(VALU_DEP_1)
	v_fmaak_f32 v113, s49, v112, 0x3ca908c9
	v_fmaak_f32 v113, v112, v113, 0xbd5c1c4e
	s_delay_alu instid0(VALU_DEP_1) | instskip(NEXT) | instid1(VALU_DEP_1)
	v_fmaak_f32 v113, v112, v113, 0x3e088382
	v_fmaak_f32 v113, v112, v113, 0xbeaaaa99
	s_delay_alu instid0(VALU_DEP_1) | instskip(NEXT) | instid1(VALU_DEP_1)
	v_mul_f32_e64 v113, |v111|, v113
	v_fma_f32 v123, v112, v113, |v111|
; %bb.115:                              ;   in Loop: Header=BB25_51 Depth=2
	s_or_b32 exec_lo, exec_lo, s3
	v_bfi_b32 v112, 0x7fffffff, v178, v96
	v_bfi_b32 v113, 0x7fffffff, v180, v97
	;; [unrolled: 1-line block ×6, first 2 shown]
	scratch_load_b64 v[108:109], off, off offset:24 ; 8-byte Folded Reload
	v_bfi_b32 v114, 0x7fffffff, v181, v98
	v_bfi_b32 v115, 0x7fffffff, v182, v99
	v_bfi_b32 v99, 0x7fffffff, v183, v100
	v_bfi_b32 v100, 0x7fffffff, v184, v101
	v_bfi_b32 v98, 0x7fffffff, v185, v102
	v_bfi_b32 v101, 0x7fffffff, v118, v106
	v_bfi_b32 v102, 0x7fffffff, v119, v107
	v_bfi_b32 v106, 0x7fffffff, v122, v110
	v_bfi_b32 v107, 0x7fffffff, v123, v111
	scratch_load_b64 v[110:111], off, off offset:32 ; 8-byte Folded Reload
	s_mul_hi_i32 s5, s74, s10
	s_mul_i32 s4, s74, s10
	ds_load_u16 v120, v246 offset:17408
	ds_load_u16 v121, v246 offset:17412
	;; [unrolled: 1-line block ×16, first 2 shown]
	s_lshl_b64 s[4:5], s[4:5], 2
	v_bfi_b32 v103, 0x7fffffff, v186, v103
	s_add_u32 s3, s97, s4
	s_addc_u32 s4, s98, s5
	v_cmp_eq_u32_e64 s5, 1, v241
	v_add_nc_u32_e32 v148, 0x400, v247
	v_add_nc_u32_e32 v146, 0x800, v247
	s_add_i32 s102, s102, 1
	s_add_i32 s74, s74, 64
	s_cmp_lt_i32 s102, s79
	v_add_nc_u32_e32 v147, 0xc00, v247
	s_waitcnt lgkmcnt(8)
	v_fma_mix_f32 v103, v103, s33, v127 op_sel_hi:[0,0,1]
	s_waitcnt lgkmcnt(7)
	v_fma_mix_f32 v143, v96, s33, v128 op_sel_hi:[0,0,1]
	;; [unrolled: 2-line block ×6, first 2 shown]
	v_dual_add_f32 v96, 0x40051340, v143 :: v_dual_add_f32 v97, 0x40051340, v144
	s_waitcnt lgkmcnt(2)
	v_fma_mix_f32 v139, v105, s33, v133 op_sel_hi:[0,0,1]
	s_waitcnt lgkmcnt(1)
	v_fma_mix_f32 v136, v106, s33, v134 op_sel_hi:[0,0,1]
	;; [unrolled: 2-line block ×3, first 2 shown]
	s_waitcnt vmcnt(1)
	v_add_co_u32 v108, vcc_lo, s3, v108
	v_add_co_ci_u32_e32 v109, vcc_lo, s4, v109, vcc_lo
	s_delay_alu instid0(VALU_DEP_2) | instskip(NEXT) | instid1(VALU_DEP_2)
	v_add_co_u32 v108, vcc_lo, v108, v234
	v_add_co_ci_u32_e32 v109, vcc_lo, 0, v109, vcc_lo
	s_waitcnt vmcnt(0)
	v_add_co_u32 v110, vcc_lo, s3, v110
	v_add_co_ci_u32_e32 v111, vcc_lo, s4, v111, vcc_lo
	s_delay_alu instid0(VALU_DEP_2) | instskip(NEXT) | instid1(VALU_DEP_2)
	v_add_co_u32 v116, vcc_lo, v110, v234
	v_add_co_ci_u32_e32 v117, vcc_lo, 0, v111, vcc_lo
	s_clause 0x1
	global_load_b128 v[108:111], v[108:109], off
	global_load_b128 v[116:119], v[116:117], off
	s_waitcnt vmcnt(1)
	ds_store_b128 v245, v[108:111]
	s_waitcnt vmcnt(0)
	ds_store_b128 v238, v[116:119]
	s_clause 0x1
	scratch_load_b64 v[108:109], off, off offset:40
	scratch_load_b64 v[110:111], off, off offset:48
	s_waitcnt vmcnt(1)
	v_add_co_u32 v108, vcc_lo, s3, v108
	v_add_co_ci_u32_e32 v109, vcc_lo, s4, v109, vcc_lo
	s_delay_alu instid0(VALU_DEP_2) | instskip(NEXT) | instid1(VALU_DEP_2)
	v_add_co_u32 v108, vcc_lo, v108, v234
	v_add_co_ci_u32_e32 v109, vcc_lo, 0, v109, vcc_lo
	s_waitcnt vmcnt(0)
	v_add_co_u32 v110, vcc_lo, s3, v110
	v_add_co_ci_u32_e32 v111, vcc_lo, s4, v111, vcc_lo
	s_delay_alu instid0(VALU_DEP_2) | instskip(NEXT) | instid1(VALU_DEP_2)
	v_add_co_u32 v116, vcc_lo, v110, v234
	v_add_co_ci_u32_e32 v117, vcc_lo, 0, v111, vcc_lo
	s_clause 0x1
	global_load_b128 v[108:111], v[108:109], off
	global_load_b128 v[116:119], v[116:117], off
	s_waitcnt vmcnt(1)
	ds_store_b128 v239, v[108:111]
	s_waitcnt vmcnt(0)
	ds_store_b128 v216, v[116:119]
	s_clause 0x1
	scratch_load_b64 v[108:109], off, off offset:56
	scratch_load_b64 v[110:111], off, off offset:64
	;; [unrolled: 22-line block ×3, first 2 shown]
	s_waitcnt vmcnt(1)
	v_add_co_u32 v108, vcc_lo, s3, v108
	v_add_co_ci_u32_e32 v109, vcc_lo, s4, v109, vcc_lo
	s_delay_alu instid0(VALU_DEP_2) | instskip(NEXT) | instid1(VALU_DEP_2)
	v_add_co_u32 v108, vcc_lo, v108, v234
	v_add_co_ci_u32_e32 v109, vcc_lo, 0, v109, vcc_lo
	s_waitcnt vmcnt(0)
	v_add_co_u32 v110, vcc_lo, s3, v110
	v_add_co_ci_u32_e32 v111, vcc_lo, s4, v111, vcc_lo
	v_cmp_eq_u32_e64 s4, 0, v241
	s_delay_alu instid0(VALU_DEP_3) | instskip(NEXT) | instid1(VALU_DEP_3)
	v_add_co_u32 v116, vcc_lo, v110, v234
	v_add_co_ci_u32_e32 v117, vcc_lo, 0, v111, vcc_lo
	s_clause 0x1
	global_load_b128 v[108:111], v[108:109], off
	global_load_b128 v[116:119], v[116:117], off
	s_waitcnt vmcnt(1)
	ds_store_b128 v229, v[108:111]
	s_waitcnt vmcnt(0)
	ds_store_b128 v210, v[116:119]
	v_fma_mix_f32 v108, v112, s33, v120 op_sel_hi:[0,0,1]
	v_fma_mix_f32 v109, v113, s33, v121 op_sel_hi:[0,0,1]
	;; [unrolled: 1-line block ×4, first 2 shown]
	s_waitcnt lgkmcnt(0)
	s_delay_alu instid0(VALU_DEP_3) | instskip(SKIP_1) | instid1(VALU_DEP_2)
	v_dual_add_f32 v112, 0x40051340, v108 :: v_dual_add_f32 v113, 0x40051340, v109
	s_barrier
	v_add_f32_e32 v114, 0x40051340, v111
	buffer_gl0_inv
	v_max3_f32 v112, v179, v112, v113
	v_add_f32_e32 v113, 0x40051340, v110
	s_delay_alu instid0(VALU_DEP_1) | instskip(SKIP_2) | instid1(VALU_DEP_1)
	v_max3_f32 v112, v112, v113, v114
	v_fma_mix_f32 v113, v99, s33, v124 op_sel_hi:[0,0,1]
	v_fma_mix_f32 v114, v100, s33, v125 op_sel_hi:[0,0,1]
	v_dual_add_f32 v99, 0x40051340, v113 :: v_dual_add_f32 v100, 0x40051340, v114
	s_delay_alu instid0(VALU_DEP_1) | instskip(SKIP_2) | instid1(VALU_DEP_2)
	v_max3_f32 v99, v112, v99, v100
	v_fma_mix_f32 v112, v98, s33, v126 op_sel_hi:[0,0,1]
	v_add_f32_e32 v100, 0x40051340, v103
	v_add_f32_e32 v98, 0x40051340, v112
	s_delay_alu instid0(VALU_DEP_1) | instskip(NEXT) | instid1(VALU_DEP_1)
	v_max3_f32 v98, v99, v98, v100
	v_max3_f32 v96, v98, v96, v97
	v_dual_add_f32 v97, 0x40051340, v142 :: v_dual_add_f32 v98, 0x40051340, v141
	s_delay_alu instid0(VALU_DEP_1) | instskip(SKIP_1) | instid1(VALU_DEP_1)
	v_max3_f32 v96, v96, v97, v98
	v_dual_add_f32 v97, 0x40051340, v140 :: v_dual_add_f32 v98, 0x40051340, v139
	v_max3_f32 v96, v96, v97, v98
	v_dual_add_f32 v97, 0x40051340, v136 :: v_dual_add_f32 v98, 0x40051340, v135
	s_delay_alu instid0(VALU_DEP_1) | instskip(SKIP_3) | instid1(VALU_DEP_1)
	v_max3_f32 v96, v96, v97, v98
	ds_bpermute_b32 v97, v228, v96
	s_waitcnt lgkmcnt(0)
	v_max_f32_e32 v97, v97, v97
	v_max_f32_e32 v178, v96, v97
	s_delay_alu instid0(VALU_DEP_1) | instskip(NEXT) | instid1(VALU_DEP_1)
	v_sub_f32_e32 v96, v109, v178
	v_mul_f32_e32 v97, 0x3fb8aa3b, v96
	v_cmp_ngt_f32_e32 vcc_lo, 0xc2ce8ed0, v96
	v_sub_f32_e32 v103, v103, v178
	s_delay_alu instid0(VALU_DEP_3) | instskip(SKIP_1) | instid1(VALU_DEP_1)
	v_fma_f32 v98, 0x3fb8aa3b, v96, -v97
	v_rndne_f32_e32 v99, v97
	v_dual_fmac_f32 v98, 0x32a5705f, v96 :: v_dual_sub_f32 v97, v97, v99
	v_cvt_i32_f32_e32 v99, v99
	s_delay_alu instid0(VALU_DEP_2) | instskip(SKIP_1) | instid1(VALU_DEP_1)
	v_add_f32_e32 v97, v97, v98
	v_sub_f32_e32 v98, v108, v178
	v_mul_f32_e32 v100, 0x3fb8aa3b, v98
	v_cmp_ngt_f32_e64 s3, 0xc2ce8ed0, v98
	s_delay_alu instid0(VALU_DEP_2) | instskip(SKIP_1) | instid1(VALU_DEP_2)
	v_fma_f32 v101, 0x3fb8aa3b, v98, -v100
	v_rndne_f32_e32 v102, v100
	v_fmac_f32_e32 v101, 0x32a5705f, v98
	s_delay_alu instid0(VALU_DEP_2) | instskip(NEXT) | instid1(VALU_DEP_1)
	v_sub_f32_e32 v100, v100, v102
	v_add_f32_e32 v100, v100, v101
	v_exp_f32_e32 v97, v97
	s_waitcnt_depctr 0xfff
	v_ldexp_f32 v97, v97, v99
	v_exp_f32_e32 v99, v100
	v_cvt_i32_f32_e32 v100, v102
	s_delay_alu instid0(VALU_DEP_2)
	v_cndmask_b32_e32 v97, 0, v97, vcc_lo
	v_cmp_nlt_f32_e32 vcc_lo, 0x42b17218, v96
	s_waitcnt_depctr 0xfff
	v_ldexp_f32 v99, v99, v100
	v_cndmask_b32_e32 v129, 0x7f800000, v97, vcc_lo
	v_cmp_eq_u32_e32 vcc_lo, 1, v177
	s_delay_alu instid0(VALU_DEP_3)
	v_cndmask_b32_e64 v96, 0, v99, s3
	v_cmp_nlt_f32_e64 s3, 0x42b17218, v98
	ds_bpermute_b32 v98, v228, v129
	v_cndmask_b32_e64 v128, 0x7f800000, v96, s3
	v_cmp_eq_u32_e64 s3, 0, v177
	ds_bpermute_b32 v96, v228, v128
	s_waitcnt lgkmcnt(0)
	v_cndmask_b32_e64 v97, v128, v96, s3
	v_cndmask_b32_e32 v96, v128, v96, vcc_lo
	s_delay_alu instid0(VALU_DEP_2) | instskip(NEXT) | instid1(VALU_DEP_2)
	v_cndmask_b32_e64 v99, v97, v129, s4
	v_cndmask_b32_e64 v100, v96, v129, s5
	v_cvt_f16_f32_e32 v97, v97
	v_cvt_f16_f32_e32 v96, v96
	s_delay_alu instid0(VALU_DEP_4) | instskip(NEXT) | instid1(VALU_DEP_4)
	v_cndmask_b32_e64 v99, v99, v98, s3
	v_cndmask_b32_e32 v98, v100, v98, vcc_lo
	s_delay_alu instid0(VALU_DEP_3) | instskip(NEXT) | instid1(VALU_DEP_3)
	v_pack_b32_f16 v96, v97, v96
	v_cvt_f16_f32_e32 v100, v99
	s_delay_alu instid0(VALU_DEP_3) | instskip(NEXT) | instid1(VALU_DEP_1)
	v_cvt_f16_f32_e32 v101, v98
	v_pack_b32_f16 v97, v100, v101
	v_sub_f32_e32 v100, v110, v178
	s_delay_alu instid0(VALU_DEP_1) | instskip(SKIP_1) | instid1(VALU_DEP_2)
	v_mul_f32_e32 v101, 0x3fb8aa3b, v100
	v_cmp_ngt_f32_e64 s6, 0xc2ce8ed0, v100
	v_fma_f32 v102, 0x3fb8aa3b, v100, -v101
	v_rndne_f32_e32 v104, v101
	s_delay_alu instid0(VALU_DEP_2) | instskip(NEXT) | instid1(VALU_DEP_2)
	v_fmac_f32_e32 v102, 0x32a5705f, v100
	v_sub_f32_e32 v101, v101, v104
	s_delay_alu instid0(VALU_DEP_1) | instskip(SKIP_1) | instid1(VALU_DEP_2)
	v_add_f32_e32 v101, v101, v102
	v_cvt_i32_f32_e32 v102, v104
	v_exp_f32_e32 v101, v101
	s_waitcnt_depctr 0xfff
	v_ldexp_f32 v101, v101, v102
	s_delay_alu instid0(VALU_DEP_1) | instskip(SKIP_1) | instid1(VALU_DEP_1)
	v_cndmask_b32_e64 v101, 0, v101, s6
	v_cmp_nlt_f32_e64 s6, 0x42b17218, v100
	v_cndmask_b32_e64 v130, 0x7f800000, v101, s6
	ds_bpermute_b32 v100, v228, v130
	v_cndmask_b32_e64 v99, v99, v130, s4
	v_cndmask_b32_e64 v98, v98, v130, s5
	s_waitcnt lgkmcnt(0)
	s_delay_alu instid0(VALU_DEP_2) | instskip(NEXT) | instid1(VALU_DEP_2)
	v_cndmask_b32_e64 v99, v99, v100, s3
	v_cndmask_b32_e32 v100, v98, v100, vcc_lo
	s_delay_alu instid0(VALU_DEP_2) | instskip(NEXT) | instid1(VALU_DEP_2)
	v_cvt_f16_f32_e32 v98, v99
	v_cvt_f16_f32_e32 v101, v100
	s_delay_alu instid0(VALU_DEP_1) | instskip(SKIP_1) | instid1(VALU_DEP_1)
	v_pack_b32_f16 v98, v98, v101
	v_sub_f32_e32 v101, v111, v178
	v_mul_f32_e32 v102, 0x3fb8aa3b, v101
	v_cmp_ngt_f32_e64 s6, 0xc2ce8ed0, v101
	s_delay_alu instid0(VALU_DEP_2) | instskip(SKIP_1) | instid1(VALU_DEP_2)
	v_fma_f32 v104, 0x3fb8aa3b, v101, -v102
	v_rndne_f32_e32 v105, v102
	v_fmac_f32_e32 v104, 0x32a5705f, v101
	s_delay_alu instid0(VALU_DEP_2) | instskip(NEXT) | instid1(VALU_DEP_1)
	v_sub_f32_e32 v102, v102, v105
	v_add_f32_e32 v102, v102, v104
	v_cvt_i32_f32_e32 v104, v105
	s_delay_alu instid0(VALU_DEP_2) | instskip(SKIP_2) | instid1(VALU_DEP_1)
	v_exp_f32_e32 v102, v102
	s_waitcnt_depctr 0xfff
	v_ldexp_f32 v102, v102, v104
	v_cndmask_b32_e64 v102, 0, v102, s6
	v_cmp_nlt_f32_e64 s6, 0x42b17218, v101
	s_delay_alu instid0(VALU_DEP_1) | instskip(SKIP_4) | instid1(VALU_DEP_2)
	v_cndmask_b32_e64 v131, 0x7f800000, v102, s6
	ds_bpermute_b32 v101, v228, v131
	v_cndmask_b32_e64 v99, v99, v131, s4
	v_cndmask_b32_e64 v100, v100, v131, s5
	s_waitcnt lgkmcnt(0)
	v_cndmask_b32_e64 v102, v99, v101, s3
	s_delay_alu instid0(VALU_DEP_2) | instskip(NEXT) | instid1(VALU_DEP_2)
	v_cndmask_b32_e32 v100, v100, v101, vcc_lo
	v_cvt_f16_f32_e32 v99, v102
	s_delay_alu instid0(VALU_DEP_2) | instskip(NEXT) | instid1(VALU_DEP_1)
	v_cvt_f16_f32_e32 v101, v100
	v_pack_b32_f16 v99, v99, v101
	v_sub_f32_e32 v101, v113, v178
	s_delay_alu instid0(VALU_DEP_1) | instskip(SKIP_1) | instid1(VALU_DEP_2)
	v_mul_f32_e32 v104, 0x3fb8aa3b, v101
	v_cmp_ngt_f32_e64 s6, 0xc2ce8ed0, v101
	v_fma_f32 v105, 0x3fb8aa3b, v101, -v104
	v_rndne_f32_e32 v106, v104
	s_delay_alu instid0(VALU_DEP_1) | instskip(NEXT) | instid1(VALU_DEP_1)
	v_dual_fmac_f32 v105, 0x32a5705f, v101 :: v_dual_sub_f32 v104, v104, v106
	v_add_f32_e32 v104, v104, v105
	v_cvt_i32_f32_e32 v105, v106
	s_delay_alu instid0(VALU_DEP_2) | instskip(SKIP_2) | instid1(VALU_DEP_1)
	v_exp_f32_e32 v104, v104
	s_waitcnt_depctr 0xfff
	v_ldexp_f32 v104, v104, v105
	v_cndmask_b32_e64 v104, 0, v104, s6
	v_cmp_nlt_f32_e64 s6, 0x42b17218, v101
	s_delay_alu instid0(VALU_DEP_1) | instskip(NEXT) | instid1(VALU_DEP_1)
	v_cndmask_b32_e64 v132, 0x7f800000, v104, s6
	v_cndmask_b32_e64 v101, v102, v132, s4
	ds_bpermute_b32 v102, v228, v132
	v_cndmask_b32_e64 v100, v100, v132, s5
	s_waitcnt lgkmcnt(0)
	v_cndmask_b32_e64 v101, v101, v102, s3
	s_delay_alu instid0(VALU_DEP_2) | instskip(NEXT) | instid1(VALU_DEP_2)
	v_cndmask_b32_e32 v102, v100, v102, vcc_lo
	v_cvt_f16_f32_e32 v100, v101
	s_delay_alu instid0(VALU_DEP_2) | instskip(NEXT) | instid1(VALU_DEP_1)
	v_cvt_f16_f32_e32 v104, v102
	v_pack_b32_f16 v100, v100, v104
	v_sub_f32_e32 v104, v114, v178
	ds_load_2addr_b32 v[114:115], v247 offset1:16
	ds_load_2addr_b32 v[116:117], v247 offset0:68 offset1:84
	ds_load_2addr_b32 v[118:119], v247 offset0:136 offset1:152
	;; [unrolled: 1-line block ×4, first 2 shown]
	v_mul_f32_e32 v105, 0x3fb8aa3b, v104
	v_cmp_ngt_f32_e64 s6, 0xc2ce8ed0, v104
	s_delay_alu instid0(VALU_DEP_2) | instskip(SKIP_1) | instid1(VALU_DEP_1)
	v_fma_f32 v106, 0x3fb8aa3b, v104, -v105
	v_rndne_f32_e32 v107, v105
	v_dual_fmac_f32 v106, 0x32a5705f, v104 :: v_dual_sub_f32 v105, v105, v107
	s_waitcnt lgkmcnt(3)
	v_perm_b32 v149, v116, v114, 0x5040100
	s_delay_alu instid0(VALU_DEP_2)
	v_add_f32_e32 v105, v105, v106
	v_cvt_i32_f32_e32 v106, v107
	s_waitcnt lgkmcnt(1)
	v_perm_b32 v150, v120, v118, 0x5040100
	s_waitcnt lgkmcnt(0)
	v_perm_b32 v151, v158, v157, 0x5040100
	v_exp_f32_e32 v105, v105
	s_waitcnt_depctr 0xfff
	v_ldexp_f32 v105, v105, v106
	s_delay_alu instid0(VALU_DEP_1) | instskip(SKIP_1) | instid1(VALU_DEP_1)
	v_cndmask_b32_e64 v105, 0, v105, s6
	v_cmp_nlt_f32_e64 s6, 0x42b17218, v104
	v_cndmask_b32_e64 v133, 0x7f800000, v105, s6
	ds_bpermute_b32 v104, v228, v133
	v_cndmask_b32_e64 v101, v101, v133, s4
	v_cndmask_b32_e64 v102, v102, v133, s5
	s_waitcnt lgkmcnt(0)
	s_delay_alu instid0(VALU_DEP_2) | instskip(NEXT) | instid1(VALU_DEP_2)
	v_cndmask_b32_e64 v105, v101, v104, s3
	v_cndmask_b32_e32 v102, v102, v104, vcc_lo
	s_delay_alu instid0(VALU_DEP_2) | instskip(NEXT) | instid1(VALU_DEP_2)
	v_cvt_f16_f32_e32 v101, v105
	v_cvt_f16_f32_e32 v104, v102
	s_delay_alu instid0(VALU_DEP_1) | instskip(SKIP_1) | instid1(VALU_DEP_1)
	v_pack_b32_f16 v101, v101, v104
	v_sub_f32_e32 v104, v112, v178
	v_mul_f32_e32 v106, 0x3fb8aa3b, v104
	v_cmp_ngt_f32_e64 s6, 0xc2ce8ed0, v104
	s_delay_alu instid0(VALU_DEP_2) | instskip(SKIP_1) | instid1(VALU_DEP_2)
	v_fma_f32 v107, 0x3fb8aa3b, v104, -v106
	v_rndne_f32_e32 v108, v106
	v_fmac_f32_e32 v107, 0x32a5705f, v104
	s_delay_alu instid0(VALU_DEP_2) | instskip(NEXT) | instid1(VALU_DEP_1)
	v_sub_f32_e32 v106, v106, v108
	v_add_f32_e32 v106, v106, v107
	v_cvt_i32_f32_e32 v107, v108
	s_delay_alu instid0(VALU_DEP_2) | instskip(SKIP_2) | instid1(VALU_DEP_1)
	v_exp_f32_e32 v106, v106
	s_waitcnt_depctr 0xfff
	v_ldexp_f32 v106, v106, v107
	v_cndmask_b32_e64 v106, 0, v106, s6
	v_cmp_nlt_f32_e64 s6, 0x42b17218, v104
	s_delay_alu instid0(VALU_DEP_1) | instskip(SKIP_1) | instid1(VALU_DEP_2)
	v_cndmask_b32_e64 v134, 0x7f800000, v106, s6
	v_cmp_ngt_f32_e64 s6, 0xc2ce8ed0, v103
	v_cndmask_b32_e64 v104, v105, v134, s4
	ds_bpermute_b32 v105, v228, v134
	v_cndmask_b32_e64 v102, v102, v134, s5
	s_waitcnt lgkmcnt(0)
	v_cndmask_b32_e64 v104, v104, v105, s3
	s_delay_alu instid0(VALU_DEP_2) | instskip(NEXT) | instid1(VALU_DEP_2)
	v_cndmask_b32_e32 v105, v102, v105, vcc_lo
	v_cvt_f16_f32_e32 v102, v104
	s_delay_alu instid0(VALU_DEP_2) | instskip(NEXT) | instid1(VALU_DEP_1)
	v_cvt_f16_f32_e32 v106, v105
	v_pack_b32_f16 v102, v102, v106
	v_mul_f32_e32 v106, 0x3fb8aa3b, v103
	s_delay_alu instid0(VALU_DEP_1) | instskip(SKIP_1) | instid1(VALU_DEP_1)
	v_fma_f32 v107, 0x3fb8aa3b, v103, -v106
	v_rndne_f32_e32 v108, v106
	v_dual_fmac_f32 v107, 0x32a5705f, v103 :: v_dual_sub_f32 v106, v106, v108
	s_delay_alu instid0(VALU_DEP_1) | instskip(SKIP_1) | instid1(VALU_DEP_2)
	v_add_f32_e32 v106, v106, v107
	v_cvt_i32_f32_e32 v107, v108
	v_exp_f32_e32 v106, v106
	s_waitcnt_depctr 0xfff
	v_ldexp_f32 v106, v106, v107
	s_delay_alu instid0(VALU_DEP_1) | instskip(SKIP_1) | instid1(VALU_DEP_1)
	v_cndmask_b32_e64 v106, 0, v106, s6
	v_cmp_nlt_f32_e64 s6, 0x42b17218, v103
	v_cndmask_b32_e64 v137, 0x7f800000, v106, s6
	s_delay_alu instid0(VALU_DEP_1)
	v_cndmask_b32_e64 v103, v104, v137, s4
	v_cndmask_b32_e64 v104, v105, v137, s5
	ds_bpermute_b32 v105, v228, v137
	s_waitcnt lgkmcnt(0)
	v_cndmask_b32_e64 v103, v103, v105, s3
	v_cndmask_b32_e32 v104, v104, v105, vcc_lo
	s_delay_alu instid0(VALU_DEP_2) | instskip(NEXT) | instid1(VALU_DEP_2)
	v_cvt_f16_f32_e32 v103, v103
	v_cvt_f16_f32_e32 v104, v104
	s_delay_alu instid0(VALU_DEP_1) | instskip(SKIP_1) | instid1(VALU_DEP_1)
	v_pack_b32_f16 v103, v103, v104
	v_sub_f32_e32 v104, v179, v178
	v_mul_f32_e32 v105, 0x3fb8aa3b, v104
	v_cmp_ngt_f32_e64 s6, 0xc2ce8ed0, v104
	s_delay_alu instid0(VALU_DEP_2) | instskip(SKIP_1) | instid1(VALU_DEP_1)
	v_fma_f32 v106, 0x3fb8aa3b, v104, -v105
	v_rndne_f32_e32 v107, v105
	v_dual_fmac_f32 v106, 0x32a5705f, v104 :: v_dual_sub_f32 v105, v105, v107
	s_delay_alu instid0(VALU_DEP_1) | instskip(SKIP_1) | instid1(VALU_DEP_2)
	v_add_f32_e32 v105, v105, v106
	v_cvt_i32_f32_e32 v106, v107
	v_exp_f32_e32 v105, v105
	s_waitcnt_depctr 0xfff
	v_ldexp_f32 v105, v105, v106
	s_delay_alu instid0(VALU_DEP_1) | instskip(SKIP_1) | instid1(VALU_DEP_1)
	v_cndmask_b32_e64 v105, 0, v105, s6
	v_cmp_nlt_f32_e64 s6, 0x42b17218, v104
	v_cndmask_b32_e64 v105, 0x7f800000, v105, s6
	v_cmp_le_f32_e64 s6, 0xc1a00000, v104
	s_delay_alu instid0(VALU_DEP_1)
	v_cndmask_b32_e64 v138, 0, v105, s6
	ds_load_2addr_b32 v[104:105], v148 offset0:132 offset1:152
	ds_load_2addr_b32 v[106:107], v148 offset0:200 offset1:220
	;; [unrolled: 1-line block ×9, first 2 shown]
	v_cvt_f16_f32_e64 v145, v138
	s_delay_alu instid0(VALU_DEP_1)
	v_pk_mul_f16 v24, v145, v24 op_sel_hi:[0,1]
	v_pk_mul_f16 v25, v145, v25 op_sel_hi:[0,1]
	;; [unrolled: 1-line block ×10, first 2 shown]
	s_waitcnt lgkmcnt(7)
	v_perm_b32 v152, v107, v105, 0x5040100
	s_waitcnt lgkmcnt(5)
	v_perm_b32 v153, v122, v109, 0x5040100
	;; [unrolled: 2-line block ×5, first 2 shown]
	v_pk_mul_f16 v18, v145, v18 op_sel_hi:[0,1]
	v_pk_mul_f16 v19, v145, v19 op_sel_hi:[0,1]
	;; [unrolled: 1-line block ×4, first 2 shown]
	v_wmma_f16_16x16x16_f16 v[24:31], v[149:156], v[96:103], v[24:31]
	v_perm_b32 v156, v113, v111, 0x7060302
	v_add_nc_u32_e32 v111, 0x1000, v247
	v_perm_b32 v151, v158, v157, 0x7060302
	v_perm_b32 v155, v160, v159, 0x7060302
	;; [unrolled: 1-line block ×4, first 2 shown]
	ds_load_b32 v105, v254 offset:2176
	ds_load_b32 v107, v254 offset:3264
	;; [unrolled: 1-line block ×4, first 2 shown]
	ds_load_2addr_b32 v[157:158], v148 offset0:100 offset1:116
	ds_load_2addr_b32 v[159:160], v148 offset0:168 offset1:184
	;; [unrolled: 1-line block ×6, first 2 shown]
	v_perm_b32 v149, v116, v114, 0x7060302
	v_perm_b32 v150, v120, v118, 0x7060302
	;; [unrolled: 1-line block ×3, first 2 shown]
	v_pk_mul_f16 v22, v145, v22 op_sel_hi:[0,1]
	v_pk_mul_f16 v23, v145, v23 op_sel_hi:[0,1]
	v_perm_b32 v113, v117, v115, 0x7060302
	v_perm_b32 v114, v121, v119, 0x7060302
	v_wmma_f16_16x16x16_f16 v[24:31], v[149:156], v[96:103], v[24:31] op_sel:[0,0,1]
	v_perm_b32 v149, v117, v115, 0x5040100
	v_perm_b32 v150, v121, v119, 0x5040100
	;; [unrolled: 1-line block ×4, first 2 shown]
	s_waitcnt lgkmcnt(9)
	v_perm_b32 v153, v123, v105, 0x5040100
	v_perm_b32 v117, v123, v105, 0x7060302
	v_pk_mul_f16 v8, v145, v8 op_sel_hi:[0,1]
	v_pk_mul_f16 v9, v145, v9 op_sel_hi:[0,1]
	s_waitcnt lgkmcnt(5)
	v_perm_b32 v151, v157, v109, 0x5040100
	s_waitcnt lgkmcnt(3)
	v_perm_b32 v152, v161, v159, 0x5040100
	;; [unrolled: 2-line block ×4, first 2 shown]
	v_perm_b32 v115, v157, v109, 0x7060302
	v_perm_b32 v119, v163, v107, 0x7060302
	;; [unrolled: 1-line block ×4, first 2 shown]
	v_wmma_f16_16x16x16_f16 v[16:23], v[149:156], v[96:103], v[16:23]
	ds_load_2addr_b32 v[121:122], v247 offset0:32 offset1:48
	ds_load_2addr_b32 v[123:124], v247 offset0:100 offset1:116
	;; [unrolled: 1-line block ×4, first 2 shown]
	ds_load_b32 v105, v215 offset:1088
	ds_load_b32 v107, v215 offset:2176
	;; [unrolled: 1-line block ×5, first 2 shown]
	ds_load_2addr_b32 v[150:151], v146 offset0:132 offset1:148
	ds_load_2addr_b32 v[152:153], v146 offset0:200 offset1:216
	;; [unrolled: 1-line block ×3, first 2 shown]
	v_wmma_f16_16x16x16_f16 v[16:23], v[113:120], v[96:103], v[16:23] op_sel:[0,0,1]
	v_pk_mul_f16 v10, v145, v10 op_sel_hi:[0,1]
	v_pk_mul_f16 v11, v145, v11 op_sel_hi:[0,1]
	;; [unrolled: 1-line block ×6, first 2 shown]
	v_perm_b32 v116, v162, v160, 0x5040100
	v_perm_b32 v120, v166, v168, 0x5040100
	v_pk_mul_f16 v0, v145, v0 op_sel_hi:[0,1]
	v_pk_mul_f16 v1, v145, v1 op_sel_hi:[0,1]
	;; [unrolled: 1-line block ×4, first 2 shown]
	s_waitcnt lgkmcnt(7)
	v_perm_b32 v115, v158, v105, 0x5040100
	v_perm_b32 v113, v123, v121, 0x5040100
	s_waitcnt lgkmcnt(5)
	v_perm_b32 v119, v164, v109, 0x5040100
	v_perm_b32 v114, v148, v125, 0x5040100
	v_pk_mul_f16 v4, v145, v4 op_sel_hi:[0,1]
	s_waitcnt lgkmcnt(2)
	v_perm_b32 v117, v150, v107, 0x5040100
	s_waitcnt lgkmcnt(0)
	v_perm_b32 v118, v146, v152, 0x5040100
	v_pk_mul_f16 v5, v145, v5 op_sel_hi:[0,1]
	v_pk_mul_f16 v6, v145, v6 op_sel_hi:[0,1]
	;; [unrolled: 1-line block ×3, first 2 shown]
	s_delay_alu instid0(VALU_DEP_4)
	v_wmma_f16_16x16x16_f16 v[8:15], v[113:120], v[96:103], v[8:15]
	v_perm_b32 v115, v158, v105, 0x7060302
	v_perm_b32 v119, v164, v109, 0x7060302
	;; [unrolled: 1-line block ×3, first 2 shown]
	ds_load_b32 v105, v218 offset:1088
	ds_load_b32 v107, v218 offset:2176
	;; [unrolled: 1-line block ×8, first 2 shown]
	v_perm_b32 v116, v162, v160, 0x7060302
	v_perm_b32 v120, v166, v168, 0x7060302
	;; [unrolled: 1-line block ×5, first 2 shown]
	s_delay_alu instid0(VALU_DEP_1)
	v_wmma_f16_16x16x16_f16 v[8:15], v[113:120], v[96:103], v[8:15] op_sel:[0,0,1]
	v_perm_b32 v113, v124, v122, 0x5040100
	v_perm_b32 v114, v149, v126, 0x5040100
	;; [unrolled: 1-line block ×4, first 2 shown]
	s_waitcnt lgkmcnt(7)
	v_perm_b32 v115, v104, v105, 0x5040100
	s_waitcnt lgkmcnt(6)
	v_perm_b32 v117, v151, v107, 0x5040100
	;; [unrolled: 2-line block ×4, first 2 shown]
	s_delay_alu instid0(VALU_DEP_1)
	v_wmma_f16_16x16x16_f16 v[0:7], v[113:120], v[96:103], v[0:7]
	v_perm_b32 v113, v124, v122, 0x7060302
	v_perm_b32 v114, v149, v126, 0x7060302
	;; [unrolled: 1-line block ×8, first 2 shown]
	v_add_nc_u32_e32 v110, 0x2e00, v247
	v_add_nc_u32_e32 v109, 0x2c00, v247
	s_delay_alu instid0(VALU_DEP_3) | instskip(SKIP_1) | instid1(VALU_DEP_1)
	v_wmma_f16_16x16x16_f16 v[0:7], v[113:120], v[96:103], v[0:7] op_sel:[0,0,1]
	v_sub_f32_e32 v96, v144, v178
	v_mul_f32_e32 v97, 0x3fb8aa3b, v96
	v_cmp_ngt_f32_e64 s6, 0xc2ce8ed0, v96
	s_delay_alu instid0(VALU_DEP_2) | instskip(SKIP_1) | instid1(VALU_DEP_1)
	v_fma_f32 v98, 0x3fb8aa3b, v96, -v97
	v_rndne_f32_e32 v99, v97
	v_dual_fmac_f32 v98, 0x32a5705f, v96 :: v_dual_sub_f32 v97, v97, v99
	v_cvt_i32_f32_e32 v99, v99
	s_delay_alu instid0(VALU_DEP_2) | instskip(SKIP_1) | instid1(VALU_DEP_2)
	v_add_f32_e32 v97, v97, v98
	v_sub_f32_e32 v98, v143, v178
	v_exp_f32_e32 v97, v97
	s_delay_alu instid0(VALU_DEP_1) | instskip(SKIP_1) | instid1(VALU_DEP_2)
	v_mul_f32_e32 v100, 0x3fb8aa3b, v98
	v_cmp_ngt_f32_e64 s7, 0xc2ce8ed0, v98
	v_fma_f32 v101, 0x3fb8aa3b, v98, -v100
	v_rndne_f32_e32 v102, v100
	s_waitcnt_depctr 0xfff
	v_ldexp_f32 v97, v97, v99
	v_fmac_f32_e32 v101, 0x32a5705f, v98
	v_sub_f32_e32 v100, v100, v102
	s_delay_alu instid0(VALU_DEP_3) | instskip(SKIP_1) | instid1(VALU_DEP_3)
	v_cndmask_b32_e64 v97, 0, v97, s6
	v_cmp_nlt_f32_e64 s6, 0x42b17218, v96
	v_add_f32_e32 v100, v100, v101
	s_delay_alu instid0(VALU_DEP_2) | instskip(NEXT) | instid1(VALU_DEP_2)
	v_cndmask_b32_e64 v180, 0x7f800000, v97, s6
	v_exp_f32_e32 v99, v100
	v_cvt_i32_f32_e32 v100, v102
	s_waitcnt_depctr 0xfff
	v_ldexp_f32 v99, v99, v100
	s_delay_alu instid0(VALU_DEP_1)
	v_cndmask_b32_e64 v96, 0, v99, s7
	v_cmp_nlt_f32_e64 s7, 0x42b17218, v98
	ds_bpermute_b32 v98, v228, v180
	v_cndmask_b32_e64 v179, 0x7f800000, v96, s7
	ds_bpermute_b32 v96, v228, v179
	s_waitcnt lgkmcnt(0)
	v_cndmask_b32_e64 v97, v179, v96, s3
	v_cndmask_b32_e32 v96, v179, v96, vcc_lo
	s_delay_alu instid0(VALU_DEP_2) | instskip(NEXT) | instid1(VALU_DEP_2)
	v_cndmask_b32_e64 v99, v97, v180, s4
	v_cndmask_b32_e64 v100, v96, v180, s5
	v_cvt_f16_f32_e32 v97, v97
	v_cvt_f16_f32_e32 v96, v96
	s_delay_alu instid0(VALU_DEP_4) | instskip(NEXT) | instid1(VALU_DEP_4)
	v_cndmask_b32_e64 v99, v99, v98, s3
	v_cndmask_b32_e32 v98, v100, v98, vcc_lo
	s_delay_alu instid0(VALU_DEP_3) | instskip(NEXT) | instid1(VALU_DEP_3)
	v_pack_b32_f16 v96, v97, v96
	v_cvt_f16_f32_e32 v100, v99
	s_delay_alu instid0(VALU_DEP_3) | instskip(NEXT) | instid1(VALU_DEP_1)
	v_cvt_f16_f32_e32 v101, v98
	v_pack_b32_f16 v97, v100, v101
	v_sub_f32_e32 v100, v142, v178
	s_delay_alu instid0(VALU_DEP_1) | instskip(SKIP_1) | instid1(VALU_DEP_2)
	v_mul_f32_e32 v101, 0x3fb8aa3b, v100
	v_cmp_ngt_f32_e64 s6, 0xc2ce8ed0, v100
	v_fma_f32 v102, 0x3fb8aa3b, v100, -v101
	v_rndne_f32_e32 v103, v101
	s_delay_alu instid0(VALU_DEP_1) | instskip(NEXT) | instid1(VALU_DEP_1)
	v_dual_fmac_f32 v102, 0x32a5705f, v100 :: v_dual_sub_f32 v101, v101, v103
	v_add_f32_e32 v101, v101, v102
	v_cvt_i32_f32_e32 v102, v103
	s_delay_alu instid0(VALU_DEP_2) | instskip(SKIP_2) | instid1(VALU_DEP_1)
	v_exp_f32_e32 v101, v101
	s_waitcnt_depctr 0xfff
	v_ldexp_f32 v101, v101, v102
	v_cndmask_b32_e64 v101, 0, v101, s6
	v_cmp_nlt_f32_e64 s6, 0x42b17218, v100
	s_delay_alu instid0(VALU_DEP_1) | instskip(SKIP_4) | instid1(VALU_DEP_2)
	v_cndmask_b32_e64 v181, 0x7f800000, v101, s6
	ds_bpermute_b32 v100, v228, v181
	v_cndmask_b32_e64 v99, v99, v181, s4
	v_cndmask_b32_e64 v98, v98, v181, s5
	s_waitcnt lgkmcnt(0)
	v_cndmask_b32_e64 v99, v99, v100, s3
	s_delay_alu instid0(VALU_DEP_2) | instskip(NEXT) | instid1(VALU_DEP_2)
	v_cndmask_b32_e32 v100, v98, v100, vcc_lo
	v_cvt_f16_f32_e32 v98, v99
	s_delay_alu instid0(VALU_DEP_2) | instskip(NEXT) | instid1(VALU_DEP_1)
	v_cvt_f16_f32_e32 v101, v100
	v_pack_b32_f16 v98, v98, v101
	v_sub_f32_e32 v101, v141, v178
	s_delay_alu instid0(VALU_DEP_1) | instskip(SKIP_1) | instid1(VALU_DEP_2)
	v_mul_f32_e32 v102, 0x3fb8aa3b, v101
	v_cmp_ngt_f32_e64 s6, 0xc2ce8ed0, v101
	v_fma_f32 v103, 0x3fb8aa3b, v101, -v102
	v_rndne_f32_e32 v104, v102
	s_delay_alu instid0(VALU_DEP_1) | instskip(NEXT) | instid1(VALU_DEP_1)
	v_dual_fmac_f32 v103, 0x32a5705f, v101 :: v_dual_sub_f32 v102, v102, v104
	v_add_f32_e32 v102, v102, v103
	v_cvt_i32_f32_e32 v103, v104
	s_delay_alu instid0(VALU_DEP_2) | instskip(SKIP_2) | instid1(VALU_DEP_1)
	v_exp_f32_e32 v102, v102
	s_waitcnt_depctr 0xfff
	v_ldexp_f32 v102, v102, v103
	v_cndmask_b32_e64 v102, 0, v102, s6
	v_cmp_nlt_f32_e64 s6, 0x42b17218, v101
	s_delay_alu instid0(VALU_DEP_1) | instskip(SKIP_4) | instid1(VALU_DEP_2)
	v_cndmask_b32_e64 v182, 0x7f800000, v102, s6
	ds_bpermute_b32 v101, v228, v182
	v_cndmask_b32_e64 v99, v99, v182, s4
	v_cndmask_b32_e64 v100, v100, v182, s5
	s_waitcnt lgkmcnt(0)
	v_cndmask_b32_e64 v102, v99, v101, s3
	s_delay_alu instid0(VALU_DEP_2) | instskip(NEXT) | instid1(VALU_DEP_2)
	v_cndmask_b32_e32 v100, v100, v101, vcc_lo
	v_cvt_f16_f32_e32 v99, v102
	s_delay_alu instid0(VALU_DEP_2) | instskip(NEXT) | instid1(VALU_DEP_1)
	v_cvt_f16_f32_e32 v101, v100
	v_pack_b32_f16 v99, v99, v101
	v_sub_f32_e32 v101, v140, v178
	s_delay_alu instid0(VALU_DEP_1) | instskip(SKIP_1) | instid1(VALU_DEP_2)
	v_mul_f32_e32 v103, 0x3fb8aa3b, v101
	v_cmp_ngt_f32_e64 s6, 0xc2ce8ed0, v101
	v_fma_f32 v104, 0x3fb8aa3b, v101, -v103
	v_rndne_f32_e32 v105, v103
	s_delay_alu instid0(VALU_DEP_2) | instskip(NEXT) | instid1(VALU_DEP_2)
	v_fmac_f32_e32 v104, 0x32a5705f, v101
	v_sub_f32_e32 v103, v103, v105
	s_delay_alu instid0(VALU_DEP_1) | instskip(SKIP_1) | instid1(VALU_DEP_2)
	v_add_f32_e32 v103, v103, v104
	v_cvt_i32_f32_e32 v104, v105
	v_exp_f32_e32 v103, v103
	s_waitcnt_depctr 0xfff
	v_ldexp_f32 v103, v103, v104
	s_delay_alu instid0(VALU_DEP_1) | instskip(SKIP_1) | instid1(VALU_DEP_1)
	v_cndmask_b32_e64 v103, 0, v103, s6
	v_cmp_nlt_f32_e64 s6, 0x42b17218, v101
	v_cndmask_b32_e64 v183, 0x7f800000, v103, s6
	s_delay_alu instid0(VALU_DEP_1) | instskip(SKIP_4) | instid1(VALU_DEP_2)
	v_cndmask_b32_e64 v101, v102, v183, s4
	ds_bpermute_b32 v102, v228, v183
	v_cndmask_b32_e64 v100, v100, v183, s5
	s_waitcnt lgkmcnt(0)
	v_cndmask_b32_e64 v101, v101, v102, s3
	v_cndmask_b32_e32 v102, v100, v102, vcc_lo
	s_delay_alu instid0(VALU_DEP_2) | instskip(NEXT) | instid1(VALU_DEP_2)
	v_cvt_f16_f32_e32 v100, v101
	v_cvt_f16_f32_e32 v103, v102
	s_delay_alu instid0(VALU_DEP_1) | instskip(SKIP_1) | instid1(VALU_DEP_1)
	v_pack_b32_f16 v100, v100, v103
	v_sub_f32_e32 v103, v139, v178
	v_mul_f32_e32 v104, 0x3fb8aa3b, v103
	v_cmp_ngt_f32_e64 s6, 0xc2ce8ed0, v103
	s_delay_alu instid0(VALU_DEP_2) | instskip(SKIP_1) | instid1(VALU_DEP_1)
	v_fma_f32 v105, 0x3fb8aa3b, v103, -v104
	v_rndne_f32_e32 v106, v104
	v_dual_fmac_f32 v105, 0x32a5705f, v103 :: v_dual_sub_f32 v104, v104, v106
	s_delay_alu instid0(VALU_DEP_1) | instskip(SKIP_1) | instid1(VALU_DEP_2)
	v_add_f32_e32 v104, v104, v105
	v_cvt_i32_f32_e32 v105, v106
	v_exp_f32_e32 v104, v104
	s_waitcnt_depctr 0xfff
	v_ldexp_f32 v104, v104, v105
	s_delay_alu instid0(VALU_DEP_1) | instskip(SKIP_1) | instid1(VALU_DEP_1)
	v_cndmask_b32_e64 v104, 0, v104, s6
	v_cmp_nlt_f32_e64 s6, 0x42b17218, v103
	v_cndmask_b32_e64 v184, 0x7f800000, v104, s6
	ds_bpermute_b32 v103, v228, v184
	v_cndmask_b32_e64 v101, v101, v184, s4
	v_cndmask_b32_e64 v102, v102, v184, s5
	s_waitcnt lgkmcnt(0)
	s_delay_alu instid0(VALU_DEP_2) | instskip(NEXT) | instid1(VALU_DEP_2)
	v_cndmask_b32_e64 v104, v101, v103, s3
	v_cndmask_b32_e32 v102, v102, v103, vcc_lo
	s_delay_alu instid0(VALU_DEP_2) | instskip(NEXT) | instid1(VALU_DEP_2)
	v_cvt_f16_f32_e32 v101, v104
	v_cvt_f16_f32_e32 v103, v102
	s_delay_alu instid0(VALU_DEP_1) | instskip(SKIP_1) | instid1(VALU_DEP_1)
	v_pack_b32_f16 v101, v101, v103
	v_sub_f32_e32 v103, v136, v178
	v_mul_f32_e32 v105, 0x3fb8aa3b, v103
	v_cmp_ngt_f32_e64 s6, 0xc2ce8ed0, v103
	s_delay_alu instid0(VALU_DEP_2) | instskip(SKIP_1) | instid1(VALU_DEP_2)
	v_fma_f32 v106, 0x3fb8aa3b, v103, -v105
	v_rndne_f32_e32 v107, v105
	v_fmac_f32_e32 v106, 0x32a5705f, v103
	s_delay_alu instid0(VALU_DEP_2) | instskip(NEXT) | instid1(VALU_DEP_1)
	v_sub_f32_e32 v105, v105, v107
	v_add_f32_e32 v105, v105, v106
	v_cvt_i32_f32_e32 v106, v107
	s_delay_alu instid0(VALU_DEP_2) | instskip(SKIP_2) | instid1(VALU_DEP_1)
	v_exp_f32_e32 v105, v105
	s_waitcnt_depctr 0xfff
	v_ldexp_f32 v105, v105, v106
	v_cndmask_b32_e64 v105, 0, v105, s6
	v_cmp_nlt_f32_e64 s6, 0x42b17218, v103
	s_delay_alu instid0(VALU_DEP_1) | instskip(NEXT) | instid1(VALU_DEP_1)
	v_cndmask_b32_e64 v185, 0x7f800000, v105, s6
	v_cndmask_b32_e64 v103, v104, v185, s4
	ds_bpermute_b32 v104, v228, v185
	v_cndmask_b32_e64 v102, v102, v185, s5
	s_waitcnt lgkmcnt(0)
	v_cndmask_b32_e64 v103, v103, v104, s3
	s_delay_alu instid0(VALU_DEP_2) | instskip(NEXT) | instid1(VALU_DEP_2)
	v_cndmask_b32_e32 v104, v102, v104, vcc_lo
	v_cvt_f16_f32_e32 v102, v103
	s_delay_alu instid0(VALU_DEP_2) | instskip(NEXT) | instid1(VALU_DEP_1)
	v_cvt_f16_f32_e32 v105, v104
	v_pack_b32_f16 v102, v102, v105
	v_sub_f32_e32 v105, v135, v178
	s_delay_alu instid0(VALU_DEP_1) | instskip(SKIP_1) | instid1(VALU_DEP_2)
	v_mul_f32_e32 v106, 0x3fb8aa3b, v105
	v_cmp_ngt_f32_e64 s6, 0xc2ce8ed0, v105
	v_fma_f32 v107, 0x3fb8aa3b, v105, -v106
	v_rndne_f32_e32 v108, v106
	s_delay_alu instid0(VALU_DEP_1) | instskip(NEXT) | instid1(VALU_DEP_1)
	v_dual_fmac_f32 v107, 0x32a5705f, v105 :: v_dual_sub_f32 v106, v106, v108
	v_add_f32_e32 v106, v106, v107
	v_cvt_i32_f32_e32 v107, v108
	s_delay_alu instid0(VALU_DEP_2) | instskip(SKIP_3) | instid1(VALU_DEP_2)
	v_exp_f32_e32 v106, v106
	s_waitcnt_depctr 0xfff
	v_ldexp_f32 v106, v106, v107
	v_add_nc_u32_e32 v107, 0x2800, v247
	v_cndmask_b32_e64 v106, 0, v106, s6
	v_cmp_nlt_f32_e64 s6, 0x42b17218, v105
	s_delay_alu instid0(VALU_DEP_1)
	v_cndmask_b32_e64 v186, 0x7f800000, v106, s6
	v_add_nc_u32_e32 v106, 0x2600, v247
	ds_bpermute_b32 v105, v228, v186
	v_cndmask_b32_e64 v103, v103, v186, s4
	v_cndmask_b32_e64 v104, v104, v186, s5
	s_waitcnt lgkmcnt(0)
	s_delay_alu instid0(VALU_DEP_2) | instskip(NEXT) | instid1(VALU_DEP_2)
	v_cndmask_b32_e64 v103, v103, v105, s3
	v_dual_cndmask_b32 v104, v104, v105 :: v_dual_add_nc_u32 v105, 0x2400, v247
	s_delay_alu instid0(VALU_DEP_2) | instskip(NEXT) | instid1(VALU_DEP_2)
	v_cvt_f16_f32_e32 v103, v103
	v_cvt_f16_f32_e32 v104, v104
	s_delay_alu instid0(VALU_DEP_1)
	v_pack_b32_f16 v103, v103, v104
	v_add_nc_u32_e32 v104, 0x2000, v247
	ds_load_2addr_b32 v[112:113], v104 offset0:128 offset1:196
	ds_load_2addr_b32 v[114:115], v105 offset0:8 offset1:76
	ds_load_b32 v187, v253 offset:1088
	ds_load_2addr_b32 v[116:117], v106 offset0:84 offset1:152
	ds_load_2addr_b32 v[118:119], v107 offset0:92 offset1:228
	;; [unrolled: 1-line block ×4, first 2 shown]
	s_waitcnt lgkmcnt(6)
	v_perm_b32 v104, v113, v112, 0x5040100
	s_waitcnt lgkmcnt(5)
	v_perm_b32 v105, v115, v114, 0x5040100
	;; [unrolled: 2-line block ×4, first 2 shown]
	v_perm_b32 v108, v119, v174, 0x5040100
	s_waitcnt lgkmcnt(1)
	v_perm_b32 v109, v121, v120, 0x5040100
	s_waitcnt lgkmcnt(0)
	v_perm_b32 v110, v122, v169, 0x5040100
	v_perm_b32 v111, v175, v123, 0x5040100
	s_delay_alu instid0(VALU_DEP_1)
	v_wmma_f16_16x16x16_f16 v[24:31], v[104:111], v[96:103], v[24:31]
	v_add_nc_u32_e32 v104, 0x2000, v254
	v_add_nc_u32_e32 v106, 0x2600, v254
	v_add_nc_u32_e32 v107, 0x2800, v254
	v_add_nc_u32_e32 v109, 0x2c00, v254
	v_add_nc_u32_e32 v110, 0x2e00, v254
	v_add_nc_u32_e32 v105, 0x2400, v254
	ds_load_2addr_b32 v[124:125], v104 offset0:128 offset1:196
	ds_load_2addr_b32 v[126:127], v105 offset0:8 offset1:76
	;; [unrolled: 1-line block ×3, first 2 shown]
	ds_load_b32 v188, v248 offset:1088
	ds_load_b32 v189, v248 offset:2176
	;; [unrolled: 1-line block ×3, first 2 shown]
	ds_load_2addr_b32 v[139:140], v107 offset0:92 offset1:228
	ds_load_2addr_b32 v[141:142], v109 offset0:40 offset1:108
	;; [unrolled: 1-line block ×3, first 2 shown]
	s_waitcnt lgkmcnt(8)
	v_perm_b32 v104, v125, v124, 0x5040100
	s_waitcnt lgkmcnt(7)
	v_perm_b32 v105, v127, v126, 0x5040100
	;; [unrolled: 2-line block ×4, first 2 shown]
	v_perm_b32 v108, v140, v189, 0x5040100
	s_waitcnt lgkmcnt(1)
	v_perm_b32 v109, v142, v141, 0x5040100
	s_waitcnt lgkmcnt(0)
	v_perm_b32 v110, v143, v171, 0x5040100
	v_perm_b32 v111, v190, v144, 0x5040100
	s_delay_alu instid0(VALU_DEP_1)
	v_wmma_f16_16x16x16_f16 v[16:23], v[104:111], v[96:103], v[16:23]
	v_add_nc_u32_e32 v104, 0x2000, v215
	v_add_nc_u32_e32 v106, 0x2600, v215
	;; [unrolled: 1-line block ×6, first 2 shown]
	ds_load_2addr_b32 v[145:146], v104 offset0:128 offset1:196
	ds_load_2addr_b32 v[147:148], v105 offset0:8 offset1:76
	;; [unrolled: 1-line block ×3, first 2 shown]
	ds_load_b32 v191, v249 offset:1088
	ds_load_b32 v192, v249 offset:2176
	ds_load_2addr_b32 v[151:152], v107 offset0:92 offset1:228
	ds_load_2addr_b32 v[153:154], v109 offset0:40 offset1:108
	;; [unrolled: 1-line block ×3, first 2 shown]
	s_waitcnt lgkmcnt(7)
	v_perm_b32 v104, v146, v145, 0x5040100
	s_waitcnt lgkmcnt(6)
	v_perm_b32 v105, v148, v147, 0x5040100
	;; [unrolled: 2-line block ×4, first 2 shown]
	v_perm_b32 v108, v152, v192, 0x5040100
	s_waitcnt lgkmcnt(1)
	v_perm_b32 v109, v154, v153, 0x5040100
	s_waitcnt lgkmcnt(0)
	v_perm_b32 v110, v155, v173, 0x5040100
	v_perm_b32 v111, v170, v156, 0x5040100
	s_delay_alu instid0(VALU_DEP_1)
	v_wmma_f16_16x16x16_f16 v[8:15], v[104:111], v[96:103], v[8:15]
	v_add_nc_u32_e32 v109, 0x2c00, v218
	v_add_nc_u32_e32 v104, 0x2000, v218
	;; [unrolled: 1-line block ×6, first 2 shown]
	ds_load_2addr_b32 v[157:158], v104 offset0:128 offset1:196
	ds_load_2addr_b32 v[159:160], v105 offset0:8 offset1:76
	ds_load_b32 v193, v250 offset:1088
	ds_load_2addr_b32 v[161:162], v106 offset0:84 offset1:152
	ds_load_2addr_b32 v[163:164], v107 offset0:92 offset1:228
	ds_load_b32 v194, v250 offset:2176
	ds_load_b32 v195, v250 offset:3264
	ds_load_2addr_b32 v[165:166], v109 offset0:40 offset1:108
	ds_load_2addr_b32 v[167:168], v110 offset0:116 offset1:184
	s_waitcnt lgkmcnt(0)
	s_barrier
	buffer_gl0_inv
	v_perm_b32 v104, v158, v157, 0x5040100
	v_perm_b32 v105, v160, v159, 0x5040100
	;; [unrolled: 1-line block ×8, first 2 shown]
	s_delay_alu instid0(VALU_DEP_1)
	v_wmma_f16_16x16x16_f16 v[0:7], v[104:111], v[96:103], v[0:7]
	v_perm_b32 v106, v116, v187, 0x7060302
	v_perm_b32 v107, v118, v117, 0x7060302
	v_perm_b32 v108, v119, v174, 0x7060302
	v_perm_b32 v110, v122, v169, 0x7060302
	v_perm_b32 v111, v175, v123, 0x7060302
	v_perm_b32 v104, v113, v112, 0x7060302
	v_perm_b32 v105, v115, v114, 0x7060302
	v_perm_b32 v109, v121, v120, 0x7060302
	s_delay_alu instid0(VALU_DEP_1)
	v_wmma_f16_16x16x16_f16 v[24:31], v[104:111], v[96:103], v[24:31] op_sel:[0,0,1]
	v_perm_b32 v106, v135, v188, 0x7060302
	v_perm_b32 v107, v139, v136, 0x7060302
	v_perm_b32 v108, v140, v189, 0x7060302
	v_perm_b32 v110, v143, v171, 0x7060302
	v_perm_b32 v111, v190, v144, 0x7060302
	v_perm_b32 v104, v125, v124, 0x7060302
	v_perm_b32 v105, v127, v126, 0x7060302
	v_perm_b32 v109, v142, v141, 0x7060302
	s_delay_alu instid0(VALU_DEP_1)
	v_wmma_f16_16x16x16_f16 v[16:23], v[104:111], v[96:103], v[16:23] op_sel:[0,0,1]
	;; [unrolled: 10-line block ×3, first 2 shown]
	v_perm_b32 v106, v161, v193, 0x7060302
	v_perm_b32 v107, v163, v162, 0x7060302
	;; [unrolled: 1-line block ×8, first 2 shown]
	s_delay_alu instid0(VALU_DEP_1) | instskip(SKIP_1) | instid1(VALU_DEP_1)
	v_wmma_f16_16x16x16_f16 v[0:7], v[104:111], v[96:103], v[0:7] op_sel:[0,0,1]
	v_add_f32_e32 v96, v128, v129
	v_add_f32_e32 v96, v130, v96
	s_delay_alu instid0(VALU_DEP_1) | instskip(NEXT) | instid1(VALU_DEP_1)
	v_add_f32_e32 v96, v131, v96
	v_add_f32_e32 v96, v132, v96
	s_delay_alu instid0(VALU_DEP_1) | instskip(NEXT) | instid1(VALU_DEP_1)
	;; [unrolled: 3-line block ×7, first 2 shown]
	v_add_f32_e32 v226, v186, v96
	v_fmac_f32_e32 v226, v233, v138
	s_cbranch_scc0 .LBB25_117
; %bb.116:                              ;   in Loop: Header=BB25_51 Depth=2
	s_delay_alu instid0(VALU_DEP_1)
	v_mov_b32_e32 v233, v226
	v_mov_b32_e32 v179, v178
	s_branch .LBB25_51
.LBB25_117:                             ;   in Loop: Header=BB25_10 Depth=1
	s_clause 0x2
	scratch_load_b32 v96, off, off offset:172
	scratch_load_b32 v97, off, off offset:168
	;; [unrolled: 1-line block ×3, first 2 shown]
	s_lshl_b32 s4, s102, 6
	v_mov_b32_e32 v119, s43
	s_ashr_i32 s5, s4, 31
	v_dual_mov_b32 v116, s40 :: v_dual_mov_b32 v113, s37
	s_lshl_b64 s[6:7], s[4:5], 1
	v_mov_b32_e32 v114, s38
	v_dual_mov_b32 v112, s36 :: v_dual_mov_b32 v117, s41
	v_dual_mov_b32 v115, s39 :: v_dual_mov_b32 v118, s42
	s_waitcnt vmcnt(2)
	v_lshlrev_b32_e32 v96, 1, v96
	s_waitcnt vmcnt(1)
	v_add_co_u32 v97, vcc_lo, v97, s6
	s_waitcnt vmcnt(0)
	v_add_co_ci_u32_e32 v98, vcc_lo, s7, v98, vcc_lo
	s_mul_hi_i32 s7, s12, s4
	s_delay_alu instid0(VALU_DEP_2) | instskip(SKIP_1) | instid1(VALU_DEP_3)
	v_add_co_u32 v100, vcc_lo, v97, v96
	v_lshlrev_b64 v[96:97], 1, v[223:224]
	v_add_co_ci_u32_e32 v101, vcc_lo, 0, v98, vcc_lo
	v_lshlrev_b64 v[98:99], 1, v[221:222]
	s_mul_i32 s6, s12, s4
	s_delay_alu instid0(VALU_DEP_3) | instskip(NEXT) | instid1(VALU_DEP_3)
	v_add_co_u32 v96, vcc_lo, v100, v96
	v_add_co_ci_u32_e32 v97, vcc_lo, v101, v97, vcc_lo
	s_delay_alu instid0(VALU_DEP_3) | instskip(NEXT) | instid1(VALU_DEP_4)
	v_add_co_u32 v98, vcc_lo, v100, v98
	v_add_co_ci_u32_e32 v99, vcc_lo, v101, v99, vcc_lo
	s_clause 0x1
	global_load_b32 v96, v[96:97], off
	global_load_b32 v97, v[98:99], off
	s_clause 0x1
	scratch_load_b32 v98, off, off
	scratch_load_b32 v99, off, off offset:20
	s_lshl_b64 s[6:7], s[6:7], 2
	s_delay_alu instid0(SALU_CYCLE_1) | instskip(SKIP_3) | instid1(VALU_DEP_1)
	s_add_u32 s3, s99, s6
	s_addc_u32 s5, s100, s7
	s_waitcnt vmcnt(0)
	v_add_nc_u32_e32 v98, v98, v99
	v_add_nc_u32_e32 v98, 0x4400, v98
	ds_store_2addr_b32 v98, v96, v97 offset1:144
	s_clause 0x1
	scratch_load_b64 v[96:97], off, off offset:88
	scratch_load_b64 v[98:99], off, off offset:96
	s_waitcnt vmcnt(1)
	v_add_co_u32 v96, vcc_lo, s3, v96
	v_add_co_ci_u32_e32 v97, vcc_lo, s5, v97, vcc_lo
	s_delay_alu instid0(VALU_DEP_2) | instskip(NEXT) | instid1(VALU_DEP_2)
	v_add_co_u32 v96, vcc_lo, v96, v234
	v_add_co_ci_u32_e32 v97, vcc_lo, 0, v97, vcc_lo
	s_waitcnt vmcnt(0)
	v_add_co_u32 v98, vcc_lo, s3, v98
	v_add_co_ci_u32_e32 v99, vcc_lo, s5, v99, vcc_lo
	s_delay_alu instid0(VALU_DEP_2) | instskip(NEXT) | instid1(VALU_DEP_2)
	v_add_co_u32 v100, vcc_lo, v98, v234
	v_add_co_ci_u32_e32 v101, vcc_lo, 0, v99, vcc_lo
	s_clause 0x1
	global_load_b128 v[96:99], v[96:97], off
	global_load_b128 v[100:103], v[100:101], off
	s_waitcnt vmcnt(1)
	ds_store_b128 v245, v[96:99]
	s_waitcnt vmcnt(0)
	ds_store_b128 v238, v[100:103]
	s_clause 0x1
	scratch_load_b64 v[96:97], off, off offset:104
	scratch_load_b64 v[98:99], off, off offset:112
	s_waitcnt vmcnt(1)
	v_add_co_u32 v96, vcc_lo, s3, v96
	v_add_co_ci_u32_e32 v97, vcc_lo, s5, v97, vcc_lo
	s_delay_alu instid0(VALU_DEP_2) | instskip(NEXT) | instid1(VALU_DEP_2)
	v_add_co_u32 v96, vcc_lo, v96, v234
	v_add_co_ci_u32_e32 v97, vcc_lo, 0, v97, vcc_lo
	s_waitcnt vmcnt(0)
	v_add_co_u32 v98, vcc_lo, s3, v98
	v_add_co_ci_u32_e32 v99, vcc_lo, s5, v99, vcc_lo
	s_delay_alu instid0(VALU_DEP_2) | instskip(NEXT) | instid1(VALU_DEP_2)
	v_add_co_u32 v100, vcc_lo, v98, v234
	v_add_co_ci_u32_e32 v101, vcc_lo, 0, v99, vcc_lo
	s_clause 0x1
	global_load_b128 v[96:99], v[96:97], off
	global_load_b128 v[100:103], v[100:101], off
	s_waitcnt vmcnt(1)
	ds_store_b128 v239, v[96:99]
	s_waitcnt vmcnt(0)
	ds_store_b128 v216, v[100:103]
	;; [unrolled: 22-line block ×4, first 2 shown]
	s_waitcnt lgkmcnt(0)
	s_barrier
	buffer_gl0_inv
	s_clause 0x1
	scratch_load_b32 v96, off, off offset:8
	scratch_load_b32 v97, off, off offset:16
	s_waitcnt vmcnt(0)
	v_add_nc_u32_e32 v179, v97, v96
	ds_load_b128 v[104:107], v179
	ds_load_b128 v[108:111], v179 offset:16
	s_waitcnt lgkmcnt(0)
	v_wmma_f32_16x16x16_f16 v[96:103], v[104:111], v[40:47], v[112:119]
	ds_load_b128 v[104:107], v179 offset:32
	ds_load_b128 v[108:111], v179 offset:48
	s_waitcnt lgkmcnt(0)
	v_wmma_f32_16x16x16_f16 v[96:103], v[104:111], v[32:39], v[96:103]
	ds_load_b128 v[104:107], v179 offset:64
	;; [unrolled: 4-line block ×7, first 2 shown]
	ds_load_b128 v[108:111], v179 offset:240
	ds_load_b128 v[168:171], v179 offset:8704
	;; [unrolled: 1-line block ×17, first 2 shown]
	s_waitcnt lgkmcnt(0)
	s_barrier
	buffer_gl0_inv
                                        ; implicit-def: $vgpr179
	v_wmma_f32_16x16x16_f16 v[96:103], v[104:111], v[88:95], v[96:103]
	s_delay_alu instid0(VALU_DEP_1) | instskip(NEXT) | instid1(VALU_DEP_1)
	v_cmp_ngt_f32_e64 s3, 0x3f200000, |v96|
	s_and_saveexec_b32 s5, s3
	s_delay_alu instid0(SALU_CYCLE_1)
	s_xor_b32 s3, exec_lo, s5
	s_cbranch_execz .LBB25_119
; %bb.118:                              ;   in Loop: Header=BB25_10 Depth=1
	v_add_f32_e64 v104, |v96|, |v96|
	s_delay_alu instid0(VALU_DEP_1) | instskip(SKIP_1) | instid1(VALU_DEP_2)
	v_mul_f32_e32 v105, 0x3fb8aa3b, v104
	v_cmp_ngt_f32_e32 vcc_lo, 0xc2ce8ed0, v104
	v_rndne_f32_e32 v106, v105
	v_fma_f32 v107, 0x3fb8aa3b, v104, -v105
	s_delay_alu instid0(VALU_DEP_2) | instskip(NEXT) | instid1(VALU_DEP_2)
	v_sub_f32_e32 v105, v105, v106
	v_fmac_f32_e32 v107, 0x32a5705f, v104
	v_cvt_i32_f32_e32 v106, v106
	s_delay_alu instid0(VALU_DEP_2) | instskip(NEXT) | instid1(VALU_DEP_1)
	v_add_f32_e32 v105, v105, v107
	v_exp_f32_e32 v105, v105
	s_waitcnt_depctr 0xfff
	v_ldexp_f32 v105, v105, v106
	s_delay_alu instid0(VALU_DEP_1) | instskip(SKIP_1) | instid1(VALU_DEP_2)
	v_cndmask_b32_e32 v105, 0, v105, vcc_lo
	v_cmp_nlt_f32_e32 vcc_lo, 0x42b17218, v104
	v_cndmask_b32_e32 v104, 0x7f800000, v105, vcc_lo
	s_delay_alu instid0(VALU_DEP_1) | instskip(NEXT) | instid1(VALU_DEP_1)
	v_add_f32_e32 v104, 1.0, v104
	v_rcp_f32_e32 v104, v104
	s_waitcnt_depctr 0xfff
	v_fma_f32 v179, v104, -2.0, 1.0
.LBB25_119:                             ;   in Loop: Header=BB25_10 Depth=1
	s_and_not1_saveexec_b32 s3, s3
; %bb.120:                              ;   in Loop: Header=BB25_10 Depth=1
	v_mul_f32_e32 v104, v96, v96
	s_delay_alu instid0(VALU_DEP_1) | instskip(NEXT) | instid1(VALU_DEP_1)
	v_fmaak_f32 v105, s49, v104, 0x3ca908c9
	v_fmaak_f32 v105, v104, v105, 0xbd5c1c4e
	s_delay_alu instid0(VALU_DEP_1) | instskip(NEXT) | instid1(VALU_DEP_1)
	v_fmaak_f32 v105, v104, v105, 0x3e088382
	v_fmaak_f32 v105, v104, v105, 0xbeaaaa99
	s_delay_alu instid0(VALU_DEP_1) | instskip(NEXT) | instid1(VALU_DEP_1)
	v_mul_f32_e64 v105, |v96|, v105
	v_fma_f32 v179, v104, v105, |v96|
; %bb.121:                              ;   in Loop: Header=BB25_10 Depth=1
	s_or_b32 exec_lo, exec_lo, s3
	v_cmp_ngt_f32_e64 s3, 0x3f200000, |v97|
                                        ; implicit-def: $vgpr180
	s_delay_alu instid0(VALU_DEP_1) | instskip(NEXT) | instid1(SALU_CYCLE_1)
	s_and_saveexec_b32 s5, s3
	s_xor_b32 s3, exec_lo, s5
	s_cbranch_execz .LBB25_123
; %bb.122:                              ;   in Loop: Header=BB25_10 Depth=1
	v_add_f32_e64 v104, |v97|, |v97|
	s_delay_alu instid0(VALU_DEP_1) | instskip(SKIP_1) | instid1(VALU_DEP_2)
	v_mul_f32_e32 v105, 0x3fb8aa3b, v104
	v_cmp_ngt_f32_e32 vcc_lo, 0xc2ce8ed0, v104
	v_rndne_f32_e32 v106, v105
	v_fma_f32 v107, 0x3fb8aa3b, v104, -v105
	s_delay_alu instid0(VALU_DEP_2) | instskip(NEXT) | instid1(VALU_DEP_2)
	v_sub_f32_e32 v105, v105, v106
	v_fmac_f32_e32 v107, 0x32a5705f, v104
	v_cvt_i32_f32_e32 v106, v106
	s_delay_alu instid0(VALU_DEP_2) | instskip(NEXT) | instid1(VALU_DEP_1)
	v_add_f32_e32 v105, v105, v107
	v_exp_f32_e32 v105, v105
	s_waitcnt_depctr 0xfff
	v_ldexp_f32 v105, v105, v106
	s_delay_alu instid0(VALU_DEP_1) | instskip(SKIP_1) | instid1(VALU_DEP_2)
	v_cndmask_b32_e32 v105, 0, v105, vcc_lo
	v_cmp_nlt_f32_e32 vcc_lo, 0x42b17218, v104
	v_cndmask_b32_e32 v104, 0x7f800000, v105, vcc_lo
	s_delay_alu instid0(VALU_DEP_1) | instskip(NEXT) | instid1(VALU_DEP_1)
	v_add_f32_e32 v104, 1.0, v104
	v_rcp_f32_e32 v104, v104
	s_waitcnt_depctr 0xfff
	v_fma_f32 v180, v104, -2.0, 1.0
.LBB25_123:                             ;   in Loop: Header=BB25_10 Depth=1
	s_and_not1_saveexec_b32 s3, s3
; %bb.124:                              ;   in Loop: Header=BB25_10 Depth=1
	v_mul_f32_e32 v104, v97, v97
	s_delay_alu instid0(VALU_DEP_1) | instskip(NEXT) | instid1(VALU_DEP_1)
	v_fmaak_f32 v105, s49, v104, 0x3ca908c9
	v_fmaak_f32 v105, v104, v105, 0xbd5c1c4e
	s_delay_alu instid0(VALU_DEP_1) | instskip(NEXT) | instid1(VALU_DEP_1)
	v_fmaak_f32 v105, v104, v105, 0x3e088382
	v_fmaak_f32 v105, v104, v105, 0xbeaaaa99
	s_delay_alu instid0(VALU_DEP_1) | instskip(NEXT) | instid1(VALU_DEP_1)
	v_mul_f32_e64 v105, |v97|, v105
	v_fma_f32 v180, v104, v105, |v97|
; %bb.125:                              ;   in Loop: Header=BB25_10 Depth=1
	s_or_b32 exec_lo, exec_lo, s3
	v_cmp_ngt_f32_e64 s3, 0x3f200000, |v98|
                                        ; implicit-def: $vgpr181
	s_delay_alu instid0(VALU_DEP_1) | instskip(NEXT) | instid1(SALU_CYCLE_1)
	s_and_saveexec_b32 s5, s3
	s_xor_b32 s3, exec_lo, s5
	s_cbranch_execz .LBB25_127
; %bb.126:                              ;   in Loop: Header=BB25_10 Depth=1
	v_add_f32_e64 v104, |v98|, |v98|
	s_delay_alu instid0(VALU_DEP_1) | instskip(SKIP_1) | instid1(VALU_DEP_2)
	v_mul_f32_e32 v105, 0x3fb8aa3b, v104
	v_cmp_ngt_f32_e32 vcc_lo, 0xc2ce8ed0, v104
	v_rndne_f32_e32 v106, v105
	v_fma_f32 v107, 0x3fb8aa3b, v104, -v105
	s_delay_alu instid0(VALU_DEP_2) | instskip(NEXT) | instid1(VALU_DEP_2)
	v_sub_f32_e32 v105, v105, v106
	v_fmac_f32_e32 v107, 0x32a5705f, v104
	v_cvt_i32_f32_e32 v106, v106
	s_delay_alu instid0(VALU_DEP_2) | instskip(NEXT) | instid1(VALU_DEP_1)
	v_add_f32_e32 v105, v105, v107
	v_exp_f32_e32 v105, v105
	s_waitcnt_depctr 0xfff
	v_ldexp_f32 v105, v105, v106
	s_delay_alu instid0(VALU_DEP_1) | instskip(SKIP_1) | instid1(VALU_DEP_2)
	v_cndmask_b32_e32 v105, 0, v105, vcc_lo
	v_cmp_nlt_f32_e32 vcc_lo, 0x42b17218, v104
	v_cndmask_b32_e32 v104, 0x7f800000, v105, vcc_lo
	s_delay_alu instid0(VALU_DEP_1) | instskip(NEXT) | instid1(VALU_DEP_1)
	v_add_f32_e32 v104, 1.0, v104
	v_rcp_f32_e32 v104, v104
	s_waitcnt_depctr 0xfff
	v_fma_f32 v181, v104, -2.0, 1.0
.LBB25_127:                             ;   in Loop: Header=BB25_10 Depth=1
	s_and_not1_saveexec_b32 s3, s3
; %bb.128:                              ;   in Loop: Header=BB25_10 Depth=1
	v_mul_f32_e32 v104, v98, v98
	s_delay_alu instid0(VALU_DEP_1) | instskip(NEXT) | instid1(VALU_DEP_1)
	v_fmaak_f32 v105, s49, v104, 0x3ca908c9
	v_fmaak_f32 v105, v104, v105, 0xbd5c1c4e
	s_delay_alu instid0(VALU_DEP_1) | instskip(NEXT) | instid1(VALU_DEP_1)
	v_fmaak_f32 v105, v104, v105, 0x3e088382
	v_fmaak_f32 v105, v104, v105, 0xbeaaaa99
	s_delay_alu instid0(VALU_DEP_1) | instskip(NEXT) | instid1(VALU_DEP_1)
	v_mul_f32_e64 v105, |v98|, v105
	v_fma_f32 v181, v104, v105, |v98|
; %bb.129:                              ;   in Loop: Header=BB25_10 Depth=1
	s_or_b32 exec_lo, exec_lo, s3
	v_cmp_ngt_f32_e64 s3, 0x3f200000, |v99|
                                        ; implicit-def: $vgpr182
	s_delay_alu instid0(VALU_DEP_1) | instskip(NEXT) | instid1(SALU_CYCLE_1)
	s_and_saveexec_b32 s5, s3
	s_xor_b32 s3, exec_lo, s5
	s_cbranch_execz .LBB25_131
; %bb.130:                              ;   in Loop: Header=BB25_10 Depth=1
	v_add_f32_e64 v104, |v99|, |v99|
	s_delay_alu instid0(VALU_DEP_1) | instskip(SKIP_1) | instid1(VALU_DEP_2)
	v_mul_f32_e32 v105, 0x3fb8aa3b, v104
	v_cmp_ngt_f32_e32 vcc_lo, 0xc2ce8ed0, v104
	v_rndne_f32_e32 v106, v105
	v_fma_f32 v107, 0x3fb8aa3b, v104, -v105
	s_delay_alu instid0(VALU_DEP_2) | instskip(NEXT) | instid1(VALU_DEP_2)
	v_sub_f32_e32 v105, v105, v106
	v_fmac_f32_e32 v107, 0x32a5705f, v104
	v_cvt_i32_f32_e32 v106, v106
	s_delay_alu instid0(VALU_DEP_2) | instskip(NEXT) | instid1(VALU_DEP_1)
	v_add_f32_e32 v105, v105, v107
	v_exp_f32_e32 v105, v105
	s_waitcnt_depctr 0xfff
	v_ldexp_f32 v105, v105, v106
	s_delay_alu instid0(VALU_DEP_1) | instskip(SKIP_1) | instid1(VALU_DEP_2)
	v_cndmask_b32_e32 v105, 0, v105, vcc_lo
	v_cmp_nlt_f32_e32 vcc_lo, 0x42b17218, v104
	v_cndmask_b32_e32 v104, 0x7f800000, v105, vcc_lo
	s_delay_alu instid0(VALU_DEP_1) | instskip(NEXT) | instid1(VALU_DEP_1)
	v_add_f32_e32 v104, 1.0, v104
	v_rcp_f32_e32 v104, v104
	s_waitcnt_depctr 0xfff
	v_fma_f32 v182, v104, -2.0, 1.0
.LBB25_131:                             ;   in Loop: Header=BB25_10 Depth=1
	s_and_not1_saveexec_b32 s3, s3
; %bb.132:                              ;   in Loop: Header=BB25_10 Depth=1
	v_mul_f32_e32 v104, v99, v99
	s_delay_alu instid0(VALU_DEP_1) | instskip(NEXT) | instid1(VALU_DEP_1)
	v_fmaak_f32 v105, s49, v104, 0x3ca908c9
	v_fmaak_f32 v105, v104, v105, 0xbd5c1c4e
	s_delay_alu instid0(VALU_DEP_1) | instskip(NEXT) | instid1(VALU_DEP_1)
	v_fmaak_f32 v105, v104, v105, 0x3e088382
	v_fmaak_f32 v105, v104, v105, 0xbeaaaa99
	s_delay_alu instid0(VALU_DEP_1) | instskip(NEXT) | instid1(VALU_DEP_1)
	v_mul_f32_e64 v105, |v99|, v105
	v_fma_f32 v182, v104, v105, |v99|
; %bb.133:                              ;   in Loop: Header=BB25_10 Depth=1
	s_or_b32 exec_lo, exec_lo, s3
	v_cmp_ngt_f32_e64 s3, 0x3f200000, |v100|
                                        ; implicit-def: $vgpr183
	s_delay_alu instid0(VALU_DEP_1) | instskip(NEXT) | instid1(SALU_CYCLE_1)
	s_and_saveexec_b32 s5, s3
	s_xor_b32 s3, exec_lo, s5
	s_cbranch_execz .LBB25_135
; %bb.134:                              ;   in Loop: Header=BB25_10 Depth=1
	v_add_f32_e64 v104, |v100|, |v100|
	s_delay_alu instid0(VALU_DEP_1) | instskip(SKIP_1) | instid1(VALU_DEP_2)
	v_mul_f32_e32 v105, 0x3fb8aa3b, v104
	v_cmp_ngt_f32_e32 vcc_lo, 0xc2ce8ed0, v104
	v_rndne_f32_e32 v106, v105
	v_fma_f32 v107, 0x3fb8aa3b, v104, -v105
	s_delay_alu instid0(VALU_DEP_2) | instskip(NEXT) | instid1(VALU_DEP_2)
	v_sub_f32_e32 v105, v105, v106
	v_fmac_f32_e32 v107, 0x32a5705f, v104
	v_cvt_i32_f32_e32 v106, v106
	s_delay_alu instid0(VALU_DEP_2) | instskip(NEXT) | instid1(VALU_DEP_1)
	v_add_f32_e32 v105, v105, v107
	v_exp_f32_e32 v105, v105
	s_waitcnt_depctr 0xfff
	v_ldexp_f32 v105, v105, v106
	s_delay_alu instid0(VALU_DEP_1) | instskip(SKIP_1) | instid1(VALU_DEP_2)
	v_cndmask_b32_e32 v105, 0, v105, vcc_lo
	v_cmp_nlt_f32_e32 vcc_lo, 0x42b17218, v104
	v_cndmask_b32_e32 v104, 0x7f800000, v105, vcc_lo
	s_delay_alu instid0(VALU_DEP_1) | instskip(NEXT) | instid1(VALU_DEP_1)
	v_add_f32_e32 v104, 1.0, v104
	v_rcp_f32_e32 v104, v104
	s_waitcnt_depctr 0xfff
	v_fma_f32 v183, v104, -2.0, 1.0
.LBB25_135:                             ;   in Loop: Header=BB25_10 Depth=1
	s_and_not1_saveexec_b32 s3, s3
; %bb.136:                              ;   in Loop: Header=BB25_10 Depth=1
	v_mul_f32_e32 v104, v100, v100
	s_delay_alu instid0(VALU_DEP_1) | instskip(NEXT) | instid1(VALU_DEP_1)
	v_fmaak_f32 v105, s49, v104, 0x3ca908c9
	v_fmaak_f32 v105, v104, v105, 0xbd5c1c4e
	s_delay_alu instid0(VALU_DEP_1) | instskip(NEXT) | instid1(VALU_DEP_1)
	v_fmaak_f32 v105, v104, v105, 0x3e088382
	v_fmaak_f32 v105, v104, v105, 0xbeaaaa99
	s_delay_alu instid0(VALU_DEP_1) | instskip(NEXT) | instid1(VALU_DEP_1)
	v_mul_f32_e64 v105, |v100|, v105
	v_fma_f32 v183, v104, v105, |v100|
; %bb.137:                              ;   in Loop: Header=BB25_10 Depth=1
	s_or_b32 exec_lo, exec_lo, s3
	v_cmp_ngt_f32_e64 s3, 0x3f200000, |v101|
                                        ; implicit-def: $vgpr184
	s_delay_alu instid0(VALU_DEP_1) | instskip(NEXT) | instid1(SALU_CYCLE_1)
	s_and_saveexec_b32 s5, s3
	s_xor_b32 s3, exec_lo, s5
	s_cbranch_execz .LBB25_139
; %bb.138:                              ;   in Loop: Header=BB25_10 Depth=1
	v_add_f32_e64 v104, |v101|, |v101|
	s_delay_alu instid0(VALU_DEP_1) | instskip(SKIP_1) | instid1(VALU_DEP_2)
	v_mul_f32_e32 v105, 0x3fb8aa3b, v104
	v_cmp_ngt_f32_e32 vcc_lo, 0xc2ce8ed0, v104
	v_rndne_f32_e32 v106, v105
	v_fma_f32 v107, 0x3fb8aa3b, v104, -v105
	s_delay_alu instid0(VALU_DEP_2) | instskip(NEXT) | instid1(VALU_DEP_2)
	v_sub_f32_e32 v105, v105, v106
	v_fmac_f32_e32 v107, 0x32a5705f, v104
	v_cvt_i32_f32_e32 v106, v106
	s_delay_alu instid0(VALU_DEP_2) | instskip(NEXT) | instid1(VALU_DEP_1)
	v_add_f32_e32 v105, v105, v107
	v_exp_f32_e32 v105, v105
	s_waitcnt_depctr 0xfff
	v_ldexp_f32 v105, v105, v106
	s_delay_alu instid0(VALU_DEP_1) | instskip(SKIP_1) | instid1(VALU_DEP_2)
	v_cndmask_b32_e32 v105, 0, v105, vcc_lo
	v_cmp_nlt_f32_e32 vcc_lo, 0x42b17218, v104
	v_cndmask_b32_e32 v104, 0x7f800000, v105, vcc_lo
	s_delay_alu instid0(VALU_DEP_1) | instskip(NEXT) | instid1(VALU_DEP_1)
	v_add_f32_e32 v104, 1.0, v104
	v_rcp_f32_e32 v104, v104
	s_waitcnt_depctr 0xfff
	v_fma_f32 v184, v104, -2.0, 1.0
.LBB25_139:                             ;   in Loop: Header=BB25_10 Depth=1
	s_and_not1_saveexec_b32 s3, s3
; %bb.140:                              ;   in Loop: Header=BB25_10 Depth=1
	v_mul_f32_e32 v104, v101, v101
	s_delay_alu instid0(VALU_DEP_1) | instskip(NEXT) | instid1(VALU_DEP_1)
	v_fmaak_f32 v105, s49, v104, 0x3ca908c9
	v_fmaak_f32 v105, v104, v105, 0xbd5c1c4e
	s_delay_alu instid0(VALU_DEP_1) | instskip(NEXT) | instid1(VALU_DEP_1)
	v_fmaak_f32 v105, v104, v105, 0x3e088382
	v_fmaak_f32 v105, v104, v105, 0xbeaaaa99
	s_delay_alu instid0(VALU_DEP_1) | instskip(NEXT) | instid1(VALU_DEP_1)
	v_mul_f32_e64 v105, |v101|, v105
	v_fma_f32 v184, v104, v105, |v101|
; %bb.141:                              ;   in Loop: Header=BB25_10 Depth=1
	s_or_b32 exec_lo, exec_lo, s3
	v_cmp_ngt_f32_e64 s3, 0x3f200000, |v102|
                                        ; implicit-def: $vgpr185
	s_delay_alu instid0(VALU_DEP_1) | instskip(NEXT) | instid1(SALU_CYCLE_1)
	s_and_saveexec_b32 s5, s3
	s_xor_b32 s3, exec_lo, s5
	s_cbranch_execz .LBB25_143
; %bb.142:                              ;   in Loop: Header=BB25_10 Depth=1
	v_add_f32_e64 v104, |v102|, |v102|
	s_delay_alu instid0(VALU_DEP_1) | instskip(SKIP_1) | instid1(VALU_DEP_2)
	v_mul_f32_e32 v105, 0x3fb8aa3b, v104
	v_cmp_ngt_f32_e32 vcc_lo, 0xc2ce8ed0, v104
	v_rndne_f32_e32 v106, v105
	v_fma_f32 v107, 0x3fb8aa3b, v104, -v105
	s_delay_alu instid0(VALU_DEP_2) | instskip(NEXT) | instid1(VALU_DEP_2)
	v_sub_f32_e32 v105, v105, v106
	v_fmac_f32_e32 v107, 0x32a5705f, v104
	v_cvt_i32_f32_e32 v106, v106
	s_delay_alu instid0(VALU_DEP_2) | instskip(NEXT) | instid1(VALU_DEP_1)
	v_add_f32_e32 v105, v105, v107
	v_exp_f32_e32 v105, v105
	s_waitcnt_depctr 0xfff
	v_ldexp_f32 v105, v105, v106
	s_delay_alu instid0(VALU_DEP_1) | instskip(SKIP_1) | instid1(VALU_DEP_2)
	v_cndmask_b32_e32 v105, 0, v105, vcc_lo
	v_cmp_nlt_f32_e32 vcc_lo, 0x42b17218, v104
	v_cndmask_b32_e32 v104, 0x7f800000, v105, vcc_lo
	s_delay_alu instid0(VALU_DEP_1) | instskip(NEXT) | instid1(VALU_DEP_1)
	v_add_f32_e32 v104, 1.0, v104
	v_rcp_f32_e32 v104, v104
	s_waitcnt_depctr 0xfff
	v_fma_f32 v185, v104, -2.0, 1.0
.LBB25_143:                             ;   in Loop: Header=BB25_10 Depth=1
	s_and_not1_saveexec_b32 s3, s3
; %bb.144:                              ;   in Loop: Header=BB25_10 Depth=1
	v_mul_f32_e32 v104, v102, v102
	s_delay_alu instid0(VALU_DEP_1) | instskip(NEXT) | instid1(VALU_DEP_1)
	v_fmaak_f32 v105, s49, v104, 0x3ca908c9
	v_fmaak_f32 v105, v104, v105, 0xbd5c1c4e
	s_delay_alu instid0(VALU_DEP_1) | instskip(NEXT) | instid1(VALU_DEP_1)
	v_fmaak_f32 v105, v104, v105, 0x3e088382
	v_fmaak_f32 v105, v104, v105, 0xbeaaaa99
	s_delay_alu instid0(VALU_DEP_1) | instskip(NEXT) | instid1(VALU_DEP_1)
	v_mul_f32_e64 v105, |v102|, v105
	v_fma_f32 v185, v104, v105, |v102|
; %bb.145:                              ;   in Loop: Header=BB25_10 Depth=1
	s_or_b32 exec_lo, exec_lo, s3
	v_cmp_ngt_f32_e64 s3, 0x3f200000, |v103|
                                        ; implicit-def: $vgpr186
	s_delay_alu instid0(VALU_DEP_1) | instskip(NEXT) | instid1(SALU_CYCLE_1)
	s_and_saveexec_b32 s5, s3
	s_xor_b32 s3, exec_lo, s5
	s_cbranch_execz .LBB25_147
; %bb.146:                              ;   in Loop: Header=BB25_10 Depth=1
	v_add_f32_e64 v104, |v103|, |v103|
	s_delay_alu instid0(VALU_DEP_1) | instskip(SKIP_1) | instid1(VALU_DEP_2)
	v_mul_f32_e32 v105, 0x3fb8aa3b, v104
	v_cmp_ngt_f32_e32 vcc_lo, 0xc2ce8ed0, v104
	v_rndne_f32_e32 v106, v105
	v_fma_f32 v107, 0x3fb8aa3b, v104, -v105
	s_delay_alu instid0(VALU_DEP_2) | instskip(NEXT) | instid1(VALU_DEP_2)
	v_sub_f32_e32 v105, v105, v106
	v_fmac_f32_e32 v107, 0x32a5705f, v104
	v_cvt_i32_f32_e32 v106, v106
	s_delay_alu instid0(VALU_DEP_2) | instskip(NEXT) | instid1(VALU_DEP_1)
	v_add_f32_e32 v105, v105, v107
	v_exp_f32_e32 v105, v105
	s_waitcnt_depctr 0xfff
	v_ldexp_f32 v105, v105, v106
	s_delay_alu instid0(VALU_DEP_1) | instskip(SKIP_1) | instid1(VALU_DEP_2)
	v_cndmask_b32_e32 v105, 0, v105, vcc_lo
	v_cmp_nlt_f32_e32 vcc_lo, 0x42b17218, v104
	v_cndmask_b32_e32 v104, 0x7f800000, v105, vcc_lo
	s_delay_alu instid0(VALU_DEP_1) | instskip(NEXT) | instid1(VALU_DEP_1)
	v_add_f32_e32 v104, 1.0, v104
	v_rcp_f32_e32 v104, v104
	s_waitcnt_depctr 0xfff
	v_fma_f32 v186, v104, -2.0, 1.0
.LBB25_147:                             ;   in Loop: Header=BB25_10 Depth=1
	s_and_not1_saveexec_b32 s3, s3
; %bb.148:                              ;   in Loop: Header=BB25_10 Depth=1
	v_mul_f32_e32 v104, v103, v103
	s_delay_alu instid0(VALU_DEP_1) | instskip(NEXT) | instid1(VALU_DEP_1)
	v_fmaak_f32 v105, s49, v104, 0x3ca908c9
	v_fmaak_f32 v105, v104, v105, 0xbd5c1c4e
	s_delay_alu instid0(VALU_DEP_1) | instskip(NEXT) | instid1(VALU_DEP_1)
	v_fmaak_f32 v105, v104, v105, 0x3e088382
	v_fmaak_f32 v105, v104, v105, 0xbeaaaa99
	s_delay_alu instid0(VALU_DEP_1) | instskip(NEXT) | instid1(VALU_DEP_1)
	v_mul_f32_e64 v105, |v103|, v105
	v_fma_f32 v186, v104, v105, |v103|
; %bb.149:                              ;   in Loop: Header=BB25_10 Depth=1
	s_or_b32 exec_lo, exec_lo, s3
	v_dual_mov_b32 v194, s43 :: v_dual_mov_b32 v193, s42
	v_dual_mov_b32 v192, s41 :: v_dual_mov_b32 v191, s40
	;; [unrolled: 1-line block ×4, first 2 shown]
	s_delay_alu instid0(VALU_DEP_1) | instskip(NEXT) | instid1(VALU_DEP_1)
	v_wmma_f32_16x16x16_f16 v[104:111], v[168:175], v[40:47], v[187:194]
	v_wmma_f32_16x16x16_f16 v[104:111], v[160:167], v[32:39], v[104:111]
                                        ; implicit-def: $vgpr32
	s_delay_alu instid0(VALU_DEP_1) | instskip(NEXT) | instid1(VALU_DEP_1)
	v_wmma_f32_16x16x16_f16 v[104:111], v[152:159], v[48:55], v[104:111]
	v_wmma_f32_16x16x16_f16 v[104:111], v[144:151], v[56:63], v[104:111]
	s_delay_alu instid0(VALU_DEP_1) | instskip(NEXT) | instid1(VALU_DEP_1)
	v_wmma_f32_16x16x16_f16 v[104:111], v[136:143], v[64:71], v[104:111]
	v_wmma_f32_16x16x16_f16 v[104:111], v[128:135], v[72:79], v[104:111]
	s_delay_alu instid0(VALU_DEP_1) | instskip(NEXT) | instid1(VALU_DEP_1)
	v_wmma_f32_16x16x16_f16 v[104:111], v[120:127], v[80:87], v[104:111]
	v_wmma_f32_16x16x16_f16 v[104:111], v[112:119], v[88:95], v[104:111]
	s_delay_alu instid0(VALU_DEP_1) | instskip(NEXT) | instid1(VALU_DEP_1)
	v_cmp_ngt_f32_e64 s3, 0x3f200000, |v104|
	s_and_saveexec_b32 s5, s3
	s_delay_alu instid0(SALU_CYCLE_1)
	s_xor_b32 s3, exec_lo, s5
	s_cbranch_execz .LBB25_151
; %bb.150:                              ;   in Loop: Header=BB25_10 Depth=1
	v_add_f32_e64 v32, |v104|, |v104|
	s_delay_alu instid0(VALU_DEP_1) | instskip(SKIP_1) | instid1(VALU_DEP_2)
	v_mul_f32_e32 v33, 0x3fb8aa3b, v32
	v_cmp_ngt_f32_e32 vcc_lo, 0xc2ce8ed0, v32
	v_rndne_f32_e32 v34, v33
	v_fma_f32 v35, 0x3fb8aa3b, v32, -v33
	s_delay_alu instid0(VALU_DEP_2) | instskip(NEXT) | instid1(VALU_DEP_2)
	v_sub_f32_e32 v33, v33, v34
	v_fmac_f32_e32 v35, 0x32a5705f, v32
	v_cvt_i32_f32_e32 v34, v34
	s_delay_alu instid0(VALU_DEP_2) | instskip(NEXT) | instid1(VALU_DEP_1)
	v_add_f32_e32 v33, v33, v35
	v_exp_f32_e32 v33, v33
	s_waitcnt_depctr 0xfff
	v_ldexp_f32 v33, v33, v34
	s_delay_alu instid0(VALU_DEP_1) | instskip(SKIP_1) | instid1(VALU_DEP_2)
	v_cndmask_b32_e32 v33, 0, v33, vcc_lo
	v_cmp_nlt_f32_e32 vcc_lo, 0x42b17218, v32
	v_cndmask_b32_e32 v32, 0x7f800000, v33, vcc_lo
	s_delay_alu instid0(VALU_DEP_1) | instskip(NEXT) | instid1(VALU_DEP_1)
	v_add_f32_e32 v32, 1.0, v32
	v_rcp_f32_e32 v32, v32
	s_waitcnt_depctr 0xfff
	v_fma_f32 v32, v32, -2.0, 1.0
.LBB25_151:                             ;   in Loop: Header=BB25_10 Depth=1
	s_and_not1_saveexec_b32 s3, s3
; %bb.152:                              ;   in Loop: Header=BB25_10 Depth=1
	v_mul_f32_e32 v32, v104, v104
	s_delay_alu instid0(VALU_DEP_1) | instskip(NEXT) | instid1(VALU_DEP_1)
	v_fmaak_f32 v33, s49, v32, 0x3ca908c9
	v_fmaak_f32 v33, v32, v33, 0xbd5c1c4e
	s_delay_alu instid0(VALU_DEP_1) | instskip(NEXT) | instid1(VALU_DEP_1)
	v_fmaak_f32 v33, v32, v33, 0x3e088382
	v_fmaak_f32 v33, v32, v33, 0xbeaaaa99
	s_delay_alu instid0(VALU_DEP_1) | instskip(NEXT) | instid1(VALU_DEP_1)
	v_mul_f32_e64 v33, |v104|, v33
	v_fma_f32 v32, v32, v33, |v104|
; %bb.153:                              ;   in Loop: Header=BB25_10 Depth=1
	s_or_b32 exec_lo, exec_lo, s3
	v_cmp_ngt_f32_e64 s3, 0x3f200000, |v105|
                                        ; implicit-def: $vgpr33
	s_delay_alu instid0(VALU_DEP_1) | instskip(NEXT) | instid1(SALU_CYCLE_1)
	s_and_saveexec_b32 s5, s3
	s_xor_b32 s3, exec_lo, s5
	s_cbranch_execz .LBB25_155
; %bb.154:                              ;   in Loop: Header=BB25_10 Depth=1
	v_add_f32_e64 v33, |v105|, |v105|
	s_delay_alu instid0(VALU_DEP_1) | instskip(SKIP_1) | instid1(VALU_DEP_2)
	v_mul_f32_e32 v34, 0x3fb8aa3b, v33
	v_cmp_ngt_f32_e32 vcc_lo, 0xc2ce8ed0, v33
	v_rndne_f32_e32 v35, v34
	v_fma_f32 v36, 0x3fb8aa3b, v33, -v34
	s_delay_alu instid0(VALU_DEP_2) | instskip(NEXT) | instid1(VALU_DEP_2)
	v_sub_f32_e32 v34, v34, v35
	v_fmac_f32_e32 v36, 0x32a5705f, v33
	v_cvt_i32_f32_e32 v35, v35
	s_delay_alu instid0(VALU_DEP_2) | instskip(NEXT) | instid1(VALU_DEP_1)
	v_add_f32_e32 v34, v34, v36
	v_exp_f32_e32 v34, v34
	s_waitcnt_depctr 0xfff
	v_ldexp_f32 v34, v34, v35
	s_delay_alu instid0(VALU_DEP_1) | instskip(SKIP_1) | instid1(VALU_DEP_2)
	v_cndmask_b32_e32 v34, 0, v34, vcc_lo
	v_cmp_nlt_f32_e32 vcc_lo, 0x42b17218, v33
	v_cndmask_b32_e32 v33, 0x7f800000, v34, vcc_lo
	s_delay_alu instid0(VALU_DEP_1) | instskip(NEXT) | instid1(VALU_DEP_1)
	v_add_f32_e32 v33, 1.0, v33
	v_rcp_f32_e32 v33, v33
	s_waitcnt_depctr 0xfff
	v_fma_f32 v33, v33, -2.0, 1.0
.LBB25_155:                             ;   in Loop: Header=BB25_10 Depth=1
	s_and_not1_saveexec_b32 s3, s3
; %bb.156:                              ;   in Loop: Header=BB25_10 Depth=1
	v_mul_f32_e32 v33, v105, v105
	s_delay_alu instid0(VALU_DEP_1) | instskip(NEXT) | instid1(VALU_DEP_1)
	v_fmaak_f32 v34, s49, v33, 0x3ca908c9
	v_fmaak_f32 v34, v33, v34, 0xbd5c1c4e
	s_delay_alu instid0(VALU_DEP_1) | instskip(NEXT) | instid1(VALU_DEP_1)
	v_fmaak_f32 v34, v33, v34, 0x3e088382
	v_fmaak_f32 v34, v33, v34, 0xbeaaaa99
	s_delay_alu instid0(VALU_DEP_1) | instskip(NEXT) | instid1(VALU_DEP_1)
	v_mul_f32_e64 v34, |v105|, v34
	v_fma_f32 v33, v33, v34, |v105|
; %bb.157:                              ;   in Loop: Header=BB25_10 Depth=1
	s_or_b32 exec_lo, exec_lo, s3
	v_cmp_ngt_f32_e64 s3, 0x3f200000, |v106|
                                        ; implicit-def: $vgpr34
	s_delay_alu instid0(VALU_DEP_1) | instskip(NEXT) | instid1(SALU_CYCLE_1)
	s_and_saveexec_b32 s5, s3
	s_xor_b32 s3, exec_lo, s5
	s_cbranch_execz .LBB25_159
; %bb.158:                              ;   in Loop: Header=BB25_10 Depth=1
	v_add_f32_e64 v34, |v106|, |v106|
	s_delay_alu instid0(VALU_DEP_1) | instskip(SKIP_1) | instid1(VALU_DEP_2)
	v_mul_f32_e32 v35, 0x3fb8aa3b, v34
	v_cmp_ngt_f32_e32 vcc_lo, 0xc2ce8ed0, v34
	v_rndne_f32_e32 v36, v35
	v_fma_f32 v37, 0x3fb8aa3b, v34, -v35
	s_delay_alu instid0(VALU_DEP_2) | instskip(NEXT) | instid1(VALU_DEP_2)
	v_sub_f32_e32 v35, v35, v36
	v_fmac_f32_e32 v37, 0x32a5705f, v34
	v_cvt_i32_f32_e32 v36, v36
	s_delay_alu instid0(VALU_DEP_2) | instskip(NEXT) | instid1(VALU_DEP_1)
	v_add_f32_e32 v35, v35, v37
	v_exp_f32_e32 v35, v35
	s_waitcnt_depctr 0xfff
	v_ldexp_f32 v35, v35, v36
	s_delay_alu instid0(VALU_DEP_1) | instskip(SKIP_1) | instid1(VALU_DEP_2)
	v_cndmask_b32_e32 v35, 0, v35, vcc_lo
	v_cmp_nlt_f32_e32 vcc_lo, 0x42b17218, v34
	v_cndmask_b32_e32 v34, 0x7f800000, v35, vcc_lo
	s_delay_alu instid0(VALU_DEP_1) | instskip(NEXT) | instid1(VALU_DEP_1)
	v_add_f32_e32 v34, 1.0, v34
	v_rcp_f32_e32 v34, v34
	s_waitcnt_depctr 0xfff
	v_fma_f32 v34, v34, -2.0, 1.0
.LBB25_159:                             ;   in Loop: Header=BB25_10 Depth=1
	s_and_not1_saveexec_b32 s3, s3
; %bb.160:                              ;   in Loop: Header=BB25_10 Depth=1
	v_mul_f32_e32 v34, v106, v106
	s_delay_alu instid0(VALU_DEP_1) | instskip(NEXT) | instid1(VALU_DEP_1)
	v_fmaak_f32 v35, s49, v34, 0x3ca908c9
	v_fmaak_f32 v35, v34, v35, 0xbd5c1c4e
	s_delay_alu instid0(VALU_DEP_1) | instskip(NEXT) | instid1(VALU_DEP_1)
	v_fmaak_f32 v35, v34, v35, 0x3e088382
	v_fmaak_f32 v35, v34, v35, 0xbeaaaa99
	s_delay_alu instid0(VALU_DEP_1) | instskip(NEXT) | instid1(VALU_DEP_1)
	v_mul_f32_e64 v35, |v106|, v35
	v_fma_f32 v34, v34, v35, |v106|
; %bb.161:                              ;   in Loop: Header=BB25_10 Depth=1
	s_or_b32 exec_lo, exec_lo, s3
	v_cmp_ngt_f32_e64 s3, 0x3f200000, |v107|
                                        ; implicit-def: $vgpr35
	s_delay_alu instid0(VALU_DEP_1) | instskip(NEXT) | instid1(SALU_CYCLE_1)
	s_and_saveexec_b32 s5, s3
	s_xor_b32 s3, exec_lo, s5
	s_cbranch_execz .LBB25_163
; %bb.162:                              ;   in Loop: Header=BB25_10 Depth=1
	v_add_f32_e64 v35, |v107|, |v107|
	s_delay_alu instid0(VALU_DEP_1) | instskip(SKIP_1) | instid1(VALU_DEP_2)
	v_mul_f32_e32 v36, 0x3fb8aa3b, v35
	v_cmp_ngt_f32_e32 vcc_lo, 0xc2ce8ed0, v35
	v_rndne_f32_e32 v37, v36
	v_fma_f32 v38, 0x3fb8aa3b, v35, -v36
	s_delay_alu instid0(VALU_DEP_2) | instskip(NEXT) | instid1(VALU_DEP_2)
	v_sub_f32_e32 v36, v36, v37
	v_fmac_f32_e32 v38, 0x32a5705f, v35
	v_cvt_i32_f32_e32 v37, v37
	s_delay_alu instid0(VALU_DEP_2) | instskip(NEXT) | instid1(VALU_DEP_1)
	v_add_f32_e32 v36, v36, v38
	v_exp_f32_e32 v36, v36
	s_waitcnt_depctr 0xfff
	v_ldexp_f32 v36, v36, v37
	s_delay_alu instid0(VALU_DEP_1) | instskip(SKIP_1) | instid1(VALU_DEP_2)
	v_cndmask_b32_e32 v36, 0, v36, vcc_lo
	v_cmp_nlt_f32_e32 vcc_lo, 0x42b17218, v35
	v_cndmask_b32_e32 v35, 0x7f800000, v36, vcc_lo
	s_delay_alu instid0(VALU_DEP_1) | instskip(NEXT) | instid1(VALU_DEP_1)
	v_add_f32_e32 v35, 1.0, v35
	v_rcp_f32_e32 v35, v35
	s_waitcnt_depctr 0xfff
	v_fma_f32 v35, v35, -2.0, 1.0
.LBB25_163:                             ;   in Loop: Header=BB25_10 Depth=1
	s_and_not1_saveexec_b32 s3, s3
; %bb.164:                              ;   in Loop: Header=BB25_10 Depth=1
	v_mul_f32_e32 v35, v107, v107
	s_delay_alu instid0(VALU_DEP_1) | instskip(NEXT) | instid1(VALU_DEP_1)
	v_fmaak_f32 v36, s49, v35, 0x3ca908c9
	v_fmaak_f32 v36, v35, v36, 0xbd5c1c4e
	s_delay_alu instid0(VALU_DEP_1) | instskip(NEXT) | instid1(VALU_DEP_1)
	v_fmaak_f32 v36, v35, v36, 0x3e088382
	v_fmaak_f32 v36, v35, v36, 0xbeaaaa99
	s_delay_alu instid0(VALU_DEP_1) | instskip(NEXT) | instid1(VALU_DEP_1)
	v_mul_f32_e64 v36, |v107|, v36
	v_fma_f32 v35, v35, v36, |v107|
; %bb.165:                              ;   in Loop: Header=BB25_10 Depth=1
	s_or_b32 exec_lo, exec_lo, s3
	v_cmp_ngt_f32_e64 s3, 0x3f200000, |v108|
                                        ; implicit-def: $vgpr36
	s_delay_alu instid0(VALU_DEP_1) | instskip(NEXT) | instid1(SALU_CYCLE_1)
	s_and_saveexec_b32 s5, s3
	s_xor_b32 s3, exec_lo, s5
	s_cbranch_execz .LBB25_167
; %bb.166:                              ;   in Loop: Header=BB25_10 Depth=1
	v_add_f32_e64 v36, |v108|, |v108|
	s_delay_alu instid0(VALU_DEP_1) | instskip(SKIP_1) | instid1(VALU_DEP_2)
	v_mul_f32_e32 v37, 0x3fb8aa3b, v36
	v_cmp_ngt_f32_e32 vcc_lo, 0xc2ce8ed0, v36
	v_rndne_f32_e32 v38, v37
	v_fma_f32 v39, 0x3fb8aa3b, v36, -v37
	s_delay_alu instid0(VALU_DEP_2) | instskip(NEXT) | instid1(VALU_DEP_2)
	v_sub_f32_e32 v37, v37, v38
	v_fmac_f32_e32 v39, 0x32a5705f, v36
	v_cvt_i32_f32_e32 v38, v38
	s_delay_alu instid0(VALU_DEP_2) | instskip(NEXT) | instid1(VALU_DEP_1)
	v_add_f32_e32 v37, v37, v39
	v_exp_f32_e32 v37, v37
	s_waitcnt_depctr 0xfff
	v_ldexp_f32 v37, v37, v38
	s_delay_alu instid0(VALU_DEP_1) | instskip(SKIP_1) | instid1(VALU_DEP_2)
	v_cndmask_b32_e32 v37, 0, v37, vcc_lo
	v_cmp_nlt_f32_e32 vcc_lo, 0x42b17218, v36
	v_cndmask_b32_e32 v36, 0x7f800000, v37, vcc_lo
	s_delay_alu instid0(VALU_DEP_1) | instskip(NEXT) | instid1(VALU_DEP_1)
	v_add_f32_e32 v36, 1.0, v36
	v_rcp_f32_e32 v36, v36
	s_waitcnt_depctr 0xfff
	v_fma_f32 v36, v36, -2.0, 1.0
.LBB25_167:                             ;   in Loop: Header=BB25_10 Depth=1
	s_and_not1_saveexec_b32 s3, s3
; %bb.168:                              ;   in Loop: Header=BB25_10 Depth=1
	v_mul_f32_e32 v36, v108, v108
	s_delay_alu instid0(VALU_DEP_1) | instskip(NEXT) | instid1(VALU_DEP_1)
	v_fmaak_f32 v37, s49, v36, 0x3ca908c9
	v_fmaak_f32 v37, v36, v37, 0xbd5c1c4e
	s_delay_alu instid0(VALU_DEP_1) | instskip(NEXT) | instid1(VALU_DEP_1)
	v_fmaak_f32 v37, v36, v37, 0x3e088382
	v_fmaak_f32 v37, v36, v37, 0xbeaaaa99
	s_delay_alu instid0(VALU_DEP_1) | instskip(NEXT) | instid1(VALU_DEP_1)
	v_mul_f32_e64 v37, |v108|, v37
	v_fma_f32 v36, v36, v37, |v108|
; %bb.169:                              ;   in Loop: Header=BB25_10 Depth=1
	s_or_b32 exec_lo, exec_lo, s3
	v_cmp_ngt_f32_e64 s3, 0x3f200000, |v109|
                                        ; implicit-def: $vgpr37
	s_delay_alu instid0(VALU_DEP_1) | instskip(NEXT) | instid1(SALU_CYCLE_1)
	s_and_saveexec_b32 s5, s3
	s_xor_b32 s3, exec_lo, s5
	s_cbranch_execz .LBB25_171
; %bb.170:                              ;   in Loop: Header=BB25_10 Depth=1
	v_add_f32_e64 v37, |v109|, |v109|
	s_delay_alu instid0(VALU_DEP_1) | instskip(SKIP_1) | instid1(VALU_DEP_2)
	v_mul_f32_e32 v38, 0x3fb8aa3b, v37
	v_cmp_ngt_f32_e32 vcc_lo, 0xc2ce8ed0, v37
	v_rndne_f32_e32 v39, v38
	v_fma_f32 v40, 0x3fb8aa3b, v37, -v38
	s_delay_alu instid0(VALU_DEP_2) | instskip(NEXT) | instid1(VALU_DEP_2)
	v_sub_f32_e32 v38, v38, v39
	v_fmac_f32_e32 v40, 0x32a5705f, v37
	v_cvt_i32_f32_e32 v39, v39
	s_delay_alu instid0(VALU_DEP_2) | instskip(NEXT) | instid1(VALU_DEP_1)
	v_add_f32_e32 v38, v38, v40
	v_exp_f32_e32 v38, v38
	s_waitcnt_depctr 0xfff
	v_ldexp_f32 v38, v38, v39
	s_delay_alu instid0(VALU_DEP_1) | instskip(SKIP_1) | instid1(VALU_DEP_2)
	v_cndmask_b32_e32 v38, 0, v38, vcc_lo
	v_cmp_nlt_f32_e32 vcc_lo, 0x42b17218, v37
	v_cndmask_b32_e32 v37, 0x7f800000, v38, vcc_lo
	s_delay_alu instid0(VALU_DEP_1) | instskip(NEXT) | instid1(VALU_DEP_1)
	v_add_f32_e32 v37, 1.0, v37
	v_rcp_f32_e32 v37, v37
	s_waitcnt_depctr 0xfff
	v_fma_f32 v37, v37, -2.0, 1.0
.LBB25_171:                             ;   in Loop: Header=BB25_10 Depth=1
	s_and_not1_saveexec_b32 s3, s3
; %bb.172:                              ;   in Loop: Header=BB25_10 Depth=1
	v_mul_f32_e32 v37, v109, v109
	s_delay_alu instid0(VALU_DEP_1) | instskip(NEXT) | instid1(VALU_DEP_1)
	v_fmaak_f32 v38, s49, v37, 0x3ca908c9
	v_fmaak_f32 v38, v37, v38, 0xbd5c1c4e
	s_delay_alu instid0(VALU_DEP_1) | instskip(NEXT) | instid1(VALU_DEP_1)
	v_fmaak_f32 v38, v37, v38, 0x3e088382
	v_fmaak_f32 v38, v37, v38, 0xbeaaaa99
	s_delay_alu instid0(VALU_DEP_1) | instskip(NEXT) | instid1(VALU_DEP_1)
	v_mul_f32_e64 v38, |v109|, v38
	v_fma_f32 v37, v37, v38, |v109|
; %bb.173:                              ;   in Loop: Header=BB25_10 Depth=1
	s_or_b32 exec_lo, exec_lo, s3
	v_cmp_ngt_f32_e64 s3, 0x3f200000, |v110|
                                        ; implicit-def: $vgpr38
	s_delay_alu instid0(VALU_DEP_1) | instskip(NEXT) | instid1(SALU_CYCLE_1)
	s_and_saveexec_b32 s5, s3
	s_xor_b32 s3, exec_lo, s5
	s_cbranch_execz .LBB25_175
; %bb.174:                              ;   in Loop: Header=BB25_10 Depth=1
	v_add_f32_e64 v38, |v110|, |v110|
	s_delay_alu instid0(VALU_DEP_1) | instskip(SKIP_1) | instid1(VALU_DEP_2)
	v_mul_f32_e32 v39, 0x3fb8aa3b, v38
	v_cmp_ngt_f32_e32 vcc_lo, 0xc2ce8ed0, v38
	v_rndne_f32_e32 v40, v39
	v_fma_f32 v41, 0x3fb8aa3b, v38, -v39
	s_delay_alu instid0(VALU_DEP_2) | instskip(NEXT) | instid1(VALU_DEP_2)
	v_sub_f32_e32 v39, v39, v40
	v_fmac_f32_e32 v41, 0x32a5705f, v38
	v_cvt_i32_f32_e32 v40, v40
	s_delay_alu instid0(VALU_DEP_2) | instskip(NEXT) | instid1(VALU_DEP_1)
	v_add_f32_e32 v39, v39, v41
	v_exp_f32_e32 v39, v39
	s_waitcnt_depctr 0xfff
	v_ldexp_f32 v39, v39, v40
	s_delay_alu instid0(VALU_DEP_1) | instskip(SKIP_1) | instid1(VALU_DEP_2)
	v_cndmask_b32_e32 v39, 0, v39, vcc_lo
	v_cmp_nlt_f32_e32 vcc_lo, 0x42b17218, v38
	v_cndmask_b32_e32 v38, 0x7f800000, v39, vcc_lo
	s_delay_alu instid0(VALU_DEP_1) | instskip(NEXT) | instid1(VALU_DEP_1)
	v_add_f32_e32 v38, 1.0, v38
	v_rcp_f32_e32 v38, v38
	s_waitcnt_depctr 0xfff
	v_fma_f32 v38, v38, -2.0, 1.0
.LBB25_175:                             ;   in Loop: Header=BB25_10 Depth=1
	s_and_not1_saveexec_b32 s3, s3
; %bb.176:                              ;   in Loop: Header=BB25_10 Depth=1
	v_mul_f32_e32 v38, v110, v110
	s_delay_alu instid0(VALU_DEP_1) | instskip(NEXT) | instid1(VALU_DEP_1)
	v_fmaak_f32 v39, s49, v38, 0x3ca908c9
	v_fmaak_f32 v39, v38, v39, 0xbd5c1c4e
	s_delay_alu instid0(VALU_DEP_1) | instskip(NEXT) | instid1(VALU_DEP_1)
	v_fmaak_f32 v39, v38, v39, 0x3e088382
	v_fmaak_f32 v39, v38, v39, 0xbeaaaa99
	s_delay_alu instid0(VALU_DEP_1) | instskip(NEXT) | instid1(VALU_DEP_1)
	v_mul_f32_e64 v39, |v110|, v39
	v_fma_f32 v38, v38, v39, |v110|
; %bb.177:                              ;   in Loop: Header=BB25_10 Depth=1
	s_or_b32 exec_lo, exec_lo, s3
	v_cmp_ngt_f32_e64 s3, 0x3f200000, |v111|
                                        ; implicit-def: $vgpr39
	s_delay_alu instid0(VALU_DEP_1) | instskip(NEXT) | instid1(SALU_CYCLE_1)
	s_and_saveexec_b32 s5, s3
	s_xor_b32 s3, exec_lo, s5
	s_cbranch_execz .LBB25_179
; %bb.178:                              ;   in Loop: Header=BB25_10 Depth=1
	v_add_f32_e64 v39, |v111|, |v111|
	s_delay_alu instid0(VALU_DEP_1) | instskip(SKIP_1) | instid1(VALU_DEP_2)
	v_mul_f32_e32 v40, 0x3fb8aa3b, v39
	v_cmp_ngt_f32_e32 vcc_lo, 0xc2ce8ed0, v39
	v_rndne_f32_e32 v41, v40
	v_fma_f32 v42, 0x3fb8aa3b, v39, -v40
	s_delay_alu instid0(VALU_DEP_2) | instskip(NEXT) | instid1(VALU_DEP_2)
	v_sub_f32_e32 v40, v40, v41
	v_fmac_f32_e32 v42, 0x32a5705f, v39
	v_cvt_i32_f32_e32 v41, v41
	s_delay_alu instid0(VALU_DEP_2) | instskip(NEXT) | instid1(VALU_DEP_1)
	v_add_f32_e32 v40, v40, v42
	v_exp_f32_e32 v40, v40
	s_waitcnt_depctr 0xfff
	v_ldexp_f32 v40, v40, v41
	s_delay_alu instid0(VALU_DEP_1) | instskip(SKIP_1) | instid1(VALU_DEP_2)
	v_cndmask_b32_e32 v40, 0, v40, vcc_lo
	v_cmp_nlt_f32_e32 vcc_lo, 0x42b17218, v39
	v_cndmask_b32_e32 v39, 0x7f800000, v40, vcc_lo
	s_delay_alu instid0(VALU_DEP_1) | instskip(NEXT) | instid1(VALU_DEP_1)
	v_add_f32_e32 v39, 1.0, v39
	v_rcp_f32_e32 v39, v39
	s_waitcnt_depctr 0xfff
	v_fma_f32 v39, v39, -2.0, 1.0
.LBB25_179:                             ;   in Loop: Header=BB25_10 Depth=1
	s_and_not1_saveexec_b32 s3, s3
; %bb.180:                              ;   in Loop: Header=BB25_10 Depth=1
	v_mul_f32_e32 v39, v111, v111
	s_delay_alu instid0(VALU_DEP_1) | instskip(NEXT) | instid1(VALU_DEP_1)
	v_fmaak_f32 v40, s49, v39, 0x3ca908c9
	v_fmaak_f32 v40, v39, v40, 0xbd5c1c4e
	s_delay_alu instid0(VALU_DEP_1) | instskip(NEXT) | instid1(VALU_DEP_1)
	v_fmaak_f32 v40, v39, v40, 0x3e088382
	v_fmaak_f32 v40, v39, v40, 0xbeaaaa99
	s_delay_alu instid0(VALU_DEP_1) | instskip(NEXT) | instid1(VALU_DEP_1)
	v_mul_f32_e64 v40, |v111|, v40
	v_fma_f32 v39, v39, v40, |v111|
; %bb.181:                              ;   in Loop: Header=BB25_10 Depth=1
	s_or_b32 exec_lo, exec_lo, s3
	v_bfi_b32 v48, 0x7fffffff, v32, v104
	v_bfi_b32 v49, 0x7fffffff, v33, v105
	;; [unrolled: 1-line block ×8, first 2 shown]
	ds_load_u16 v32, v246 offset:17408
	ds_load_u16 v33, v246 offset:17412
	;; [unrolled: 1-line block ×8, first 2 shown]
	v_bfi_b32 v41, 0x7fffffff, v179, v96
	v_bfi_b32 v42, 0x7fffffff, v180, v97
	;; [unrolled: 1-line block ×8, first 2 shown]
	s_mul_hi_i32 s5, s4, s10
	s_mul_i32 s4, s4, s10
	v_add_nc_u32_e32 v85, 0x400, v247
	s_lshl_b64 s[4:5], s[4:5], 2
	s_waitcnt lgkmcnt(7)
	v_fma_mix_f32 v32, v41, s33, v32 op_sel_hi:[0,0,1]
	s_waitcnt lgkmcnt(6)
	v_fma_mix_f32 v33, v42, s33, v33 op_sel_hi:[0,0,1]
	s_waitcnt lgkmcnt(5)
	v_fma_mix_f32 v34, v43, s33, v34 op_sel_hi:[0,0,1]
	s_waitcnt lgkmcnt(4)
	v_fma_mix_f32 v35, v44, s33, v35 op_sel_hi:[0,0,1]
	s_waitcnt lgkmcnt(3)
	v_fma_mix_f32 v36, v45, s33, v36 op_sel_hi:[0,0,1]
	v_dual_add_f32 v41, 0x40051340, v32 :: v_dual_add_f32 v42, 0x40051340, v33
	s_waitcnt lgkmcnt(2)
	v_fma_mix_f32 v37, v46, s33, v37 op_sel_hi:[0,0,1]
	v_add_f32_e32 v43, 0x40051340, v35
	s_waitcnt lgkmcnt(1)
	v_fma_mix_f32 v38, v47, s33, v38 op_sel_hi:[0,0,1]
	s_waitcnt lgkmcnt(0)
	v_fma_mix_f32 v39, v40, s33, v39 op_sel_hi:[0,0,1]
	v_max3_f32 v41, v178, v41, v42
	v_add_f32_e32 v42, 0x40051340, v34
	s_add_u32 s3, s97, s4
	v_add_f32_e32 v40, 0x40051340, v38
	s_addc_u32 s4, s98, s5
	v_cmp_eq_u32_e64 s5, 1, v241
	v_max3_f32 v41, v41, v42, v43
	v_dual_add_f32 v42, 0x40051340, v36 :: v_dual_add_f32 v43, 0x40051340, v37
	s_cmp_lg_u64 s[72:73], 0
	v_add_nc_u32_e32 v84, 0xc00, v247
	s_delay_alu instid0(VALU_DEP_2) | instskip(SKIP_1) | instid1(VALU_DEP_1)
	v_max3_f32 v41, v41, v42, v43
	v_add_f32_e32 v42, 0x40051340, v39
	v_max3_f32 v40, v41, v40, v42
	ds_load_u16 v41, v176 offset:64
	ds_load_u16 v42, v176 offset:68
	;; [unrolled: 1-line block ×8, first 2 shown]
	s_waitcnt lgkmcnt(7)
	v_fma_mix_f32 v72, v48, s33, v41 op_sel_hi:[0,0,1]
	s_waitcnt lgkmcnt(6)
	v_fma_mix_f32 v73, v49, s33, v42 op_sel_hi:[0,0,1]
	;; [unrolled: 2-line block ×5, first 2 shown]
	v_dual_add_f32 v41, 0x40051340, v72 :: v_dual_add_f32 v42, 0x40051340, v73
	s_waitcnt lgkmcnt(2)
	v_fma_mix_f32 v68, v53, s33, v46 op_sel_hi:[0,0,1]
	s_waitcnt lgkmcnt(1)
	v_fma_mix_f32 v67, v54, s33, v47 op_sel_hi:[0,0,1]
	;; [unrolled: 2-line block ×3, first 2 shown]
	v_max3_f32 v40, v40, v41, v42
	v_dual_add_f32 v41, 0x40051340, v71 :: v_dual_add_f32 v42, 0x40051340, v70
	s_delay_alu instid0(VALU_DEP_1) | instskip(SKIP_1) | instid1(VALU_DEP_1)
	v_max3_f32 v40, v40, v41, v42
	v_dual_add_f32 v41, 0x40051340, v69 :: v_dual_add_f32 v42, 0x40051340, v68
	v_max3_f32 v40, v40, v41, v42
	v_dual_add_f32 v41, 0x40051340, v67 :: v_dual_add_f32 v42, 0x40051340, v66
	s_delay_alu instid0(VALU_DEP_1) | instskip(SKIP_1) | instid1(VALU_DEP_1)
	v_max3_f32 v40, v40, v41, v42
	v_mbcnt_lo_u32_b32 v42, -1, 0
	v_xor_b32_e32 v41, 16, v42
	s_delay_alu instid0(VALU_DEP_1) | instskip(SKIP_1) | instid1(VALU_DEP_1)
	v_cmp_gt_i32_e32 vcc_lo, 32, v41
	v_cndmask_b32_e32 v41, v42, v41, vcc_lo
	v_lshlrev_b32_e32 v64, 2, v41
	ds_bpermute_b32 v41, v64, v40
	s_waitcnt lgkmcnt(0)
	v_max_f32_e32 v41, v41, v41
	s_delay_alu instid0(VALU_DEP_1) | instskip(NEXT) | instid1(VALU_DEP_1)
	v_max_f32_e32 v65, v40, v41
	v_sub_f32_e32 v40, v178, v65
	v_sub_f32_e32 v33, v33, v65
	;; [unrolled: 1-line block ×4, first 2 shown]
	s_delay_alu instid0(VALU_DEP_4) | instskip(SKIP_3) | instid1(VALU_DEP_4)
	v_dual_sub_f32 v34, v34, v65 :: v_dual_mul_f32 v41, 0x3fb8aa3b, v40
	v_sub_f32_e32 v36, v36, v65
	v_sub_f32_e32 v37, v37, v65
	;; [unrolled: 1-line block ×3, first 2 shown]
	v_cmp_ngt_f32_e64 s6, 0xc2ce8ed0, v34
	v_fma_f32 v42, 0x3fb8aa3b, v40, -v41
	v_rndne_f32_e32 v43, v41
	s_delay_alu instid0(VALU_DEP_1) | instskip(NEXT) | instid1(VALU_DEP_3)
	v_dual_sub_f32 v38, v38, v65 :: v_dual_sub_f32 v41, v41, v43
	v_fmac_f32_e32 v42, 0x32a5705f, v40
	v_cmp_ngt_f32_e32 vcc_lo, 0xc2ce8ed0, v40
	s_delay_alu instid0(VALU_DEP_2) | instskip(SKIP_1) | instid1(VALU_DEP_2)
	v_add_f32_e32 v41, v41, v42
	v_cvt_i32_f32_e32 v42, v43
	v_exp_f32_e32 v41, v41
	s_waitcnt_depctr 0xfff
	v_ldexp_f32 v41, v41, v42
	scratch_load_b64 v[42:43], off, off offset:32 ; 8-byte Folded Reload
	v_cndmask_b32_e32 v41, 0, v41, vcc_lo
	v_cmp_nlt_f32_e32 vcc_lo, 0x42b17218, v40
	s_delay_alu instid0(VALU_DEP_2) | instskip(SKIP_1) | instid1(VALU_DEP_2)
	v_cndmask_b32_e32 v41, 0x7f800000, v41, vcc_lo
	v_cmp_le_f32_e32 vcc_lo, 0xc1a00000, v40
	v_cndmask_b32_e32 v74, 0, v41, vcc_lo
	s_delay_alu instid0(VALU_DEP_1) | instskip(NEXT) | instid1(VALU_DEP_1)
	v_cvt_f16_f32_e32 v40, v74
	v_pk_mul_f16 v24, v40, v24 op_sel_hi:[0,1]
	v_pk_mul_f16 v25, v40, v25 op_sel_hi:[0,1]
	;; [unrolled: 1-line block ×32, first 2 shown]
	scratch_load_b64 v[40:41], off, off offset:24 ; 8-byte Folded Reload
	s_waitcnt vmcnt(0)
	v_add_co_u32 v40, vcc_lo, s3, v40
	v_add_co_ci_u32_e32 v41, vcc_lo, s4, v41, vcc_lo
	s_delay_alu instid0(VALU_DEP_2) | instskip(NEXT) | instid1(VALU_DEP_2)
	v_add_co_u32 v40, vcc_lo, v40, v234
	v_add_co_ci_u32_e32 v41, vcc_lo, 0, v41, vcc_lo
	v_add_co_u32 v42, vcc_lo, s3, v42
	v_add_co_ci_u32_e32 v43, vcc_lo, s4, v43, vcc_lo
	s_delay_alu instid0(VALU_DEP_2) | instskip(NEXT) | instid1(VALU_DEP_2)
	v_add_co_u32 v44, vcc_lo, v42, v234
	v_add_co_ci_u32_e32 v45, vcc_lo, 0, v43, vcc_lo
	s_clause 0x1
	global_load_b128 v[40:43], v[40:41], off
	global_load_b128 v[44:47], v[44:45], off
	s_waitcnt vmcnt(1)
	ds_store_b128 v245, v[40:43]
	s_waitcnt vmcnt(0)
	ds_store_b128 v238, v[44:47]
	s_clause 0x1
	scratch_load_b64 v[40:41], off, off offset:40
	scratch_load_b64 v[42:43], off, off offset:48
	s_waitcnt vmcnt(1)
	v_add_co_u32 v40, vcc_lo, s3, v40
	v_add_co_ci_u32_e32 v41, vcc_lo, s4, v41, vcc_lo
	s_delay_alu instid0(VALU_DEP_2) | instskip(NEXT) | instid1(VALU_DEP_2)
	v_add_co_u32 v40, vcc_lo, v40, v234
	v_add_co_ci_u32_e32 v41, vcc_lo, 0, v41, vcc_lo
	s_waitcnt vmcnt(0)
	v_add_co_u32 v42, vcc_lo, s3, v42
	v_add_co_ci_u32_e32 v43, vcc_lo, s4, v43, vcc_lo
	s_delay_alu instid0(VALU_DEP_2) | instskip(NEXT) | instid1(VALU_DEP_2)
	v_add_co_u32 v44, vcc_lo, v42, v234
	v_add_co_ci_u32_e32 v45, vcc_lo, 0, v43, vcc_lo
	s_clause 0x1
	global_load_b128 v[40:43], v[40:41], off
	global_load_b128 v[44:47], v[44:45], off
	s_waitcnt vmcnt(1)
	ds_store_b128 v239, v[40:43]
	s_waitcnt vmcnt(0)
	ds_store_b128 v216, v[44:47]
	s_clause 0x1
	scratch_load_b64 v[40:41], off, off offset:56
	scratch_load_b64 v[42:43], off, off offset:64
	s_waitcnt vmcnt(1)
	v_add_co_u32 v40, vcc_lo, s3, v40
	v_add_co_ci_u32_e32 v41, vcc_lo, s4, v41, vcc_lo
	s_delay_alu instid0(VALU_DEP_2) | instskip(NEXT) | instid1(VALU_DEP_2)
	v_add_co_u32 v40, vcc_lo, v40, v234
	v_add_co_ci_u32_e32 v41, vcc_lo, 0, v41, vcc_lo
	s_waitcnt vmcnt(0)
	;; [unrolled: 22-line block ×3, first 2 shown]
	v_add_co_u32 v42, vcc_lo, s3, v42
	v_add_co_ci_u32_e32 v43, vcc_lo, s4, v43, vcc_lo
	v_cmp_eq_u32_e64 s4, 0, v241
	s_delay_alu instid0(VALU_DEP_3) | instskip(NEXT) | instid1(VALU_DEP_3)
	v_add_co_u32 v44, vcc_lo, v42, v234
	v_add_co_ci_u32_e32 v45, vcc_lo, 0, v43, vcc_lo
	s_clause 0x1
	global_load_b128 v[40:43], v[40:41], off
	global_load_b128 v[44:47], v[44:45], off
	s_waitcnt vmcnt(1)
	ds_store_b128 v229, v[40:43]
	s_waitcnt vmcnt(0)
	ds_store_b128 v210, v[44:47]
	v_mul_f32_e32 v40, 0x3fb8aa3b, v33
	v_cmp_ngt_f32_e32 vcc_lo, 0xc2ce8ed0, v33
	s_waitcnt lgkmcnt(0)
	s_barrier
	buffer_gl0_inv
	v_fma_f32 v41, 0x3fb8aa3b, v33, -v40
	v_rndne_f32_e32 v42, v40
	ds_load_2addr_b32 v[50:51], v247 offset1:16
	ds_load_2addr_b32 v[52:53], v247 offset0:68 offset1:84
	ds_load_2addr_b32 v[54:55], v247 offset0:136 offset1:152
	;; [unrolled: 1-line block ×4, first 2 shown]
	v_dual_fmac_f32 v41, 0x32a5705f, v33 :: v_dual_sub_f32 v40, v40, v42
	v_cvt_i32_f32_e32 v42, v42
	s_delay_alu instid0(VALU_DEP_2) | instskip(NEXT) | instid1(VALU_DEP_1)
	v_dual_add_f32 v40, v40, v41 :: v_dual_mul_f32 v41, 0x3fb8aa3b, v32
	v_fma_f32 v43, 0x3fb8aa3b, v32, -v41
	v_rndne_f32_e32 v44, v41
	s_waitcnt lgkmcnt(3)
	v_perm_b32 v86, v52, v50, 0x5040100
	s_waitcnt lgkmcnt(1)
	v_perm_b32 v87, v56, v54, 0x5040100
	v_sub_f32_e32 v41, v41, v44
	v_fmac_f32_e32 v43, 0x32a5705f, v32
	v_exp_f32_e32 v40, v40
	v_cmp_ngt_f32_e64 s3, 0xc2ce8ed0, v32
	s_waitcnt lgkmcnt(0)
	v_perm_b32 v88, v95, v94, 0x5040100
	s_waitcnt_depctr 0xfff
	v_ldexp_f32 v40, v40, v42
	v_cvt_i32_f32_e32 v42, v44
	s_delay_alu instid0(VALU_DEP_2) | instskip(SKIP_1) | instid1(VALU_DEP_2)
	v_cndmask_b32_e32 v40, 0, v40, vcc_lo
	v_cmp_nlt_f32_e32 vcc_lo, 0x42b17218, v33
	v_dual_add_f32 v41, v41, v43 :: v_dual_cndmask_b32 v76, 0x7f800000, v40
	s_delay_alu instid0(VALU_DEP_1) | instskip(SKIP_4) | instid1(VALU_DEP_1)
	v_exp_f32_e32 v41, v41
	v_cmp_eq_u32_e32 vcc_lo, 1, v177
	v_add_nc_u32_e32 v83, 0x800, v247
	ds_bpermute_b32 v40, v64, v76
	v_ldexp_f32 v41, v41, v42
	v_cndmask_b32_e64 v33, 0, v41, s3
	v_cmp_nlt_f32_e64 s3, 0x42b17218, v32
	s_delay_alu instid0(VALU_DEP_1)
	v_cndmask_b32_e64 v75, 0x7f800000, v33, s3
	v_cmp_eq_u32_e64 s3, 0, v177
	ds_bpermute_b32 v32, v64, v75
	s_waitcnt lgkmcnt(0)
	v_cndmask_b32_e64 v33, v75, v32, s3
	v_cndmask_b32_e32 v32, v75, v32, vcc_lo
	s_delay_alu instid0(VALU_DEP_2) | instskip(NEXT) | instid1(VALU_DEP_2)
	v_cndmask_b32_e64 v41, v33, v76, s4
	v_cndmask_b32_e64 v42, v32, v76, s5
	v_cvt_f16_f32_e32 v33, v33
	v_cvt_f16_f32_e32 v32, v32
	s_delay_alu instid0(VALU_DEP_4) | instskip(NEXT) | instid1(VALU_DEP_4)
	v_cndmask_b32_e64 v41, v41, v40, s3
	v_cndmask_b32_e32 v40, v42, v40, vcc_lo
	s_delay_alu instid0(VALU_DEP_3) | instskip(NEXT) | instid1(VALU_DEP_3)
	v_pack_b32_f16 v32, v33, v32
	v_cvt_f16_f32_e32 v42, v41
	s_delay_alu instid0(VALU_DEP_3) | instskip(NEXT) | instid1(VALU_DEP_1)
	v_cvt_f16_f32_e32 v43, v40
	v_pack_b32_f16 v33, v42, v43
	v_mul_f32_e32 v42, 0x3fb8aa3b, v34
	s_delay_alu instid0(VALU_DEP_1) | instskip(SKIP_1) | instid1(VALU_DEP_1)
	v_fma_f32 v43, 0x3fb8aa3b, v34, -v42
	v_rndne_f32_e32 v44, v42
	v_dual_fmac_f32 v43, 0x32a5705f, v34 :: v_dual_sub_f32 v42, v42, v44
	s_delay_alu instid0(VALU_DEP_1) | instskip(SKIP_1) | instid1(VALU_DEP_2)
	v_add_f32_e32 v42, v42, v43
	v_cvt_i32_f32_e32 v43, v44
	v_exp_f32_e32 v42, v42
	s_waitcnt_depctr 0xfff
	v_ldexp_f32 v42, v42, v43
	s_delay_alu instid0(VALU_DEP_1) | instskip(SKIP_1) | instid1(VALU_DEP_1)
	v_cndmask_b32_e64 v42, 0, v42, s6
	v_cmp_nlt_f32_e64 s6, 0x42b17218, v34
	v_cndmask_b32_e64 v77, 0x7f800000, v42, s6
	v_cmp_ngt_f32_e64 s6, 0xc2ce8ed0, v35
	s_delay_alu instid0(VALU_DEP_2) | instskip(SKIP_4) | instid1(VALU_DEP_2)
	v_cndmask_b32_e64 v34, v41, v77, s4
	ds_bpermute_b32 v41, v64, v77
	v_cndmask_b32_e64 v40, v40, v77, s5
	s_waitcnt lgkmcnt(0)
	v_cndmask_b32_e64 v42, v34, v41, s3
	v_cndmask_b32_e32 v40, v40, v41, vcc_lo
	s_delay_alu instid0(VALU_DEP_2) | instskip(NEXT) | instid1(VALU_DEP_2)
	v_cvt_f16_f32_e32 v34, v42
	v_cvt_f16_f32_e32 v41, v40
	s_delay_alu instid0(VALU_DEP_1) | instskip(SKIP_1) | instid1(VALU_DEP_1)
	v_pack_b32_f16 v34, v34, v41
	v_mul_f32_e32 v41, 0x3fb8aa3b, v35
	v_fma_f32 v43, 0x3fb8aa3b, v35, -v41
	v_rndne_f32_e32 v44, v41
	s_delay_alu instid0(VALU_DEP_2) | instskip(NEXT) | instid1(VALU_DEP_2)
	v_fmac_f32_e32 v43, 0x32a5705f, v35
	v_sub_f32_e32 v41, v41, v44
	s_delay_alu instid0(VALU_DEP_1) | instskip(SKIP_1) | instid1(VALU_DEP_2)
	v_add_f32_e32 v41, v41, v43
	v_cvt_i32_f32_e32 v43, v44
	v_exp_f32_e32 v41, v41
	s_waitcnt_depctr 0xfff
	v_ldexp_f32 v41, v41, v43
	s_delay_alu instid0(VALU_DEP_1) | instskip(SKIP_1) | instid1(VALU_DEP_1)
	v_cndmask_b32_e64 v41, 0, v41, s6
	v_cmp_nlt_f32_e64 s6, 0x42b17218, v35
	v_cndmask_b32_e64 v78, 0x7f800000, v41, s6
	ds_bpermute_b32 v41, v64, v78
	v_cndmask_b32_e64 v35, v42, v78, s4
	v_cndmask_b32_e64 v40, v40, v78, s5
	s_waitcnt lgkmcnt(0)
	s_delay_alu instid0(VALU_DEP_2) | instskip(NEXT) | instid1(VALU_DEP_2)
	v_cndmask_b32_e64 v42, v35, v41, s3
	v_cndmask_b32_e32 v40, v40, v41, vcc_lo
	s_delay_alu instid0(VALU_DEP_2) | instskip(NEXT) | instid1(VALU_DEP_2)
	v_cvt_f16_f32_e32 v35, v42
	v_cvt_f16_f32_e32 v41, v40
	s_delay_alu instid0(VALU_DEP_1) | instskip(SKIP_1) | instid1(VALU_DEP_1)
	v_pack_b32_f16 v35, v35, v41
	v_mul_f32_e32 v41, 0x3fb8aa3b, v36
	v_fma_f32 v43, 0x3fb8aa3b, v36, -v41
	v_rndne_f32_e32 v44, v41
	s_delay_alu instid0(VALU_DEP_1) | instskip(NEXT) | instid1(VALU_DEP_3)
	v_sub_f32_e32 v41, v41, v44
	v_fmac_f32_e32 v43, 0x32a5705f, v36
	v_cmp_ngt_f32_e64 s6, 0xc2ce8ed0, v36
	s_delay_alu instid0(VALU_DEP_2) | instskip(SKIP_1) | instid1(VALU_DEP_2)
	v_add_f32_e32 v41, v41, v43
	v_cvt_i32_f32_e32 v43, v44
	v_exp_f32_e32 v41, v41
	s_waitcnt_depctr 0xfff
	v_ldexp_f32 v41, v41, v43
	s_delay_alu instid0(VALU_DEP_1) | instskip(SKIP_1) | instid1(VALU_DEP_1)
	v_cndmask_b32_e64 v41, 0, v41, s6
	v_cmp_nlt_f32_e64 s6, 0x42b17218, v36
	v_cndmask_b32_e64 v79, 0x7f800000, v41, s6
	v_cmp_ngt_f32_e64 s6, 0xc2ce8ed0, v37
	ds_bpermute_b32 v41, v64, v79
	v_cndmask_b32_e64 v36, v42, v79, s4
	v_cndmask_b32_e64 v40, v40, v79, s5
	s_waitcnt lgkmcnt(0)
	s_delay_alu instid0(VALU_DEP_2) | instskip(NEXT) | instid1(VALU_DEP_2)
	v_cndmask_b32_e64 v42, v36, v41, s3
	v_cndmask_b32_e32 v40, v40, v41, vcc_lo
	s_delay_alu instid0(VALU_DEP_2) | instskip(NEXT) | instid1(VALU_DEP_2)
	v_cvt_f16_f32_e32 v36, v42
	v_cvt_f16_f32_e32 v41, v40
	s_delay_alu instid0(VALU_DEP_1) | instskip(SKIP_1) | instid1(VALU_DEP_1)
	v_pack_b32_f16 v36, v36, v41
	v_mul_f32_e32 v41, 0x3fb8aa3b, v37
	v_fma_f32 v43, 0x3fb8aa3b, v37, -v41
	v_rndne_f32_e32 v44, v41
	s_delay_alu instid0(VALU_DEP_2) | instskip(NEXT) | instid1(VALU_DEP_2)
	v_fmac_f32_e32 v43, 0x32a5705f, v37
	v_sub_f32_e32 v41, v41, v44
	s_delay_alu instid0(VALU_DEP_1) | instskip(SKIP_1) | instid1(VALU_DEP_2)
	v_add_f32_e32 v41, v41, v43
	v_cvt_i32_f32_e32 v43, v44
	v_exp_f32_e32 v41, v41
	s_waitcnt_depctr 0xfff
	v_ldexp_f32 v41, v41, v43
	s_delay_alu instid0(VALU_DEP_1) | instskip(SKIP_1) | instid1(VALU_DEP_1)
	v_cndmask_b32_e64 v41, 0, v41, s6
	v_cmp_nlt_f32_e64 s6, 0x42b17218, v37
	v_cndmask_b32_e64 v80, 0x7f800000, v41, s6
	v_cmp_ngt_f32_e64 s6, 0xc2ce8ed0, v38
	ds_bpermute_b32 v41, v64, v80
	v_cndmask_b32_e64 v37, v42, v80, s4
	v_cndmask_b32_e64 v40, v40, v80, s5
	s_waitcnt lgkmcnt(0)
	s_delay_alu instid0(VALU_DEP_2) | instskip(NEXT) | instid1(VALU_DEP_2)
	v_cndmask_b32_e64 v42, v37, v41, s3
	v_cndmask_b32_e32 v40, v40, v41, vcc_lo
	s_delay_alu instid0(VALU_DEP_2) | instskip(NEXT) | instid1(VALU_DEP_2)
	v_cvt_f16_f32_e32 v37, v42
	v_cvt_f16_f32_e32 v41, v40
	s_delay_alu instid0(VALU_DEP_1) | instskip(SKIP_1) | instid1(VALU_DEP_1)
	v_pack_b32_f16 v37, v37, v41
	v_mul_f32_e32 v41, 0x3fb8aa3b, v38
	v_fma_f32 v43, 0x3fb8aa3b, v38, -v41
	v_rndne_f32_e32 v44, v41
	s_delay_alu instid0(VALU_DEP_2) | instskip(NEXT) | instid1(VALU_DEP_2)
	v_fmac_f32_e32 v43, 0x32a5705f, v38
	v_sub_f32_e32 v41, v41, v44
	s_delay_alu instid0(VALU_DEP_1) | instskip(SKIP_1) | instid1(VALU_DEP_2)
	;; [unrolled: 29-line block ×3, first 2 shown]
	v_add_f32_e32 v41, v41, v43
	v_cvt_i32_f32_e32 v43, v44
	v_exp_f32_e32 v41, v41
	s_waitcnt_depctr 0xfff
	v_ldexp_f32 v41, v41, v43
	s_delay_alu instid0(VALU_DEP_1) | instskip(SKIP_1) | instid1(VALU_DEP_1)
	v_cndmask_b32_e64 v41, 0, v41, s6
	v_cmp_nlt_f32_e64 s6, 0x42b17218, v39
	v_cndmask_b32_e64 v82, 0x7f800000, v41, s6
	ds_bpermute_b32 v41, v64, v82
	v_cndmask_b32_e64 v39, v42, v82, s4
	v_cndmask_b32_e64 v40, v40, v82, s5
	s_waitcnt lgkmcnt(0)
	s_delay_alu instid0(VALU_DEP_2) | instskip(NEXT) | instid1(VALU_DEP_2)
	v_cndmask_b32_e64 v39, v39, v41, s3
	v_cndmask_b32_e32 v40, v40, v41, vcc_lo
	s_delay_alu instid0(VALU_DEP_2) | instskip(NEXT) | instid1(VALU_DEP_2)
	v_cvt_f16_f32_e32 v39, v39
	v_cvt_f16_f32_e32 v40, v40
	s_delay_alu instid0(VALU_DEP_1)
	v_pack_b32_f16 v39, v39, v40
	ds_load_2addr_b32 v[40:41], v85 offset0:132 offset1:152
	ds_load_2addr_b32 v[42:43], v85 offset0:200 offset1:220
	;; [unrolled: 1-line block ×9, first 2 shown]
	s_waitcnt lgkmcnt(7)
	v_perm_b32 v89, v43, v41, 0x5040100
	s_waitcnt lgkmcnt(5)
	v_perm_b32 v90, v58, v45, 0x5040100
	;; [unrolled: 2-line block ×5, first 2 shown]
	s_delay_alu instid0(VALU_DEP_1)
	v_wmma_f16_16x16x16_f16 v[24:31], v[86:93], v[32:39], v[24:31]
	v_perm_b32 v93, v49, v47, 0x7060302
	v_add_nc_u32_e32 v47, 0x1000, v247
	v_perm_b32 v88, v95, v94, 0x7060302
	v_perm_b32 v92, v97, v96, 0x7060302
	;; [unrolled: 1-line block ×4, first 2 shown]
	ds_load_b32 v41, v254 offset:2176
	ds_load_b32 v43, v254 offset:3264
	;; [unrolled: 1-line block ×4, first 2 shown]
	ds_load_2addr_b32 v[94:95], v85 offset0:100 offset1:116
	ds_load_2addr_b32 v[96:97], v85 offset0:168 offset1:184
	;; [unrolled: 1-line block ×6, first 2 shown]
	v_perm_b32 v86, v52, v50, 0x7060302
	v_perm_b32 v87, v56, v54, 0x7060302
	;; [unrolled: 1-line block ×6, first 2 shown]
	s_delay_alu instid0(VALU_DEP_4)
	v_wmma_f16_16x16x16_f16 v[24:31], v[86:93], v[32:39], v[24:31] op_sel:[0,0,1]
	v_perm_b32 v86, v53, v51, 0x5040100
	v_perm_b32 v87, v57, v55, 0x5040100
	;; [unrolled: 1-line block ×3, first 2 shown]
	s_waitcnt lgkmcnt(9)
	v_perm_b32 v90, v59, v41, 0x5040100
	v_perm_b32 v53, v59, v41, 0x7060302
	s_waitcnt lgkmcnt(5)
	v_perm_b32 v88, v94, v45, 0x5040100
	s_waitcnt lgkmcnt(3)
	;; [unrolled: 2-line block ×4, first 2 shown]
	v_perm_b32 v93, v102, v104, 0x5040100
	v_perm_b32 v51, v94, v45, 0x7060302
	;; [unrolled: 1-line block ×5, first 2 shown]
	v_wmma_f16_16x16x16_f16 v[16:23], v[86:93], v[32:39], v[16:23]
	ds_load_2addr_b32 v[57:58], v247 offset0:32 offset1:48
	ds_load_2addr_b32 v[59:60], v247 offset0:100 offset1:116
	;; [unrolled: 1-line block ×4, first 2 shown]
	ds_load_b32 v41, v215 offset:1088
	ds_load_b32 v43, v215 offset:2176
	;; [unrolled: 1-line block ×5, first 2 shown]
	ds_load_2addr_b32 v[87:88], v83 offset0:132 offset1:148
	ds_load_2addr_b32 v[89:90], v83 offset0:200 offset1:216
	;; [unrolled: 1-line block ×3, first 2 shown]
	v_wmma_f16_16x16x16_f16 v[16:23], v[49:56], v[32:39], v[16:23] op_sel:[0,0,1]
	v_perm_b32 v52, v99, v97, 0x5040100
	v_perm_b32 v56, v103, v105, 0x5040100
	s_waitcnt lgkmcnt(7)
	v_perm_b32 v51, v95, v41, 0x5040100
	v_perm_b32 v49, v59, v57, 0x5040100
	s_waitcnt lgkmcnt(5)
	;; [unrolled: 3-line block ×3, first 2 shown]
	v_perm_b32 v53, v87, v43, 0x5040100
	s_waitcnt lgkmcnt(0)
	v_perm_b32 v54, v83, v89, 0x5040100
	s_delay_alu instid0(VALU_DEP_1)
	v_wmma_f16_16x16x16_f16 v[8:15], v[49:56], v[32:39], v[8:15]
	v_perm_b32 v51, v95, v41, 0x7060302
	v_perm_b32 v55, v101, v45, 0x7060302
	v_perm_b32 v53, v87, v43, 0x7060302
	ds_load_b32 v41, v218 offset:1088
	ds_load_b32 v43, v218 offset:2176
	ds_load_b32 v45, v218 offset:3264
	ds_load_b32 v110, v218 offset:12784
	ds_load_b32 v111, v249 offset:3264
	ds_load_b32 v47, v247 offset:4272
	ds_load_b32 v112, v253 offset:2176
	ds_load_b32 v113, v247 offset:12784
	v_perm_b32 v52, v99, v97, 0x7060302
	v_perm_b32 v56, v103, v105, 0x7060302
	;; [unrolled: 1-line block ×5, first 2 shown]
	s_delay_alu instid0(VALU_DEP_1)
	v_wmma_f16_16x16x16_f16 v[8:15], v[49:56], v[32:39], v[8:15] op_sel:[0,0,1]
	v_perm_b32 v49, v60, v58, 0x5040100
	v_perm_b32 v50, v86, v62, 0x5040100
	;; [unrolled: 1-line block ×4, first 2 shown]
	s_waitcnt lgkmcnt(7)
	v_perm_b32 v51, v40, v41, 0x5040100
	s_waitcnt lgkmcnt(6)
	v_perm_b32 v53, v88, v43, 0x5040100
	;; [unrolled: 2-line block ×4, first 2 shown]
	s_delay_alu instid0(VALU_DEP_1)
	v_wmma_f16_16x16x16_f16 v[0:7], v[49:56], v[32:39], v[0:7]
	v_perm_b32 v49, v60, v58, 0x7060302
	v_perm_b32 v50, v86, v62, 0x7060302
	v_perm_b32 v52, v44, v42, 0x7060302
	v_perm_b32 v54, v84, v90, 0x7060302
	v_perm_b32 v51, v40, v41, 0x7060302
	v_perm_b32 v53, v88, v43, 0x7060302
	v_perm_b32 v55, v46, v45, 0x7060302
	v_perm_b32 v56, v47, v48, 0x7060302
	v_add_nc_u32_e32 v45, 0x2c00, v247
	v_add_nc_u32_e32 v46, 0x2e00, v247
	s_delay_alu instid0(VALU_DEP_3) | instskip(SKIP_1) | instid1(VALU_DEP_1)
	v_wmma_f16_16x16x16_f16 v[0:7], v[49:56], v[32:39], v[0:7] op_sel:[0,0,1]
	v_sub_f32_e32 v32, v73, v65
	v_mul_f32_e32 v33, 0x3fb8aa3b, v32
	v_cmp_ngt_f32_e64 s6, 0xc2ce8ed0, v32
	s_delay_alu instid0(VALU_DEP_2) | instskip(SKIP_1) | instid1(VALU_DEP_1)
	v_fma_f32 v34, 0x3fb8aa3b, v32, -v33
	v_rndne_f32_e32 v35, v33
	v_dual_fmac_f32 v34, 0x32a5705f, v32 :: v_dual_sub_f32 v33, v33, v35
	v_cvt_i32_f32_e32 v35, v35
	s_delay_alu instid0(VALU_DEP_2) | instskip(NEXT) | instid1(VALU_DEP_1)
	v_dual_add_f32 v33, v33, v34 :: v_dual_sub_f32 v34, v72, v65
	v_exp_f32_e32 v33, v33
	s_delay_alu instid0(VALU_DEP_1) | instskip(SKIP_1) | instid1(VALU_DEP_2)
	v_mul_f32_e32 v36, 0x3fb8aa3b, v34
	v_cmp_ngt_f32_e64 s7, 0xc2ce8ed0, v34
	v_fma_f32 v37, 0x3fb8aa3b, v34, -v36
	v_rndne_f32_e32 v38, v36
	s_waitcnt_depctr 0xfff
	v_ldexp_f32 v33, v33, v35
	v_fmac_f32_e32 v37, 0x32a5705f, v34
	v_sub_f32_e32 v36, v36, v38
	s_delay_alu instid0(VALU_DEP_3) | instskip(SKIP_1) | instid1(VALU_DEP_3)
	v_cndmask_b32_e64 v33, 0, v33, s6
	v_cmp_nlt_f32_e64 s6, 0x42b17218, v32
	v_add_f32_e32 v36, v36, v37
	s_delay_alu instid0(VALU_DEP_2) | instskip(NEXT) | instid1(VALU_DEP_2)
	v_cndmask_b32_e64 v115, 0x7f800000, v33, s6
	v_exp_f32_e32 v35, v36
	v_cvt_i32_f32_e32 v36, v38
	s_waitcnt_depctr 0xfff
	v_ldexp_f32 v35, v35, v36
	s_delay_alu instid0(VALU_DEP_1)
	v_cndmask_b32_e64 v32, 0, v35, s7
	v_cmp_nlt_f32_e64 s7, 0x42b17218, v34
	ds_bpermute_b32 v34, v64, v115
	v_cndmask_b32_e64 v114, 0x7f800000, v32, s7
	ds_bpermute_b32 v32, v64, v114
	s_waitcnt lgkmcnt(0)
	v_cndmask_b32_e64 v33, v114, v32, s3
	v_cndmask_b32_e32 v32, v114, v32, vcc_lo
	s_delay_alu instid0(VALU_DEP_2) | instskip(NEXT) | instid1(VALU_DEP_2)
	v_cndmask_b32_e64 v35, v33, v115, s4
	v_cndmask_b32_e64 v36, v32, v115, s5
	v_cvt_f16_f32_e32 v33, v33
	v_cvt_f16_f32_e32 v32, v32
	s_delay_alu instid0(VALU_DEP_4) | instskip(NEXT) | instid1(VALU_DEP_4)
	v_cndmask_b32_e64 v35, v35, v34, s3
	v_cndmask_b32_e32 v34, v36, v34, vcc_lo
	s_delay_alu instid0(VALU_DEP_3) | instskip(NEXT) | instid1(VALU_DEP_3)
	v_pack_b32_f16 v32, v33, v32
	v_cvt_f16_f32_e32 v36, v35
	s_delay_alu instid0(VALU_DEP_3) | instskip(NEXT) | instid1(VALU_DEP_1)
	v_cvt_f16_f32_e32 v37, v34
	v_pack_b32_f16 v33, v36, v37
	v_sub_f32_e32 v36, v71, v65
	s_delay_alu instid0(VALU_DEP_1) | instskip(SKIP_1) | instid1(VALU_DEP_2)
	v_mul_f32_e32 v37, 0x3fb8aa3b, v36
	v_cmp_ngt_f32_e64 s6, 0xc2ce8ed0, v36
	v_fma_f32 v38, 0x3fb8aa3b, v36, -v37
	v_rndne_f32_e32 v39, v37
	s_delay_alu instid0(VALU_DEP_1) | instskip(NEXT) | instid1(VALU_DEP_1)
	v_dual_fmac_f32 v38, 0x32a5705f, v36 :: v_dual_sub_f32 v37, v37, v39
	v_add_f32_e32 v37, v37, v38
	v_cvt_i32_f32_e32 v38, v39
	s_delay_alu instid0(VALU_DEP_2) | instskip(SKIP_2) | instid1(VALU_DEP_1)
	v_exp_f32_e32 v37, v37
	s_waitcnt_depctr 0xfff
	v_ldexp_f32 v37, v37, v38
	v_cndmask_b32_e64 v37, 0, v37, s6
	v_cmp_nlt_f32_e64 s6, 0x42b17218, v36
	s_delay_alu instid0(VALU_DEP_1) | instskip(SKIP_4) | instid1(VALU_DEP_2)
	v_cndmask_b32_e64 v116, 0x7f800000, v37, s6
	ds_bpermute_b32 v36, v64, v116
	v_cndmask_b32_e64 v35, v35, v116, s4
	v_cndmask_b32_e64 v34, v34, v116, s5
	s_waitcnt lgkmcnt(0)
	v_cndmask_b32_e64 v35, v35, v36, s3
	s_delay_alu instid0(VALU_DEP_2) | instskip(NEXT) | instid1(VALU_DEP_2)
	v_cndmask_b32_e32 v36, v34, v36, vcc_lo
	v_cvt_f16_f32_e32 v34, v35
	s_delay_alu instid0(VALU_DEP_2) | instskip(NEXT) | instid1(VALU_DEP_1)
	v_cvt_f16_f32_e32 v37, v36
	v_pack_b32_f16 v34, v34, v37
	v_sub_f32_e32 v37, v70, v65
	s_delay_alu instid0(VALU_DEP_1) | instskip(SKIP_1) | instid1(VALU_DEP_2)
	v_mul_f32_e32 v38, 0x3fb8aa3b, v37
	v_cmp_ngt_f32_e64 s6, 0xc2ce8ed0, v37
	v_fma_f32 v39, 0x3fb8aa3b, v37, -v38
	v_rndne_f32_e32 v40, v38
	s_delay_alu instid0(VALU_DEP_1) | instskip(NEXT) | instid1(VALU_DEP_1)
	v_dual_fmac_f32 v39, 0x32a5705f, v37 :: v_dual_sub_f32 v38, v38, v40
	v_add_f32_e32 v38, v38, v39
	v_cvt_i32_f32_e32 v39, v40
	s_delay_alu instid0(VALU_DEP_2) | instskip(SKIP_2) | instid1(VALU_DEP_1)
	v_exp_f32_e32 v38, v38
	s_waitcnt_depctr 0xfff
	v_ldexp_f32 v38, v38, v39
	v_cndmask_b32_e64 v38, 0, v38, s6
	v_cmp_nlt_f32_e64 s6, 0x42b17218, v37
	s_delay_alu instid0(VALU_DEP_1) | instskip(SKIP_4) | instid1(VALU_DEP_2)
	v_cndmask_b32_e64 v117, 0x7f800000, v38, s6
	ds_bpermute_b32 v37, v64, v117
	v_cndmask_b32_e64 v35, v35, v117, s4
	v_cndmask_b32_e64 v36, v36, v117, s5
	s_waitcnt lgkmcnt(0)
	v_cndmask_b32_e64 v38, v35, v37, s3
	s_delay_alu instid0(VALU_DEP_2) | instskip(NEXT) | instid1(VALU_DEP_2)
	v_cndmask_b32_e32 v36, v36, v37, vcc_lo
	v_cvt_f16_f32_e32 v35, v38
	s_delay_alu instid0(VALU_DEP_2) | instskip(NEXT) | instid1(VALU_DEP_1)
	v_cvt_f16_f32_e32 v37, v36
	v_pack_b32_f16 v35, v35, v37
	v_sub_f32_e32 v37, v69, v65
	s_delay_alu instid0(VALU_DEP_1) | instskip(SKIP_1) | instid1(VALU_DEP_2)
	v_mul_f32_e32 v39, 0x3fb8aa3b, v37
	v_cmp_ngt_f32_e64 s6, 0xc2ce8ed0, v37
	v_fma_f32 v40, 0x3fb8aa3b, v37, -v39
	v_rndne_f32_e32 v41, v39
	s_delay_alu instid0(VALU_DEP_2) | instskip(NEXT) | instid1(VALU_DEP_2)
	v_fmac_f32_e32 v40, 0x32a5705f, v37
	v_sub_f32_e32 v39, v39, v41
	s_delay_alu instid0(VALU_DEP_1) | instskip(SKIP_1) | instid1(VALU_DEP_2)
	v_add_f32_e32 v39, v39, v40
	v_cvt_i32_f32_e32 v40, v41
	v_exp_f32_e32 v39, v39
	s_waitcnt_depctr 0xfff
	v_ldexp_f32 v39, v39, v40
	s_delay_alu instid0(VALU_DEP_1) | instskip(SKIP_1) | instid1(VALU_DEP_1)
	v_cndmask_b32_e64 v39, 0, v39, s6
	v_cmp_nlt_f32_e64 s6, 0x42b17218, v37
	v_cndmask_b32_e64 v118, 0x7f800000, v39, s6
	s_delay_alu instid0(VALU_DEP_1) | instskip(SKIP_4) | instid1(VALU_DEP_2)
	v_cndmask_b32_e64 v37, v38, v118, s4
	ds_bpermute_b32 v38, v64, v118
	v_cndmask_b32_e64 v36, v36, v118, s5
	s_waitcnt lgkmcnt(0)
	v_cndmask_b32_e64 v37, v37, v38, s3
	v_cndmask_b32_e32 v38, v36, v38, vcc_lo
	s_delay_alu instid0(VALU_DEP_2) | instskip(NEXT) | instid1(VALU_DEP_2)
	v_cvt_f16_f32_e32 v36, v37
	v_cvt_f16_f32_e32 v39, v38
	s_delay_alu instid0(VALU_DEP_1) | instskip(SKIP_1) | instid1(VALU_DEP_1)
	v_pack_b32_f16 v36, v36, v39
	v_sub_f32_e32 v39, v68, v65
	v_mul_f32_e32 v40, 0x3fb8aa3b, v39
	v_cmp_ngt_f32_e64 s6, 0xc2ce8ed0, v39
	s_delay_alu instid0(VALU_DEP_2) | instskip(SKIP_1) | instid1(VALU_DEP_1)
	v_fma_f32 v41, 0x3fb8aa3b, v39, -v40
	v_rndne_f32_e32 v42, v40
	v_dual_fmac_f32 v41, 0x32a5705f, v39 :: v_dual_sub_f32 v40, v40, v42
	s_delay_alu instid0(VALU_DEP_1) | instskip(SKIP_1) | instid1(VALU_DEP_2)
	v_add_f32_e32 v40, v40, v41
	v_cvt_i32_f32_e32 v41, v42
	v_exp_f32_e32 v40, v40
	s_waitcnt_depctr 0xfff
	v_ldexp_f32 v40, v40, v41
	s_delay_alu instid0(VALU_DEP_1) | instskip(SKIP_1) | instid1(VALU_DEP_1)
	v_cndmask_b32_e64 v40, 0, v40, s6
	v_cmp_nlt_f32_e64 s6, 0x42b17218, v39
	v_cndmask_b32_e64 v119, 0x7f800000, v40, s6
	ds_bpermute_b32 v39, v64, v119
	v_cndmask_b32_e64 v37, v37, v119, s4
	v_cndmask_b32_e64 v38, v38, v119, s5
	s_waitcnt lgkmcnt(0)
	s_delay_alu instid0(VALU_DEP_2) | instskip(NEXT) | instid1(VALU_DEP_2)
	v_cndmask_b32_e64 v40, v37, v39, s3
	v_cndmask_b32_e32 v38, v38, v39, vcc_lo
	s_delay_alu instid0(VALU_DEP_2) | instskip(NEXT) | instid1(VALU_DEP_2)
	v_cvt_f16_f32_e32 v37, v40
	v_cvt_f16_f32_e32 v39, v38
	s_delay_alu instid0(VALU_DEP_1) | instskip(SKIP_1) | instid1(VALU_DEP_1)
	v_pack_b32_f16 v37, v37, v39
	v_sub_f32_e32 v39, v67, v65
	v_mul_f32_e32 v41, 0x3fb8aa3b, v39
	v_cmp_ngt_f32_e64 s6, 0xc2ce8ed0, v39
	s_delay_alu instid0(VALU_DEP_2) | instskip(SKIP_1) | instid1(VALU_DEP_2)
	v_fma_f32 v42, 0x3fb8aa3b, v39, -v41
	v_rndne_f32_e32 v43, v41
	v_fmac_f32_e32 v42, 0x32a5705f, v39
	s_delay_alu instid0(VALU_DEP_2) | instskip(NEXT) | instid1(VALU_DEP_1)
	v_sub_f32_e32 v41, v41, v43
	v_add_f32_e32 v41, v41, v42
	v_cvt_i32_f32_e32 v42, v43
	s_delay_alu instid0(VALU_DEP_2) | instskip(SKIP_2) | instid1(VALU_DEP_1)
	v_exp_f32_e32 v41, v41
	s_waitcnt_depctr 0xfff
	v_ldexp_f32 v41, v41, v42
	v_cndmask_b32_e64 v41, 0, v41, s6
	v_cmp_nlt_f32_e64 s6, 0x42b17218, v39
	s_delay_alu instid0(VALU_DEP_1) | instskip(NEXT) | instid1(VALU_DEP_1)
	v_cndmask_b32_e64 v120, 0x7f800000, v41, s6
	v_cndmask_b32_e64 v39, v40, v120, s4
	ds_bpermute_b32 v40, v64, v120
	v_cndmask_b32_e64 v38, v38, v120, s5
	s_waitcnt lgkmcnt(0)
	v_cndmask_b32_e64 v39, v39, v40, s3
	s_delay_alu instid0(VALU_DEP_2) | instskip(NEXT) | instid1(VALU_DEP_2)
	v_cndmask_b32_e32 v40, v38, v40, vcc_lo
	v_cvt_f16_f32_e32 v38, v39
	s_delay_alu instid0(VALU_DEP_2) | instskip(NEXT) | instid1(VALU_DEP_1)
	v_cvt_f16_f32_e32 v41, v40
	v_pack_b32_f16 v38, v38, v41
	v_sub_f32_e32 v41, v66, v65
	s_delay_alu instid0(VALU_DEP_1) | instskip(SKIP_1) | instid1(VALU_DEP_2)
	v_mul_f32_e32 v42, 0x3fb8aa3b, v41
	v_cmp_ngt_f32_e64 s6, 0xc2ce8ed0, v41
	v_fma_f32 v43, 0x3fb8aa3b, v41, -v42
	v_rndne_f32_e32 v44, v42
	s_delay_alu instid0(VALU_DEP_1) | instskip(NEXT) | instid1(VALU_DEP_1)
	v_dual_fmac_f32 v43, 0x32a5705f, v41 :: v_dual_sub_f32 v42, v42, v44
	v_add_f32_e32 v42, v42, v43
	v_cvt_i32_f32_e32 v43, v44
	s_delay_alu instid0(VALU_DEP_2) | instskip(SKIP_3) | instid1(VALU_DEP_2)
	v_exp_f32_e32 v42, v42
	s_waitcnt_depctr 0xfff
	v_ldexp_f32 v42, v42, v43
	v_add_nc_u32_e32 v43, 0x2800, v247
	v_cndmask_b32_e64 v42, 0, v42, s6
	v_cmp_nlt_f32_e64 s6, 0x42b17218, v41
	s_delay_alu instid0(VALU_DEP_1)
	v_cndmask_b32_e64 v121, 0x7f800000, v42, s6
	v_add_nc_u32_e32 v42, 0x2600, v247
	ds_bpermute_b32 v41, v64, v121
	v_cndmask_b32_e64 v39, v39, v121, s4
	v_cndmask_b32_e64 v40, v40, v121, s5
	s_waitcnt lgkmcnt(0)
	s_delay_alu instid0(VALU_DEP_2) | instskip(NEXT) | instid1(VALU_DEP_2)
	v_cndmask_b32_e64 v39, v39, v41, s3
	v_dual_cndmask_b32 v40, v40, v41 :: v_dual_add_nc_u32 v41, 0x2400, v247
	s_cselect_b32 s3, -1, 0
	s_delay_alu instid0(VALU_DEP_2) | instskip(NEXT) | instid1(VALU_DEP_2)
	v_cvt_f16_f32_e32 v39, v39
	v_cvt_f16_f32_e32 v40, v40
	s_and_b32 s4, s0, s3
	s_delay_alu instid0(VALU_DEP_1)
	v_pack_b32_f16 v39, v39, v40
	v_add_nc_u32_e32 v40, 0x2000, v247
	ds_load_2addr_b32 v[48:49], v40 offset0:128 offset1:196
	ds_load_2addr_b32 v[50:51], v41 offset0:8 offset1:76
	ds_load_b32 v122, v253 offset:1088
	ds_load_2addr_b32 v[52:53], v42 offset0:84 offset1:152
	ds_load_2addr_b32 v[54:55], v43 offset0:92 offset1:228
	;; [unrolled: 1-line block ×4, first 2 shown]
	s_waitcnt lgkmcnt(6)
	v_perm_b32 v40, v49, v48, 0x5040100
	s_waitcnt lgkmcnt(5)
	v_perm_b32 v41, v51, v50, 0x5040100
	;; [unrolled: 2-line block ×4, first 2 shown]
	v_perm_b32 v44, v55, v112, 0x5040100
	s_waitcnt lgkmcnt(1)
	v_perm_b32 v45, v57, v56, 0x5040100
	s_waitcnt lgkmcnt(0)
	v_perm_b32 v46, v58, v107, 0x5040100
	v_perm_b32 v47, v113, v59, 0x5040100
	s_delay_alu instid0(VALU_DEP_1)
	v_wmma_f16_16x16x16_f16 v[24:31], v[40:47], v[32:39], v[24:31]
	v_add_nc_u32_e32 v40, 0x2000, v254
	v_add_nc_u32_e32 v42, 0x2600, v254
	;; [unrolled: 1-line block ×6, first 2 shown]
	ds_load_2addr_b32 v[60:61], v40 offset0:128 offset1:196
	ds_load_2addr_b32 v[62:63], v41 offset0:8 offset1:76
	;; [unrolled: 1-line block ×3, first 2 shown]
	ds_load_b32 v123, v248 offset:1088
	ds_load_b32 v124, v248 offset:2176
	;; [unrolled: 1-line block ×3, first 2 shown]
	ds_load_2addr_b32 v[68:69], v43 offset0:92 offset1:228
	ds_load_2addr_b32 v[70:71], v45 offset0:40 offset1:108
	;; [unrolled: 1-line block ×3, first 2 shown]
	s_waitcnt lgkmcnt(8)
	v_perm_b32 v40, v61, v60, 0x5040100
	s_waitcnt lgkmcnt(7)
	v_perm_b32 v41, v63, v62, 0x5040100
	;; [unrolled: 2-line block ×4, first 2 shown]
	v_perm_b32 v44, v69, v124, 0x5040100
	s_waitcnt lgkmcnt(1)
	v_perm_b32 v45, v71, v70, 0x5040100
	s_waitcnt lgkmcnt(0)
	v_perm_b32 v46, v72, v109, 0x5040100
	v_perm_b32 v47, v125, v73, 0x5040100
	s_delay_alu instid0(VALU_DEP_1)
	v_wmma_f16_16x16x16_f16 v[16:23], v[40:47], v[32:39], v[16:23]
	v_add_nc_u32_e32 v40, 0x2000, v215
	v_add_nc_u32_e32 v42, 0x2600, v215
	;; [unrolled: 1-line block ×6, first 2 shown]
	ds_load_2addr_b32 v[83:84], v40 offset0:128 offset1:196
	ds_load_2addr_b32 v[85:86], v41 offset0:8 offset1:76
	;; [unrolled: 1-line block ×3, first 2 shown]
	ds_load_b32 v126, v249 offset:1088
	ds_load_b32 v127, v249 offset:2176
	ds_load_2addr_b32 v[89:90], v43 offset0:92 offset1:228
	ds_load_2addr_b32 v[91:92], v45 offset0:40 offset1:108
	;; [unrolled: 1-line block ×3, first 2 shown]
	s_waitcnt lgkmcnt(7)
	v_perm_b32 v40, v84, v83, 0x5040100
	s_waitcnt lgkmcnt(6)
	v_perm_b32 v41, v86, v85, 0x5040100
	;; [unrolled: 2-line block ×4, first 2 shown]
	v_perm_b32 v44, v90, v127, 0x5040100
	s_waitcnt lgkmcnt(1)
	v_perm_b32 v45, v92, v91, 0x5040100
	s_waitcnt lgkmcnt(0)
	v_perm_b32 v46, v93, v111, 0x5040100
	v_perm_b32 v47, v108, v94, 0x5040100
	s_delay_alu instid0(VALU_DEP_1)
	v_wmma_f16_16x16x16_f16 v[8:15], v[40:47], v[32:39], v[8:15]
	v_add_nc_u32_e32 v40, 0x2000, v218
	v_add_nc_u32_e32 v43, 0x2800, v218
	;; [unrolled: 1-line block ×6, first 2 shown]
	ds_load_2addr_b32 v[95:96], v40 offset0:128 offset1:196
	ds_load_2addr_b32 v[97:98], v41 offset0:8 offset1:76
	ds_load_b32 v128, v250 offset:1088
	ds_load_2addr_b32 v[99:100], v42 offset0:84 offset1:152
	ds_load_2addr_b32 v[101:102], v43 offset0:92 offset1:228
	ds_load_b32 v129, v250 offset:2176
	ds_load_b32 v130, v250 offset:3264
	ds_load_2addr_b32 v[103:104], v45 offset0:40 offset1:108
	ds_load_2addr_b32 v[105:106], v46 offset0:116 offset1:184
	s_waitcnt lgkmcnt(0)
	s_barrier
	buffer_gl0_inv
	v_perm_b32 v40, v96, v95, 0x5040100
	v_perm_b32 v41, v98, v97, 0x5040100
	;; [unrolled: 1-line block ×8, first 2 shown]
	s_delay_alu instid0(VALU_DEP_1)
	v_wmma_f16_16x16x16_f16 v[0:7], v[40:47], v[32:39], v[0:7]
	v_perm_b32 v42, v52, v122, 0x7060302
	v_perm_b32 v43, v54, v53, 0x7060302
	v_perm_b32 v44, v55, v112, 0x7060302
	v_perm_b32 v46, v58, v107, 0x7060302
	v_perm_b32 v47, v113, v59, 0x7060302
	v_perm_b32 v40, v49, v48, 0x7060302
	v_perm_b32 v41, v51, v50, 0x7060302
	v_perm_b32 v45, v57, v56, 0x7060302
	s_delay_alu instid0(VALU_DEP_1)
	v_wmma_f16_16x16x16_f16 v[24:31], v[40:47], v[32:39], v[24:31] op_sel:[0,0,1]
	v_perm_b32 v42, v66, v123, 0x7060302
	v_perm_b32 v43, v68, v67, 0x7060302
	v_perm_b32 v44, v69, v124, 0x7060302
	v_perm_b32 v46, v72, v109, 0x7060302
	v_perm_b32 v47, v125, v73, 0x7060302
	v_perm_b32 v40, v61, v60, 0x7060302
	v_perm_b32 v41, v63, v62, 0x7060302
	v_perm_b32 v45, v71, v70, 0x7060302
	s_delay_alu instid0(VALU_DEP_1)
	v_wmma_f16_16x16x16_f16 v[16:23], v[40:47], v[32:39], v[16:23] op_sel:[0,0,1]
	;; [unrolled: 10-line block ×3, first 2 shown]
	v_perm_b32 v42, v99, v128, 0x7060302
	v_perm_b32 v43, v101, v100, 0x7060302
	;; [unrolled: 1-line block ×8, first 2 shown]
	s_delay_alu instid0(VALU_DEP_1) | instskip(SKIP_1) | instid1(VALU_DEP_1)
	v_wmma_f16_16x16x16_f16 v[0:7], v[40:47], v[32:39], v[0:7] op_sel:[0,0,1]
	v_add_f32_e32 v32, v75, v76
	v_add_f32_e32 v32, v77, v32
	s_delay_alu instid0(VALU_DEP_1) | instskip(NEXT) | instid1(VALU_DEP_1)
	v_add_f32_e32 v32, v78, v32
	v_add_f32_e32 v32, v79, v32
	s_delay_alu instid0(VALU_DEP_1) | instskip(NEXT) | instid1(VALU_DEP_1)
	;; [unrolled: 3-line block ×7, first 2 shown]
	v_add_f32_e32 v32, v121, v32
	v_fmac_f32_e32 v32, v226, v74
	ds_bpermute_b32 v33, v64, v32
	s_waitcnt lgkmcnt(0)
	v_add_f32_e32 v32, v32, v33
	s_and_saveexec_b32 s3, s4
	s_cbranch_execz .LBB25_183
; %bb.182:                              ;   in Loop: Header=BB25_10 Depth=1
	scratch_load_b32 v33, off, off offset:276 ; 4-byte Folded Reload
	v_max_f32_e32 v34, v65, v65
	s_waitcnt vmcnt(0)
	v_lshlrev_b32_e32 v33, 2, v33
	global_load_b32 v33, v33, s[72:73]
	s_waitcnt vmcnt(0)
	v_max_f32_e32 v35, v33, v33
	s_delay_alu instid0(VALU_DEP_1) | instskip(NEXT) | instid1(VALU_DEP_1)
	v_max_f32_e32 v34, v34, v35
	v_sub_f32_e32 v35, v65, v34
	v_mov_b32_e32 v65, v34
	s_delay_alu instid0(VALU_DEP_2) | instskip(NEXT) | instid1(VALU_DEP_1)
	v_dual_sub_f32 v33, v33, v34 :: v_dual_mul_f32 v36, 0x3fb8aa3b, v35
	v_fma_f32 v37, 0x3fb8aa3b, v35, -v36
	v_rndne_f32_e32 v38, v36
	s_delay_alu instid0(VALU_DEP_1) | instskip(SKIP_1) | instid1(VALU_DEP_2)
	v_dual_fmac_f32 v37, 0x32a5705f, v35 :: v_dual_sub_f32 v36, v36, v38
	v_cvt_i32_f32_e32 v38, v38
	v_add_f32_e32 v36, v36, v37
	v_cmp_ngt_f32_e32 vcc_lo, 0xc2ce8ed0, v35
	s_delay_alu instid0(VALU_DEP_2) | instskip(SKIP_2) | instid1(VALU_DEP_1)
	v_exp_f32_e32 v36, v36
	s_waitcnt_depctr 0xfff
	v_ldexp_f32 v36, v36, v38
	v_dual_mul_f32 v39, 0x3fb8aa3b, v33 :: v_dual_cndmask_b32 v36, 0, v36
	s_delay_alu instid0(VALU_DEP_1) | instskip(SKIP_2) | instid1(VALU_DEP_2)
	v_fma_f32 v40, 0x3fb8aa3b, v33, -v39
	v_rndne_f32_e32 v41, v39
	v_cmp_nlt_f32_e32 vcc_lo, 0x42b17218, v35
	v_dual_sub_f32 v37, v39, v41 :: v_dual_cndmask_b32 v36, 0x7f800000, v36
	s_delay_alu instid0(VALU_DEP_4) | instskip(SKIP_2) | instid1(VALU_DEP_3)
	v_fmac_f32_e32 v40, 0x32a5705f, v33
	v_cvt_i32_f32_e32 v38, v41
	v_cmp_ngt_f32_e32 vcc_lo, 0xc2ce8ed0, v33
	v_add_f32_e32 v37, v37, v40
	s_delay_alu instid0(VALU_DEP_1) | instskip(SKIP_2) | instid1(VALU_DEP_1)
	v_exp_f32_e32 v37, v37
	s_waitcnt_depctr 0xfff
	v_ldexp_f32 v37, v37, v38
	v_cndmask_b32_e32 v37, 0, v37, vcc_lo
	v_cmp_le_f32_e32 vcc_lo, 0xc1a00000, v35
	v_cndmask_b32_e32 v35, 0, v36, vcc_lo
	v_cmp_nlt_f32_e32 vcc_lo, 0x42b17218, v33
	s_delay_alu instid0(VALU_DEP_2) | instskip(SKIP_1) | instid1(VALU_DEP_2)
	v_cvt_f16_f32_e32 v36, v35
	v_cndmask_b32_e32 v33, 0x7f800000, v37, vcc_lo
	v_pk_mul_f16 v24, v36, v24 op_sel_hi:[0,1]
	s_delay_alu instid0(VALU_DEP_2)
	v_fmac_f32_e32 v33, v32, v35
	v_pk_mul_f16 v25, v36, v25 op_sel_hi:[0,1]
	v_pk_mul_f16 v26, v36, v26 op_sel_hi:[0,1]
	;; [unrolled: 1-line block ×4, first 2 shown]
	v_mov_b32_e32 v32, v33
	v_pk_mul_f16 v29, v36, v29 op_sel_hi:[0,1]
	v_pk_mul_f16 v30, v36, v30 op_sel_hi:[0,1]
	;; [unrolled: 1-line block ×27, first 2 shown]
.LBB25_183:                             ;   in Loop: Header=BB25_10 Depth=1
	s_or_b32 exec_lo, exec_lo, s3
	s_and_saveexec_b32 s3, s2
	s_cbranch_execz .LBB25_185
; %bb.184:                              ;   in Loop: Header=BB25_10 Depth=1
	scratch_load_b32 v33, off, off offset:268 ; 4-byte Folded Reload
	s_waitcnt vmcnt(0)
	v_add_nc_u32_e32 v33, 0, v33
	ds_store_2addr_b32 v33, v65, v32 offset0:64 offset1:65
.LBB25_185:                             ;   in Loop: Header=BB25_10 Depth=1
	s_or_b32 exec_lo, exec_lo, s3
	s_waitcnt lgkmcnt(0)
	s_barrier
	buffer_gl0_inv
	s_and_saveexec_b32 s3, s1
	s_delay_alu instid0(SALU_CYCLE_1)
	s_xor_b32 s3, exec_lo, s3
	s_cbranch_execz .LBB25_187
; %bb.186:                              ;   in Loop: Header=BB25_10 Depth=1
	s_barrier
	buffer_gl0_inv
                                        ; implicit-def: $vgpr64
.LBB25_187:                             ;   in Loop: Header=BB25_10 Depth=1
	s_and_not1_saveexec_b32 s3, s3
	s_cbranch_execz .LBB25_191
; %bb.188:                              ;   in Loop: Header=BB25_10 Depth=1
	scratch_load_b32 v32, off, off offset:272 ; 4-byte Folded Reload
	s_waitcnt vmcnt(0)
	v_add_nc_u32_e32 v36, 0, v32
	ds_load_b64 v[34:35], v36 offset:256
	s_waitcnt lgkmcnt(0)
	s_barrier
	buffer_gl0_inv
	v_max_f32_e32 v33, v34, v34
	ds_bpermute_b32 v32, v64, v34
	s_waitcnt lgkmcnt(0)
	v_max_f32_e32 v32, v32, v32
	s_delay_alu instid0(VALU_DEP_1) | instskip(NEXT) | instid1(VALU_DEP_1)
	v_max_f32_e32 v32, v33, v32
	v_sub_f32_e32 v33, v34, v32
	s_delay_alu instid0(VALU_DEP_1) | instskip(SKIP_1) | instid1(VALU_DEP_2)
	v_mul_f32_e32 v34, 0x3fb8aa3b, v33
	v_cmp_ngt_f32_e32 vcc_lo, 0xc2ce8ed0, v33
	v_fma_f32 v37, 0x3fb8aa3b, v33, -v34
	v_rndne_f32_e32 v38, v34
	s_delay_alu instid0(VALU_DEP_1) | instskip(NEXT) | instid1(VALU_DEP_1)
	v_dual_fmac_f32 v37, 0x32a5705f, v33 :: v_dual_sub_f32 v34, v34, v38
	v_add_f32_e32 v34, v34, v37
	v_cvt_i32_f32_e32 v37, v38
	s_delay_alu instid0(VALU_DEP_2) | instskip(SKIP_2) | instid1(VALU_DEP_1)
	v_exp_f32_e32 v34, v34
	s_waitcnt_depctr 0xfff
	v_ldexp_f32 v34, v34, v37
	v_cndmask_b32_e32 v34, 0, v34, vcc_lo
	v_cmp_nlt_f32_e32 vcc_lo, 0x42b17218, v33
	s_delay_alu instid0(VALU_DEP_2) | instskip(NEXT) | instid1(VALU_DEP_1)
	v_cndmask_b32_e32 v33, 0x7f800000, v34, vcc_lo
	v_mul_f32_e32 v34, v35, v33
	ds_bpermute_b32 v34, v64, v34
	s_waitcnt lgkmcnt(0)
	v_fmac_f32_e32 v34, v35, v33
	ds_store_b64 v36, v[33:34] offset:256
	s_and_saveexec_b32 s4, s2
	s_cbranch_execz .LBB25_190
; %bb.189:                              ;   in Loop: Header=BB25_10 Depth=1
	v_mov_b32_e32 v33, v34
	scratch_load_b64 v[34:35], off, off offset:444 ; 8-byte Folded Reload
	s_waitcnt vmcnt(0)
	global_store_b64 v[34:35], v[32:33], off
.LBB25_190:                             ;   in Loop: Header=BB25_10 Depth=1
	s_or_b32 exec_lo, exec_lo, s4
.LBB25_191:                             ;   in Loop: Header=BB25_10 Depth=1
	s_delay_alu instid0(SALU_CYCLE_1)
	s_or_b32 exec_lo, exec_lo, s3
	scratch_load_b32 v32, off, off offset:200 ; 4-byte Folded Reload
	s_waitcnt vmcnt(0)
	ds_store_2addr_b32 v32, v24, v25 offset1:2
	ds_store_2addr_b32 v32, v26, v27 offset0:4 offset1:6
	ds_store_2addr_b32 v32, v28, v29 offset0:8 offset1:10
	ds_store_2addr_b32 v32, v30, v31 offset0:12 offset1:14
	ds_store_2addr_b32 v32, v16, v17 offset0:16 offset1:18
	ds_store_2addr_b32 v32, v18, v19 offset0:20 offset1:22
	ds_store_2addr_b32 v32, v20, v21 offset0:24 offset1:26
	ds_store_2addr_b32 v32, v22, v23 offset0:28 offset1:30
	ds_store_2addr_b32 v32, v8, v9 offset0:32 offset1:34
	ds_store_2addr_b32 v32, v10, v11 offset0:36 offset1:38
	ds_store_2addr_b32 v32, v12, v13 offset0:40 offset1:42
	ds_store_2addr_b32 v32, v14, v15 offset0:44 offset1:46
	ds_store_2addr_b32 v32, v0, v1 offset0:48 offset1:50
	ds_store_2addr_b32 v32, v2, v3 offset0:52 offset1:54
	ds_store_2addr_b32 v32, v4, v5 offset0:56 offset1:58
	ds_store_2addr_b32 v32, v6, v7 offset0:60 offset1:62
	s_waitcnt lgkmcnt(0)
	s_waitcnt_vscnt null, 0x0
	s_barrier
	buffer_gl0_inv
	s_and_saveexec_b32 s5, s0
	s_cbranch_execz .LBB25_269
; %bb.192:                              ;   in Loop: Header=BB25_10 Depth=1
	s_clause 0x1
	scratch_load_b32 v0, off, off offset:280
	scratch_load_b64 v[2:3], off, off offset:260
	s_waitcnt vmcnt(1)
	v_add_nc_u32_e32 v1, s78, v0
	s_waitcnt vmcnt(0)
	v_or_b32_e32 v0, s96, v2
	s_delay_alu instid0(VALU_DEP_1) | instskip(SKIP_2) | instid1(VALU_DEP_1)
	v_cmp_gt_i32_e32 vcc_lo, s76, v0
	v_mov_b32_e32 v0, 0x47
	v_cmp_gt_i32_e64 s3, s8, v1
	s_and_b32 s3, s3, vcc_lo
	s_delay_alu instid0(SALU_CYCLE_1)
	s_and_saveexec_b32 s4, s3
	s_cbranch_execz .LBB25_194
; %bb.193:                              ;   in Loop: Header=BB25_10 Depth=1
	s_clause 0x1
	scratch_load_b32 v0, off, off offset:292
	scratch_load_b32 v8, off, off offset:296
	s_waitcnt vmcnt(1)
	v_add_nc_u32_e32 v0, 0, v0
	s_waitcnt vmcnt(0)
	ds_load_2addr_b32 v[2:3], v8 offset1:32
	ds_load_2addr_stride64_b32 v[4:5], v0 offset0:1 offset1:18
	scratch_load_b64 v[9:10], off, off offset:260 ; 8-byte Folded Reload
	s_waitcnt lgkmcnt(0)
	v_fma_mix_f32 v11, v4, v3, 0 op_sel:[0,1,0] op_sel_hi:[0,1,0]
	s_waitcnt vmcnt(0)
	v_mad_u64_u32 v[6:7], null, v1, s9, v[9:10]
	scratch_load_b32 v1, off, off offset:300 ; 4-byte Folded Reload
	ds_load_b32 v7, v8 offset:4352
	v_fma_mix_f32 v9, v4, v2, 0 op_sel:[0,1,0] op_sel_hi:[0,1,0]
	v_fma_mix_f32 v10, v4, v3, 0 op_sel_hi:[0,1,0]
	v_lshl_add_u32 v0, v6, 6, v209
	v_fma_mix_f32 v6, v4, v2, 0 op_sel_hi:[0,1,0]
	s_waitcnt lgkmcnt(0)
	s_delay_alu instid0(VALU_DEP_1) | instskip(SKIP_4) | instid1(VALU_DEP_1)
	v_fma_mix_f32 v6, v5, v7, v6 op_sel_hi:[0,1,0]
	v_fma_mix_f32 v7, v5, v7, v9 op_sel:[0,1,0] op_sel_hi:[0,1,0]
	s_waitcnt vmcnt(0)
	ds_load_b32 v8, v1 offset:4352
	v_ashrrev_i32_e32 v1, 31, v0
	v_lshlrev_b64 v[0:1], 3, v[0:1]
	s_delay_alu instid0(VALU_DEP_1) | instskip(NEXT) | instid1(VALU_DEP_1)
	v_add_co_u32 v2, s3, s67, v0
	v_add_co_ci_u32_e64 v3, s3, s95, v1, s3
	v_mov_b32_e32 v0, 0
	s_waitcnt lgkmcnt(0)
	v_fma_mix_f32 v4, v5, v8, v10 op_sel_hi:[0,1,0]
	v_fma_mix_f32 v5, v5, v8, v11 op_sel:[0,1,0] op_sel_hi:[0,1,0]
	s_clause 0x1
	global_store_b64 v[2:3], v[6:7], off
	global_store_b64 v[2:3], v[4:5], off offset:256
.LBB25_194:                             ;   in Loop: Header=BB25_10 Depth=1
	s_or_b32 exec_lo, exec_lo, s4
	s_mov_b32 s4, -1
	s_mov_b32 s6, exec_lo
	v_cmpx_gt_i32_e32 0x47, v0
; %bb.195:                              ;   in Loop: Header=BB25_10 Depth=1
	v_cmp_eq_u32_e64 s3, 0, v0
	s_delay_alu instid0(VALU_DEP_1)
	s_or_not1_b32 s4, s3, exec_lo
; %bb.196:                              ;   in Loop: Header=BB25_10 Depth=1
	s_or_b32 exec_lo, exec_lo, s6
	s_delay_alu instid0(SALU_CYCLE_1)
	s_and_b32 exec_lo, exec_lo, s4
	s_cbranch_execz .LBB25_269
; %bb.197:                              ;   in Loop: Header=BB25_10 Depth=1
	s_clause 0x1
	scratch_load_b32 v0, off, off offset:304
	scratch_load_b64 v[2:3], off, off offset:284
	s_waitcnt vmcnt(1)
	v_add_nc_u32_e32 v1, s78, v0
	s_waitcnt vmcnt(0)
	v_or_b32_e32 v0, s96, v2
	s_delay_alu instid0(VALU_DEP_1) | instskip(SKIP_2) | instid1(VALU_DEP_1)
	v_cmp_gt_i32_e64 s4, s76, v0
	v_mov_b32_e32 v0, 0x47
	v_cmp_gt_i32_e64 s3, s8, v1
	s_and_b32 s3, s3, s4
	s_delay_alu instid0(SALU_CYCLE_1)
	s_and_saveexec_b32 s4, s3
	s_cbranch_execz .LBB25_199
; %bb.198:                              ;   in Loop: Header=BB25_10 Depth=1
	s_clause 0x1
	scratch_load_b32 v0, off, off offset:452
	scratch_load_b32 v8, off, off offset:456
	s_waitcnt vmcnt(1)
	v_add_nc_u32_e32 v0, 0, v0
	s_waitcnt vmcnt(0)
	ds_load_2addr_b32 v[2:3], v8 offset1:32
	ds_load_2addr_stride64_b32 v[4:5], v0 offset0:1 offset1:18
	scratch_load_b64 v[9:10], off, off offset:284 ; 8-byte Folded Reload
	s_waitcnt lgkmcnt(0)
	v_fma_mix_f32 v11, v4, v3, 0 op_sel:[0,1,0] op_sel_hi:[0,1,0]
	s_waitcnt vmcnt(0)
	v_mad_u64_u32 v[6:7], null, v1, s9, v[9:10]
	scratch_load_b32 v1, off, off offset:460 ; 4-byte Folded Reload
	ds_load_b32 v7, v8 offset:4352
	v_fma_mix_f32 v9, v4, v2, 0 op_sel:[0,1,0] op_sel_hi:[0,1,0]
	v_fma_mix_f32 v10, v4, v3, 0 op_sel_hi:[0,1,0]
	v_lshl_add_u32 v0, v6, 6, v209
	v_fma_mix_f32 v6, v4, v2, 0 op_sel_hi:[0,1,0]
	s_waitcnt lgkmcnt(0)
	s_delay_alu instid0(VALU_DEP_1) | instskip(SKIP_4) | instid1(VALU_DEP_1)
	v_fma_mix_f32 v6, v5, v7, v6 op_sel_hi:[0,1,0]
	v_fma_mix_f32 v7, v5, v7, v9 op_sel:[0,1,0] op_sel_hi:[0,1,0]
	s_waitcnt vmcnt(0)
	ds_load_b32 v8, v1 offset:4352
	v_ashrrev_i32_e32 v1, 31, v0
	v_lshlrev_b64 v[0:1], 3, v[0:1]
	s_delay_alu instid0(VALU_DEP_1) | instskip(NEXT) | instid1(VALU_DEP_1)
	v_add_co_u32 v2, s3, s67, v0
	v_add_co_ci_u32_e64 v3, s3, s95, v1, s3
	v_mov_b32_e32 v0, 0
	s_waitcnt lgkmcnt(0)
	v_fma_mix_f32 v4, v5, v8, v10 op_sel_hi:[0,1,0]
	v_fma_mix_f32 v5, v5, v8, v11 op_sel:[0,1,0] op_sel_hi:[0,1,0]
	s_clause 0x1
	global_store_b64 v[2:3], v[6:7], off
	global_store_b64 v[2:3], v[4:5], off offset:256
.LBB25_199:                             ;   in Loop: Header=BB25_10 Depth=1
	s_or_b32 exec_lo, exec_lo, s4
	s_mov_b32 s4, -1
	s_mov_b32 s6, exec_lo
	v_cmpx_gt_i32_e32 0x47, v0
; %bb.200:                              ;   in Loop: Header=BB25_10 Depth=1
	v_cmp_eq_u32_e64 s3, 0, v0
	s_delay_alu instid0(VALU_DEP_1)
	s_or_not1_b32 s4, s3, exec_lo
; %bb.201:                              ;   in Loop: Header=BB25_10 Depth=1
	s_or_b32 exec_lo, exec_lo, s6
	s_delay_alu instid0(SALU_CYCLE_1)
	s_and_b32 exec_lo, exec_lo, s4
	s_cbranch_execz .LBB25_269
; %bb.202:                              ;   in Loop: Header=BB25_10 Depth=1
	scratch_load_b32 v0, off, off offset:464 ; 4-byte Folded Reload
	s_waitcnt vmcnt(0)
	v_dual_mov_b32 v0, 0x47 :: v_dual_add_nc_u32 v1, s78, v0
	s_delay_alu instid0(VALU_DEP_1) | instskip(NEXT) | instid1(VALU_DEP_1)
	v_cmp_gt_i32_e64 s3, s8, v1
	s_and_b32 s3, s3, vcc_lo
	s_delay_alu instid0(SALU_CYCLE_1)
	s_and_saveexec_b32 s4, s3
	s_cbranch_execz .LBB25_204
; %bb.203:                              ;   in Loop: Header=BB25_10 Depth=1
	s_clause 0x1
	scratch_load_b32 v0, off, off offset:484
	scratch_load_b32 v8, off, off offset:488
	s_waitcnt vmcnt(1)
	v_add_nc_u32_e32 v0, 0, v0
	s_waitcnt vmcnt(0)
	ds_load_2addr_b32 v[2:3], v8 offset1:32
	ds_load_2addr_stride64_b32 v[4:5], v0 offset0:1 offset1:18
	scratch_load_b64 v[9:10], off, off offset:260 ; 8-byte Folded Reload
	s_waitcnt lgkmcnt(0)
	v_fma_mix_f32 v11, v4, v3, 0 op_sel:[0,1,0] op_sel_hi:[0,1,0]
	s_waitcnt vmcnt(0)
	v_mad_u64_u32 v[6:7], null, v1, s9, v[9:10]
	scratch_load_b32 v1, off, off offset:492 ; 4-byte Folded Reload
	ds_load_b32 v7, v8 offset:4352
	v_fma_mix_f32 v9, v4, v2, 0 op_sel:[0,1,0] op_sel_hi:[0,1,0]
	v_fma_mix_f32 v10, v4, v3, 0 op_sel_hi:[0,1,0]
	v_lshl_add_u32 v0, v6, 6, v209
	v_fma_mix_f32 v6, v4, v2, 0 op_sel_hi:[0,1,0]
	s_waitcnt lgkmcnt(0)
	s_delay_alu instid0(VALU_DEP_1) | instskip(SKIP_4) | instid1(VALU_DEP_1)
	v_fma_mix_f32 v6, v5, v7, v6 op_sel_hi:[0,1,0]
	v_fma_mix_f32 v7, v5, v7, v9 op_sel:[0,1,0] op_sel_hi:[0,1,0]
	s_waitcnt vmcnt(0)
	ds_load_b32 v8, v1 offset:4352
	v_ashrrev_i32_e32 v1, 31, v0
	v_lshlrev_b64 v[0:1], 3, v[0:1]
	s_delay_alu instid0(VALU_DEP_1) | instskip(NEXT) | instid1(VALU_DEP_1)
	v_add_co_u32 v2, s3, s67, v0
	v_add_co_ci_u32_e64 v3, s3, s95, v1, s3
	v_mov_b32_e32 v0, 0
	s_waitcnt lgkmcnt(0)
	v_fma_mix_f32 v4, v5, v8, v10 op_sel_hi:[0,1,0]
	v_fma_mix_f32 v5, v5, v8, v11 op_sel:[0,1,0] op_sel_hi:[0,1,0]
	s_clause 0x1
	global_store_b64 v[2:3], v[6:7], off
	global_store_b64 v[2:3], v[4:5], off offset:256
.LBB25_204:                             ;   in Loop: Header=BB25_10 Depth=1
	s_or_b32 exec_lo, exec_lo, s4
	s_mov_b32 s4, -1
	s_mov_b32 s6, exec_lo
	v_cmpx_gt_i32_e32 0x47, v0
; %bb.205:                              ;   in Loop: Header=BB25_10 Depth=1
	v_cmp_eq_u32_e64 s3, 0, v0
	s_delay_alu instid0(VALU_DEP_1)
	s_or_not1_b32 s4, s3, exec_lo
; %bb.206:                              ;   in Loop: Header=BB25_10 Depth=1
	s_or_b32 exec_lo, exec_lo, s6
	s_delay_alu instid0(SALU_CYCLE_1)
	s_and_b32 exec_lo, exec_lo, s4
	s_cbranch_execz .LBB25_269
; %bb.207:                              ;   in Loop: Header=BB25_10 Depth=1
	s_clause 0x1
	scratch_load_b32 v0, off, off offset:496
	scratch_load_b64 v[2:3], off, off offset:468
	s_waitcnt vmcnt(1)
	v_add_nc_u32_e32 v1, s78, v0
	s_waitcnt vmcnt(0)
	v_or_b32_e32 v0, s96, v2
	s_delay_alu instid0(VALU_DEP_1) | instskip(SKIP_2) | instid1(VALU_DEP_1)
	v_cmp_gt_i32_e64 s4, s76, v0
	v_mov_b32_e32 v0, 0x47
	v_cmp_gt_i32_e64 s3, s8, v1
	s_and_b32 s3, s3, s4
	s_delay_alu instid0(SALU_CYCLE_1)
	s_and_saveexec_b32 s4, s3
	s_cbranch_execz .LBB25_209
; %bb.208:                              ;   in Loop: Header=BB25_10 Depth=1
	s_clause 0x1
	scratch_load_b32 v0, off, off offset:500
	scratch_load_b32 v8, off, off offset:504
	s_waitcnt vmcnt(1)
	v_add_nc_u32_e32 v0, 0, v0
	s_waitcnt vmcnt(0)
	ds_load_2addr_b32 v[2:3], v8 offset1:32
	ds_load_2addr_stride64_b32 v[4:5], v0 offset0:1 offset1:18
	scratch_load_b64 v[9:10], off, off offset:468 ; 8-byte Folded Reload
	s_waitcnt lgkmcnt(0)
	v_fma_mix_f32 v11, v4, v3, 0 op_sel:[0,1,0] op_sel_hi:[0,1,0]
	s_waitcnt vmcnt(0)
	v_mad_u64_u32 v[6:7], null, v1, s9, v[9:10]
	scratch_load_b32 v1, off, off offset:508 ; 4-byte Folded Reload
	ds_load_b32 v7, v8 offset:4352
	v_fma_mix_f32 v9, v4, v2, 0 op_sel:[0,1,0] op_sel_hi:[0,1,0]
	v_fma_mix_f32 v10, v4, v3, 0 op_sel_hi:[0,1,0]
	v_lshl_add_u32 v0, v6, 6, v209
	v_fma_mix_f32 v6, v4, v2, 0 op_sel_hi:[0,1,0]
	s_waitcnt lgkmcnt(0)
	s_delay_alu instid0(VALU_DEP_1) | instskip(SKIP_4) | instid1(VALU_DEP_1)
	v_fma_mix_f32 v6, v5, v7, v6 op_sel_hi:[0,1,0]
	v_fma_mix_f32 v7, v5, v7, v9 op_sel:[0,1,0] op_sel_hi:[0,1,0]
	s_waitcnt vmcnt(0)
	ds_load_b32 v8, v1 offset:4352
	v_ashrrev_i32_e32 v1, 31, v0
	v_lshlrev_b64 v[0:1], 3, v[0:1]
	s_delay_alu instid0(VALU_DEP_1) | instskip(NEXT) | instid1(VALU_DEP_1)
	v_add_co_u32 v2, s3, s67, v0
	v_add_co_ci_u32_e64 v3, s3, s95, v1, s3
	v_mov_b32_e32 v0, 0
	s_waitcnt lgkmcnt(0)
	v_fma_mix_f32 v4, v5, v8, v10 op_sel_hi:[0,1,0]
	v_fma_mix_f32 v5, v5, v8, v11 op_sel:[0,1,0] op_sel_hi:[0,1,0]
	s_clause 0x1
	global_store_b64 v[2:3], v[6:7], off
	global_store_b64 v[2:3], v[4:5], off offset:256
.LBB25_209:                             ;   in Loop: Header=BB25_10 Depth=1
	s_or_b32 exec_lo, exec_lo, s4
	s_mov_b32 s4, -1
	s_mov_b32 s6, exec_lo
	v_cmpx_gt_i32_e32 0x47, v0
; %bb.210:                              ;   in Loop: Header=BB25_10 Depth=1
	v_cmp_eq_u32_e64 s3, 0, v0
	s_delay_alu instid0(VALU_DEP_1)
	s_or_not1_b32 s4, s3, exec_lo
; %bb.211:                              ;   in Loop: Header=BB25_10 Depth=1
	s_or_b32 exec_lo, exec_lo, s6
	s_delay_alu instid0(SALU_CYCLE_1)
	s_and_b32 exec_lo, exec_lo, s4
	s_cbranch_execz .LBB25_269
; %bb.212:                              ;   in Loop: Header=BB25_10 Depth=1
	scratch_load_b32 v0, off, off offset:512 ; 4-byte Folded Reload
	s_waitcnt vmcnt(0)
	v_dual_mov_b32 v0, 0x47 :: v_dual_add_nc_u32 v1, s78, v0
	s_delay_alu instid0(VALU_DEP_1) | instskip(NEXT) | instid1(VALU_DEP_1)
	v_cmp_gt_i32_e64 s3, s8, v1
	s_and_b32 s3, s3, vcc_lo
	s_delay_alu instid0(SALU_CYCLE_1)
	s_and_saveexec_b32 s4, s3
	s_cbranch_execz .LBB25_214
; %bb.213:                              ;   in Loop: Header=BB25_10 Depth=1
	s_clause 0x1
	scratch_load_b32 v0, off, off offset:548
	scratch_load_b32 v8, off, off offset:552
	s_waitcnt vmcnt(1)
	v_add_nc_u32_e32 v0, 0, v0
	s_waitcnt vmcnt(0)
	ds_load_2addr_b32 v[2:3], v8 offset1:32
	ds_load_2addr_stride64_b32 v[4:5], v0 offset0:1 offset1:18
	scratch_load_b64 v[9:10], off, off offset:260 ; 8-byte Folded Reload
	s_waitcnt lgkmcnt(0)
	v_fma_mix_f32 v11, v4, v3, 0 op_sel:[0,1,0] op_sel_hi:[0,1,0]
	s_waitcnt vmcnt(0)
	v_mad_u64_u32 v[6:7], null, v1, s9, v[9:10]
	scratch_load_b32 v1, off, off offset:556 ; 4-byte Folded Reload
	ds_load_b32 v7, v8 offset:4352
	v_fma_mix_f32 v9, v4, v2, 0 op_sel:[0,1,0] op_sel_hi:[0,1,0]
	v_fma_mix_f32 v10, v4, v3, 0 op_sel_hi:[0,1,0]
	v_lshl_add_u32 v0, v6, 6, v209
	v_fma_mix_f32 v6, v4, v2, 0 op_sel_hi:[0,1,0]
	s_waitcnt lgkmcnt(0)
	s_delay_alu instid0(VALU_DEP_1) | instskip(SKIP_4) | instid1(VALU_DEP_1)
	v_fma_mix_f32 v6, v5, v7, v6 op_sel_hi:[0,1,0]
	v_fma_mix_f32 v7, v5, v7, v9 op_sel:[0,1,0] op_sel_hi:[0,1,0]
	s_waitcnt vmcnt(0)
	ds_load_b32 v8, v1 offset:4352
	v_ashrrev_i32_e32 v1, 31, v0
	v_lshlrev_b64 v[0:1], 3, v[0:1]
	s_delay_alu instid0(VALU_DEP_1) | instskip(NEXT) | instid1(VALU_DEP_1)
	v_add_co_u32 v2, s3, s67, v0
	v_add_co_ci_u32_e64 v3, s3, s95, v1, s3
	v_mov_b32_e32 v0, 0
	s_waitcnt lgkmcnt(0)
	v_fma_mix_f32 v4, v5, v8, v10 op_sel_hi:[0,1,0]
	v_fma_mix_f32 v5, v5, v8, v11 op_sel:[0,1,0] op_sel_hi:[0,1,0]
	s_clause 0x1
	global_store_b64 v[2:3], v[6:7], off
	global_store_b64 v[2:3], v[4:5], off offset:256
.LBB25_214:                             ;   in Loop: Header=BB25_10 Depth=1
	s_or_b32 exec_lo, exec_lo, s4
	s_mov_b32 s4, -1
	s_mov_b32 s6, exec_lo
	v_cmpx_gt_i32_e32 0x47, v0
; %bb.215:                              ;   in Loop: Header=BB25_10 Depth=1
	v_cmp_eq_u32_e64 s3, 0, v0
	s_delay_alu instid0(VALU_DEP_1)
	s_or_not1_b32 s4, s3, exec_lo
; %bb.216:                              ;   in Loop: Header=BB25_10 Depth=1
	s_or_b32 exec_lo, exec_lo, s6
	s_delay_alu instid0(SALU_CYCLE_1)
	s_and_b32 exec_lo, exec_lo, s4
	s_cbranch_execz .LBB25_269
; %bb.217:                              ;   in Loop: Header=BB25_10 Depth=1
	s_clause 0x1
	scratch_load_b32 v0, off, off offset:560
	scratch_load_b64 v[2:3], off, off offset:540
	s_waitcnt vmcnt(1)
	v_add_nc_u32_e32 v1, s78, v0
	s_waitcnt vmcnt(0)
	v_or_b32_e32 v0, s96, v2
	s_delay_alu instid0(VALU_DEP_1) | instskip(SKIP_2) | instid1(VALU_DEP_1)
	v_cmp_gt_i32_e64 s4, s76, v0
	v_mov_b32_e32 v0, 0x47
	v_cmp_gt_i32_e64 s3, s8, v1
	s_and_b32 s3, s3, s4
	s_delay_alu instid0(SALU_CYCLE_1)
	s_and_saveexec_b32 s4, s3
	s_cbranch_execz .LBB25_219
; %bb.218:                              ;   in Loop: Header=BB25_10 Depth=1
	s_clause 0x1
	scratch_load_b32 v0, off, off offset:564
	scratch_load_b32 v8, off, off offset:568
	s_waitcnt vmcnt(1)
	v_add_nc_u32_e32 v0, 0, v0
	s_waitcnt vmcnt(0)
	ds_load_2addr_b32 v[2:3], v8 offset1:32
	ds_load_2addr_stride64_b32 v[4:5], v0 offset0:1 offset1:18
	scratch_load_b64 v[9:10], off, off offset:540 ; 8-byte Folded Reload
	s_waitcnt lgkmcnt(0)
	v_fma_mix_f32 v11, v4, v3, 0 op_sel:[0,1,0] op_sel_hi:[0,1,0]
	s_waitcnt vmcnt(0)
	v_mad_u64_u32 v[6:7], null, v1, s9, v[9:10]
	scratch_load_b32 v1, off, off offset:572 ; 4-byte Folded Reload
	ds_load_b32 v7, v8 offset:4352
	v_fma_mix_f32 v9, v4, v2, 0 op_sel:[0,1,0] op_sel_hi:[0,1,0]
	v_fma_mix_f32 v10, v4, v3, 0 op_sel_hi:[0,1,0]
	v_lshl_add_u32 v0, v6, 6, v209
	v_fma_mix_f32 v6, v4, v2, 0 op_sel_hi:[0,1,0]
	s_waitcnt lgkmcnt(0)
	s_delay_alu instid0(VALU_DEP_1) | instskip(SKIP_4) | instid1(VALU_DEP_1)
	v_fma_mix_f32 v6, v5, v7, v6 op_sel_hi:[0,1,0]
	v_fma_mix_f32 v7, v5, v7, v9 op_sel:[0,1,0] op_sel_hi:[0,1,0]
	s_waitcnt vmcnt(0)
	ds_load_b32 v8, v1 offset:4352
	v_ashrrev_i32_e32 v1, 31, v0
	v_lshlrev_b64 v[0:1], 3, v[0:1]
	s_delay_alu instid0(VALU_DEP_1) | instskip(NEXT) | instid1(VALU_DEP_1)
	v_add_co_u32 v2, s3, s67, v0
	v_add_co_ci_u32_e64 v3, s3, s95, v1, s3
	v_mov_b32_e32 v0, 0
	s_waitcnt lgkmcnt(0)
	v_fma_mix_f32 v4, v5, v8, v10 op_sel_hi:[0,1,0]
	v_fma_mix_f32 v5, v5, v8, v11 op_sel:[0,1,0] op_sel_hi:[0,1,0]
	s_clause 0x1
	global_store_b64 v[2:3], v[6:7], off
	global_store_b64 v[2:3], v[4:5], off offset:256
.LBB25_219:                             ;   in Loop: Header=BB25_10 Depth=1
	s_or_b32 exec_lo, exec_lo, s4
	s_mov_b32 s4, -1
	s_mov_b32 s6, exec_lo
	v_cmpx_gt_i32_e32 0x47, v0
; %bb.220:                              ;   in Loop: Header=BB25_10 Depth=1
	v_cmp_eq_u32_e64 s3, 0, v0
	s_delay_alu instid0(VALU_DEP_1)
	s_or_not1_b32 s4, s3, exec_lo
; %bb.221:                              ;   in Loop: Header=BB25_10 Depth=1
	s_or_b32 exec_lo, exec_lo, s6
	s_delay_alu instid0(SALU_CYCLE_1)
	s_and_b32 exec_lo, exec_lo, s4
	s_cbranch_execz .LBB25_269
; %bb.222:                              ;   in Loop: Header=BB25_10 Depth=1
	scratch_load_b32 v0, off, off offset:576 ; 4-byte Folded Reload
	s_waitcnt vmcnt(0)
	v_dual_mov_b32 v0, 0x47 :: v_dual_add_nc_u32 v1, s78, v0
	s_delay_alu instid0(VALU_DEP_1) | instskip(NEXT) | instid1(VALU_DEP_1)
	v_cmp_gt_i32_e64 s3, s8, v1
	s_and_b32 s3, s3, vcc_lo
	s_delay_alu instid0(SALU_CYCLE_1)
	s_and_saveexec_b32 s4, s3
	s_cbranch_execz .LBB25_224
; %bb.223:                              ;   in Loop: Header=BB25_10 Depth=1
	s_clause 0x1
	scratch_load_b32 v0, off, off offset:588
	scratch_load_b32 v8, off, off offset:592
	s_waitcnt vmcnt(1)
	v_add_nc_u32_e32 v0, 0, v0
	s_waitcnt vmcnt(0)
	ds_load_2addr_b32 v[2:3], v8 offset1:32
	ds_load_2addr_stride64_b32 v[4:5], v0 offset0:1 offset1:18
	scratch_load_b64 v[9:10], off, off offset:260 ; 8-byte Folded Reload
	s_waitcnt lgkmcnt(0)
	v_fma_mix_f32 v11, v4, v3, 0 op_sel:[0,1,0] op_sel_hi:[0,1,0]
	s_waitcnt vmcnt(0)
	v_mad_u64_u32 v[6:7], null, v1, s9, v[9:10]
	scratch_load_b32 v1, off, off offset:596 ; 4-byte Folded Reload
	ds_load_b32 v7, v8 offset:4352
	v_fma_mix_f32 v9, v4, v2, 0 op_sel:[0,1,0] op_sel_hi:[0,1,0]
	v_fma_mix_f32 v10, v4, v3, 0 op_sel_hi:[0,1,0]
	v_lshl_add_u32 v0, v6, 6, v209
	v_fma_mix_f32 v6, v4, v2, 0 op_sel_hi:[0,1,0]
	s_waitcnt lgkmcnt(0)
	s_delay_alu instid0(VALU_DEP_1) | instskip(SKIP_4) | instid1(VALU_DEP_1)
	v_fma_mix_f32 v6, v5, v7, v6 op_sel_hi:[0,1,0]
	v_fma_mix_f32 v7, v5, v7, v9 op_sel:[0,1,0] op_sel_hi:[0,1,0]
	s_waitcnt vmcnt(0)
	ds_load_b32 v8, v1 offset:4352
	v_ashrrev_i32_e32 v1, 31, v0
	v_lshlrev_b64 v[0:1], 3, v[0:1]
	s_delay_alu instid0(VALU_DEP_1) | instskip(NEXT) | instid1(VALU_DEP_1)
	v_add_co_u32 v2, s3, s67, v0
	v_add_co_ci_u32_e64 v3, s3, s95, v1, s3
	v_mov_b32_e32 v0, 0
	s_waitcnt lgkmcnt(0)
	v_fma_mix_f32 v4, v5, v8, v10 op_sel_hi:[0,1,0]
	v_fma_mix_f32 v5, v5, v8, v11 op_sel:[0,1,0] op_sel_hi:[0,1,0]
	s_clause 0x1
	global_store_b64 v[2:3], v[6:7], off
	global_store_b64 v[2:3], v[4:5], off offset:256
.LBB25_224:                             ;   in Loop: Header=BB25_10 Depth=1
	s_or_b32 exec_lo, exec_lo, s4
	s_mov_b32 s4, -1
	s_mov_b32 s6, exec_lo
	v_cmpx_gt_i32_e32 0x47, v0
; %bb.225:                              ;   in Loop: Header=BB25_10 Depth=1
	v_cmp_eq_u32_e64 s3, 0, v0
	s_delay_alu instid0(VALU_DEP_1)
	s_or_not1_b32 s4, s3, exec_lo
; %bb.226:                              ;   in Loop: Header=BB25_10 Depth=1
	s_or_b32 exec_lo, exec_lo, s6
	s_delay_alu instid0(SALU_CYCLE_1)
	s_and_b32 exec_lo, exec_lo, s4
	s_cbranch_execz .LBB25_269
; %bb.227:                              ;   in Loop: Header=BB25_10 Depth=1
	s_clause 0x1
	scratch_load_b32 v0, off, off offset:600
	scratch_load_b64 v[2:3], off, off offset:580
	s_waitcnt vmcnt(1)
	v_add_nc_u32_e32 v1, s78, v0
	s_waitcnt vmcnt(0)
	v_or_b32_e32 v0, s96, v2
	s_delay_alu instid0(VALU_DEP_1) | instskip(SKIP_2) | instid1(VALU_DEP_1)
	v_cmp_gt_i32_e64 s4, s76, v0
	v_mov_b32_e32 v0, 0x47
	v_cmp_gt_i32_e64 s3, s8, v1
	s_and_b32 s3, s3, s4
	s_delay_alu instid0(SALU_CYCLE_1)
	s_and_saveexec_b32 s4, s3
	s_cbranch_execz .LBB25_229
; %bb.228:                              ;   in Loop: Header=BB25_10 Depth=1
	s_clause 0x1
	scratch_load_b32 v0, off, off offset:604
	scratch_load_b32 v8, off, off offset:608
	s_waitcnt vmcnt(1)
	v_add_nc_u32_e32 v0, 0, v0
	s_waitcnt vmcnt(0)
	ds_load_2addr_b32 v[2:3], v8 offset1:32
	ds_load_2addr_stride64_b32 v[4:5], v0 offset0:1 offset1:18
	scratch_load_b64 v[9:10], off, off offset:580 ; 8-byte Folded Reload
	s_waitcnt lgkmcnt(0)
	v_fma_mix_f32 v11, v4, v3, 0 op_sel:[0,1,0] op_sel_hi:[0,1,0]
	s_waitcnt vmcnt(0)
	v_mad_u64_u32 v[6:7], null, v1, s9, v[9:10]
	scratch_load_b32 v1, off, off offset:612 ; 4-byte Folded Reload
	ds_load_b32 v7, v8 offset:4352
	v_fma_mix_f32 v9, v4, v2, 0 op_sel:[0,1,0] op_sel_hi:[0,1,0]
	v_fma_mix_f32 v10, v4, v3, 0 op_sel_hi:[0,1,0]
	v_lshl_add_u32 v0, v6, 6, v209
	v_fma_mix_f32 v6, v4, v2, 0 op_sel_hi:[0,1,0]
	s_waitcnt lgkmcnt(0)
	s_delay_alu instid0(VALU_DEP_1) | instskip(SKIP_4) | instid1(VALU_DEP_1)
	v_fma_mix_f32 v6, v5, v7, v6 op_sel_hi:[0,1,0]
	v_fma_mix_f32 v7, v5, v7, v9 op_sel:[0,1,0] op_sel_hi:[0,1,0]
	s_waitcnt vmcnt(0)
	ds_load_b32 v8, v1 offset:4352
	v_ashrrev_i32_e32 v1, 31, v0
	v_lshlrev_b64 v[0:1], 3, v[0:1]
	s_delay_alu instid0(VALU_DEP_1) | instskip(NEXT) | instid1(VALU_DEP_1)
	v_add_co_u32 v2, s3, s67, v0
	v_add_co_ci_u32_e64 v3, s3, s95, v1, s3
	v_mov_b32_e32 v0, 0
	s_waitcnt lgkmcnt(0)
	v_fma_mix_f32 v4, v5, v8, v10 op_sel_hi:[0,1,0]
	v_fma_mix_f32 v5, v5, v8, v11 op_sel:[0,1,0] op_sel_hi:[0,1,0]
	s_clause 0x1
	global_store_b64 v[2:3], v[6:7], off
	global_store_b64 v[2:3], v[4:5], off offset:256
.LBB25_229:                             ;   in Loop: Header=BB25_10 Depth=1
	s_or_b32 exec_lo, exec_lo, s4
	s_mov_b32 s4, -1
	s_mov_b32 s6, exec_lo
	v_cmpx_gt_i32_e32 0x47, v0
; %bb.230:                              ;   in Loop: Header=BB25_10 Depth=1
	v_cmp_eq_u32_e64 s3, 0, v0
	s_delay_alu instid0(VALU_DEP_1)
	s_or_not1_b32 s4, s3, exec_lo
; %bb.231:                              ;   in Loop: Header=BB25_10 Depth=1
	s_or_b32 exec_lo, exec_lo, s6
	s_delay_alu instid0(SALU_CYCLE_1)
	s_and_b32 exec_lo, exec_lo, s4
	s_cbranch_execz .LBB25_269
; %bb.232:                              ;   in Loop: Header=BB25_10 Depth=1
	scratch_load_b32 v0, off, off offset:616 ; 4-byte Folded Reload
	s_waitcnt vmcnt(0)
	v_dual_mov_b32 v0, 0x47 :: v_dual_add_nc_u32 v1, s78, v0
	s_delay_alu instid0(VALU_DEP_1) | instskip(NEXT) | instid1(VALU_DEP_1)
	v_cmp_gt_i32_e64 s3, s8, v1
	s_and_b32 s3, s3, vcc_lo
	s_delay_alu instid0(SALU_CYCLE_1)
	s_and_saveexec_b32 s4, s3
	s_cbranch_execz .LBB25_234
; %bb.233:                              ;   in Loop: Header=BB25_10 Depth=1
	s_clause 0x1
	scratch_load_b32 v0, off, off offset:628
	scratch_load_b32 v8, off, off offset:632
	s_waitcnt vmcnt(1)
	v_add_nc_u32_e32 v0, 0, v0
	s_waitcnt vmcnt(0)
	ds_load_2addr_b32 v[2:3], v8 offset1:32
	ds_load_2addr_stride64_b32 v[4:5], v0 offset0:1 offset1:18
	scratch_load_b64 v[9:10], off, off offset:260 ; 8-byte Folded Reload
	s_waitcnt lgkmcnt(0)
	v_fma_mix_f32 v11, v4, v3, 0 op_sel:[0,1,0] op_sel_hi:[0,1,0]
	s_waitcnt vmcnt(0)
	v_mad_u64_u32 v[6:7], null, v1, s9, v[9:10]
	scratch_load_b32 v1, off, off offset:636 ; 4-byte Folded Reload
	ds_load_b32 v7, v8 offset:4352
	v_fma_mix_f32 v9, v4, v2, 0 op_sel:[0,1,0] op_sel_hi:[0,1,0]
	v_fma_mix_f32 v10, v4, v3, 0 op_sel_hi:[0,1,0]
	v_lshl_add_u32 v0, v6, 6, v209
	v_fma_mix_f32 v6, v4, v2, 0 op_sel_hi:[0,1,0]
	s_waitcnt lgkmcnt(0)
	s_delay_alu instid0(VALU_DEP_1) | instskip(SKIP_4) | instid1(VALU_DEP_1)
	v_fma_mix_f32 v6, v5, v7, v6 op_sel_hi:[0,1,0]
	v_fma_mix_f32 v7, v5, v7, v9 op_sel:[0,1,0] op_sel_hi:[0,1,0]
	s_waitcnt vmcnt(0)
	ds_load_b32 v8, v1 offset:4352
	v_ashrrev_i32_e32 v1, 31, v0
	v_lshlrev_b64 v[0:1], 3, v[0:1]
	s_delay_alu instid0(VALU_DEP_1) | instskip(NEXT) | instid1(VALU_DEP_1)
	v_add_co_u32 v2, s3, s67, v0
	v_add_co_ci_u32_e64 v3, s3, s95, v1, s3
	v_mov_b32_e32 v0, 0
	s_waitcnt lgkmcnt(0)
	v_fma_mix_f32 v4, v5, v8, v10 op_sel_hi:[0,1,0]
	v_fma_mix_f32 v5, v5, v8, v11 op_sel:[0,1,0] op_sel_hi:[0,1,0]
	s_clause 0x1
	global_store_b64 v[2:3], v[6:7], off
	global_store_b64 v[2:3], v[4:5], off offset:256
.LBB25_234:                             ;   in Loop: Header=BB25_10 Depth=1
	s_or_b32 exec_lo, exec_lo, s4
	s_mov_b32 s4, -1
	s_mov_b32 s6, exec_lo
	v_cmpx_gt_i32_e32 0x47, v0
; %bb.235:                              ;   in Loop: Header=BB25_10 Depth=1
	v_cmp_eq_u32_e64 s3, 0, v0
	s_delay_alu instid0(VALU_DEP_1)
	s_or_not1_b32 s4, s3, exec_lo
; %bb.236:                              ;   in Loop: Header=BB25_10 Depth=1
	s_or_b32 exec_lo, exec_lo, s6
	s_delay_alu instid0(SALU_CYCLE_1)
	s_and_b32 exec_lo, exec_lo, s4
	s_cbranch_execz .LBB25_269
; %bb.237:                              ;   in Loop: Header=BB25_10 Depth=1
	s_clause 0x1
	scratch_load_b32 v0, off, off offset:640
	scratch_load_b64 v[2:3], off, off offset:620
	s_waitcnt vmcnt(1)
	v_add_nc_u32_e32 v1, s78, v0
	s_waitcnt vmcnt(0)
	v_or_b32_e32 v0, s96, v2
	s_delay_alu instid0(VALU_DEP_1) | instskip(SKIP_2) | instid1(VALU_DEP_1)
	v_cmp_gt_i32_e64 s4, s76, v0
	v_mov_b32_e32 v0, 0x47
	v_cmp_gt_i32_e64 s3, s8, v1
	s_and_b32 s3, s3, s4
	s_delay_alu instid0(SALU_CYCLE_1)
	s_and_saveexec_b32 s4, s3
	s_cbranch_execz .LBB25_239
; %bb.238:                              ;   in Loop: Header=BB25_10 Depth=1
	s_clause 0x1
	scratch_load_b32 v0, off, off offset:644
	scratch_load_b32 v8, off, off offset:648
	s_waitcnt vmcnt(1)
	v_add_nc_u32_e32 v0, 0, v0
	s_waitcnt vmcnt(0)
	ds_load_2addr_b32 v[2:3], v8 offset1:32
	ds_load_2addr_stride64_b32 v[4:5], v0 offset0:1 offset1:18
	scratch_load_b64 v[9:10], off, off offset:620 ; 8-byte Folded Reload
	s_waitcnt lgkmcnt(0)
	v_fma_mix_f32 v11, v4, v3, 0 op_sel:[0,1,0] op_sel_hi:[0,1,0]
	s_waitcnt vmcnt(0)
	v_mad_u64_u32 v[6:7], null, v1, s9, v[9:10]
	scratch_load_b32 v1, off, off offset:652 ; 4-byte Folded Reload
	ds_load_b32 v7, v8 offset:4352
	v_fma_mix_f32 v9, v4, v2, 0 op_sel:[0,1,0] op_sel_hi:[0,1,0]
	v_fma_mix_f32 v10, v4, v3, 0 op_sel_hi:[0,1,0]
	v_lshl_add_u32 v0, v6, 6, v209
	v_fma_mix_f32 v6, v4, v2, 0 op_sel_hi:[0,1,0]
	s_waitcnt lgkmcnt(0)
	s_delay_alu instid0(VALU_DEP_1) | instskip(SKIP_4) | instid1(VALU_DEP_1)
	v_fma_mix_f32 v6, v5, v7, v6 op_sel_hi:[0,1,0]
	v_fma_mix_f32 v7, v5, v7, v9 op_sel:[0,1,0] op_sel_hi:[0,1,0]
	s_waitcnt vmcnt(0)
	ds_load_b32 v8, v1 offset:4352
	v_ashrrev_i32_e32 v1, 31, v0
	v_lshlrev_b64 v[0:1], 3, v[0:1]
	s_delay_alu instid0(VALU_DEP_1) | instskip(NEXT) | instid1(VALU_DEP_1)
	v_add_co_u32 v2, s3, s67, v0
	v_add_co_ci_u32_e64 v3, s3, s95, v1, s3
	v_mov_b32_e32 v0, 0
	s_waitcnt lgkmcnt(0)
	v_fma_mix_f32 v4, v5, v8, v10 op_sel_hi:[0,1,0]
	v_fma_mix_f32 v5, v5, v8, v11 op_sel:[0,1,0] op_sel_hi:[0,1,0]
	s_clause 0x1
	global_store_b64 v[2:3], v[6:7], off
	global_store_b64 v[2:3], v[4:5], off offset:256
.LBB25_239:                             ;   in Loop: Header=BB25_10 Depth=1
	s_or_b32 exec_lo, exec_lo, s4
	s_mov_b32 s4, -1
	s_mov_b32 s6, exec_lo
	v_cmpx_gt_i32_e32 0x47, v0
; %bb.240:                              ;   in Loop: Header=BB25_10 Depth=1
	v_cmp_eq_u32_e64 s3, 0, v0
	s_delay_alu instid0(VALU_DEP_1)
	s_or_not1_b32 s4, s3, exec_lo
; %bb.241:                              ;   in Loop: Header=BB25_10 Depth=1
	s_or_b32 exec_lo, exec_lo, s6
	s_delay_alu instid0(SALU_CYCLE_1)
	s_and_b32 exec_lo, exec_lo, s4
	s_cbranch_execz .LBB25_269
; %bb.242:                              ;   in Loop: Header=BB25_10 Depth=1
	scratch_load_b32 v0, off, off offset:656 ; 4-byte Folded Reload
	s_waitcnt vmcnt(0)
	v_dual_mov_b32 v0, 0x47 :: v_dual_add_nc_u32 v1, s78, v0
	s_delay_alu instid0(VALU_DEP_1) | instskip(NEXT) | instid1(VALU_DEP_1)
	v_cmp_gt_i32_e64 s3, s8, v1
	s_and_b32 s3, s3, vcc_lo
	s_delay_alu instid0(SALU_CYCLE_1)
	s_and_saveexec_b32 s4, s3
	s_cbranch_execz .LBB25_244
; %bb.243:                              ;   in Loop: Header=BB25_10 Depth=1
	s_clause 0x1
	scratch_load_b32 v0, off, off offset:668
	scratch_load_b32 v8, off, off offset:672
	s_waitcnt vmcnt(1)
	v_add_nc_u32_e32 v0, 0, v0
	s_waitcnt vmcnt(0)
	ds_load_2addr_b32 v[2:3], v8 offset1:32
	ds_load_2addr_stride64_b32 v[4:5], v0 offset0:1 offset1:18
	scratch_load_b64 v[9:10], off, off offset:260 ; 8-byte Folded Reload
	s_waitcnt lgkmcnt(0)
	v_fma_mix_f32 v11, v4, v3, 0 op_sel:[0,1,0] op_sel_hi:[0,1,0]
	s_waitcnt vmcnt(0)
	v_mad_u64_u32 v[6:7], null, v1, s9, v[9:10]
	scratch_load_b32 v1, off, off offset:676 ; 4-byte Folded Reload
	ds_load_b32 v7, v8 offset:4352
	v_fma_mix_f32 v9, v4, v2, 0 op_sel:[0,1,0] op_sel_hi:[0,1,0]
	v_fma_mix_f32 v10, v4, v3, 0 op_sel_hi:[0,1,0]
	v_lshl_add_u32 v0, v6, 6, v209
	v_fma_mix_f32 v6, v4, v2, 0 op_sel_hi:[0,1,0]
	s_waitcnt lgkmcnt(0)
	s_delay_alu instid0(VALU_DEP_1) | instskip(SKIP_4) | instid1(VALU_DEP_1)
	v_fma_mix_f32 v6, v5, v7, v6 op_sel_hi:[0,1,0]
	v_fma_mix_f32 v7, v5, v7, v9 op_sel:[0,1,0] op_sel_hi:[0,1,0]
	s_waitcnt vmcnt(0)
	ds_load_b32 v8, v1 offset:4352
	v_ashrrev_i32_e32 v1, 31, v0
	v_lshlrev_b64 v[0:1], 3, v[0:1]
	s_delay_alu instid0(VALU_DEP_1) | instskip(NEXT) | instid1(VALU_DEP_1)
	v_add_co_u32 v2, s3, s67, v0
	v_add_co_ci_u32_e64 v3, s3, s95, v1, s3
	v_mov_b32_e32 v0, 0
	s_waitcnt lgkmcnt(0)
	v_fma_mix_f32 v4, v5, v8, v10 op_sel_hi:[0,1,0]
	v_fma_mix_f32 v5, v5, v8, v11 op_sel:[0,1,0] op_sel_hi:[0,1,0]
	s_clause 0x1
	global_store_b64 v[2:3], v[6:7], off
	global_store_b64 v[2:3], v[4:5], off offset:256
.LBB25_244:                             ;   in Loop: Header=BB25_10 Depth=1
	s_or_b32 exec_lo, exec_lo, s4
	s_mov_b32 s4, -1
	s_mov_b32 s6, exec_lo
	v_cmpx_gt_i32_e32 0x47, v0
; %bb.245:                              ;   in Loop: Header=BB25_10 Depth=1
	v_cmp_eq_u32_e64 s3, 0, v0
	s_delay_alu instid0(VALU_DEP_1)
	s_or_not1_b32 s4, s3, exec_lo
; %bb.246:                              ;   in Loop: Header=BB25_10 Depth=1
	s_or_b32 exec_lo, exec_lo, s6
	s_delay_alu instid0(SALU_CYCLE_1)
	s_and_b32 exec_lo, exec_lo, s4
	s_cbranch_execz .LBB25_269
; %bb.247:                              ;   in Loop: Header=BB25_10 Depth=1
	s_clause 0x1
	scratch_load_b32 v0, off, off offset:680
	scratch_load_b64 v[2:3], off, off offset:660
	s_waitcnt vmcnt(1)
	v_add_nc_u32_e32 v1, s78, v0
	s_waitcnt vmcnt(0)
	v_or_b32_e32 v0, s96, v2
	s_delay_alu instid0(VALU_DEP_1) | instskip(SKIP_2) | instid1(VALU_DEP_1)
	v_cmp_gt_i32_e64 s4, s76, v0
	v_mov_b32_e32 v0, 0x47
	v_cmp_gt_i32_e64 s3, s8, v1
	s_and_b32 s3, s3, s4
	s_delay_alu instid0(SALU_CYCLE_1)
	s_and_saveexec_b32 s4, s3
	s_cbranch_execz .LBB25_249
; %bb.248:                              ;   in Loop: Header=BB25_10 Depth=1
	s_clause 0x1
	scratch_load_b32 v0, off, off offset:684
	scratch_load_b32 v8, off, off offset:688
	s_waitcnt vmcnt(1)
	v_add_nc_u32_e32 v0, 0, v0
	s_waitcnt vmcnt(0)
	ds_load_2addr_b32 v[2:3], v8 offset1:32
	ds_load_2addr_stride64_b32 v[4:5], v0 offset0:1 offset1:18
	scratch_load_b64 v[9:10], off, off offset:660 ; 8-byte Folded Reload
	s_waitcnt lgkmcnt(0)
	v_fma_mix_f32 v11, v4, v3, 0 op_sel:[0,1,0] op_sel_hi:[0,1,0]
	s_waitcnt vmcnt(0)
	v_mad_u64_u32 v[6:7], null, v1, s9, v[9:10]
	scratch_load_b32 v1, off, off offset:692 ; 4-byte Folded Reload
	ds_load_b32 v7, v8 offset:4352
	v_fma_mix_f32 v9, v4, v2, 0 op_sel:[0,1,0] op_sel_hi:[0,1,0]
	v_fma_mix_f32 v10, v4, v3, 0 op_sel_hi:[0,1,0]
	v_lshl_add_u32 v0, v6, 6, v209
	v_fma_mix_f32 v6, v4, v2, 0 op_sel_hi:[0,1,0]
	s_waitcnt lgkmcnt(0)
	s_delay_alu instid0(VALU_DEP_1) | instskip(SKIP_4) | instid1(VALU_DEP_1)
	v_fma_mix_f32 v6, v5, v7, v6 op_sel_hi:[0,1,0]
	v_fma_mix_f32 v7, v5, v7, v9 op_sel:[0,1,0] op_sel_hi:[0,1,0]
	s_waitcnt vmcnt(0)
	ds_load_b32 v8, v1 offset:4352
	v_ashrrev_i32_e32 v1, 31, v0
	v_lshlrev_b64 v[0:1], 3, v[0:1]
	s_delay_alu instid0(VALU_DEP_1) | instskip(NEXT) | instid1(VALU_DEP_1)
	v_add_co_u32 v2, s3, s67, v0
	v_add_co_ci_u32_e64 v3, s3, s95, v1, s3
	v_mov_b32_e32 v0, 0
	s_waitcnt lgkmcnt(0)
	v_fma_mix_f32 v4, v5, v8, v10 op_sel_hi:[0,1,0]
	v_fma_mix_f32 v5, v5, v8, v11 op_sel:[0,1,0] op_sel_hi:[0,1,0]
	s_clause 0x1
	global_store_b64 v[2:3], v[6:7], off
	global_store_b64 v[2:3], v[4:5], off offset:256
.LBB25_249:                             ;   in Loop: Header=BB25_10 Depth=1
	s_or_b32 exec_lo, exec_lo, s4
	s_mov_b32 s4, -1
	s_mov_b32 s6, exec_lo
	v_cmpx_gt_i32_e32 0x47, v0
; %bb.250:                              ;   in Loop: Header=BB25_10 Depth=1
	v_cmp_eq_u32_e64 s3, 0, v0
	s_delay_alu instid0(VALU_DEP_1)
	s_or_not1_b32 s4, s3, exec_lo
; %bb.251:                              ;   in Loop: Header=BB25_10 Depth=1
	s_or_b32 exec_lo, exec_lo, s6
	s_delay_alu instid0(SALU_CYCLE_1)
	s_and_b32 exec_lo, exec_lo, s4
	s_cbranch_execz .LBB25_269
; %bb.252:                              ;   in Loop: Header=BB25_10 Depth=1
	scratch_load_b32 v0, off, off offset:696 ; 4-byte Folded Reload
	s_waitcnt vmcnt(0)
	v_dual_mov_b32 v0, 0x47 :: v_dual_add_nc_u32 v1, s78, v0
	s_delay_alu instid0(VALU_DEP_1) | instskip(NEXT) | instid1(VALU_DEP_1)
	v_cmp_gt_i32_e64 s3, s8, v1
	s_and_b32 s3, s3, vcc_lo
	s_delay_alu instid0(SALU_CYCLE_1)
	s_and_saveexec_b32 s4, s3
	s_cbranch_execz .LBB25_254
; %bb.253:                              ;   in Loop: Header=BB25_10 Depth=1
	s_clause 0x1
	scratch_load_b32 v0, off, off offset:708
	scratch_load_b32 v8, off, off offset:712
	s_waitcnt vmcnt(1)
	v_add_nc_u32_e32 v0, 0, v0
	s_waitcnt vmcnt(0)
	ds_load_2addr_b32 v[2:3], v8 offset1:32
	ds_load_2addr_stride64_b32 v[4:5], v0 offset0:1 offset1:18
	scratch_load_b64 v[9:10], off, off offset:260 ; 8-byte Folded Reload
	s_waitcnt lgkmcnt(0)
	v_fma_mix_f32 v11, v4, v3, 0 op_sel:[0,1,0] op_sel_hi:[0,1,0]
	s_waitcnt vmcnt(0)
	v_mad_u64_u32 v[6:7], null, v1, s9, v[9:10]
	scratch_load_b32 v1, off, off offset:716 ; 4-byte Folded Reload
	ds_load_b32 v7, v8 offset:4352
	v_fma_mix_f32 v9, v4, v2, 0 op_sel:[0,1,0] op_sel_hi:[0,1,0]
	v_fma_mix_f32 v10, v4, v3, 0 op_sel_hi:[0,1,0]
	v_lshl_add_u32 v0, v6, 6, v209
	v_fma_mix_f32 v6, v4, v2, 0 op_sel_hi:[0,1,0]
	s_waitcnt lgkmcnt(0)
	s_delay_alu instid0(VALU_DEP_1) | instskip(SKIP_4) | instid1(VALU_DEP_1)
	v_fma_mix_f32 v6, v5, v7, v6 op_sel_hi:[0,1,0]
	v_fma_mix_f32 v7, v5, v7, v9 op_sel:[0,1,0] op_sel_hi:[0,1,0]
	s_waitcnt vmcnt(0)
	ds_load_b32 v8, v1 offset:4352
	v_ashrrev_i32_e32 v1, 31, v0
	v_lshlrev_b64 v[0:1], 3, v[0:1]
	s_delay_alu instid0(VALU_DEP_1) | instskip(NEXT) | instid1(VALU_DEP_1)
	v_add_co_u32 v2, s3, s67, v0
	v_add_co_ci_u32_e64 v3, s3, s95, v1, s3
	v_mov_b32_e32 v0, 0
	s_waitcnt lgkmcnt(0)
	v_fma_mix_f32 v4, v5, v8, v10 op_sel_hi:[0,1,0]
	v_fma_mix_f32 v5, v5, v8, v11 op_sel:[0,1,0] op_sel_hi:[0,1,0]
	s_clause 0x1
	global_store_b64 v[2:3], v[6:7], off
	global_store_b64 v[2:3], v[4:5], off offset:256
.LBB25_254:                             ;   in Loop: Header=BB25_10 Depth=1
	s_or_b32 exec_lo, exec_lo, s4
	s_mov_b32 s4, -1
	s_mov_b32 s6, exec_lo
	v_cmpx_gt_i32_e32 0x47, v0
; %bb.255:                              ;   in Loop: Header=BB25_10 Depth=1
	v_cmp_eq_u32_e64 s3, 0, v0
	s_delay_alu instid0(VALU_DEP_1)
	s_or_not1_b32 s4, s3, exec_lo
; %bb.256:                              ;   in Loop: Header=BB25_10 Depth=1
	s_or_b32 exec_lo, exec_lo, s6
	s_delay_alu instid0(SALU_CYCLE_1)
	s_and_b32 exec_lo, exec_lo, s4
	s_cbranch_execz .LBB25_269
; %bb.257:                              ;   in Loop: Header=BB25_10 Depth=1
	s_clause 0x1
	scratch_load_b32 v0, off, off offset:720
	scratch_load_b64 v[2:3], off, off offset:700
	s_waitcnt vmcnt(1)
	v_add_nc_u32_e32 v1, s78, v0
	s_waitcnt vmcnt(0)
	v_or_b32_e32 v0, s96, v2
	s_delay_alu instid0(VALU_DEP_1) | instskip(SKIP_2) | instid1(VALU_DEP_1)
	v_cmp_gt_i32_e64 s4, s76, v0
	v_mov_b32_e32 v0, 0x47
	v_cmp_gt_i32_e64 s3, s8, v1
	s_and_b32 s3, s3, s4
	s_delay_alu instid0(SALU_CYCLE_1)
	s_and_saveexec_b32 s4, s3
	s_cbranch_execz .LBB25_259
; %bb.258:                              ;   in Loop: Header=BB25_10 Depth=1
	s_clause 0x1
	scratch_load_b32 v0, off, off offset:724
	scratch_load_b32 v8, off, off offset:728
	s_waitcnt vmcnt(1)
	v_add_nc_u32_e32 v0, 0, v0
	s_waitcnt vmcnt(0)
	ds_load_2addr_b32 v[2:3], v8 offset1:32
	ds_load_2addr_stride64_b32 v[4:5], v0 offset0:1 offset1:18
	scratch_load_b64 v[9:10], off, off offset:700 ; 8-byte Folded Reload
	s_waitcnt lgkmcnt(0)
	v_fma_mix_f32 v11, v4, v3, 0 op_sel:[0,1,0] op_sel_hi:[0,1,0]
	s_waitcnt vmcnt(0)
	v_mad_u64_u32 v[6:7], null, v1, s9, v[9:10]
	scratch_load_b32 v1, off, off offset:732 ; 4-byte Folded Reload
	ds_load_b32 v7, v8 offset:4352
	v_fma_mix_f32 v9, v4, v2, 0 op_sel:[0,1,0] op_sel_hi:[0,1,0]
	v_fma_mix_f32 v10, v4, v3, 0 op_sel_hi:[0,1,0]
	v_lshl_add_u32 v0, v6, 6, v209
	v_fma_mix_f32 v6, v4, v2, 0 op_sel_hi:[0,1,0]
	s_waitcnt lgkmcnt(0)
	s_delay_alu instid0(VALU_DEP_1) | instskip(SKIP_4) | instid1(VALU_DEP_1)
	v_fma_mix_f32 v6, v5, v7, v6 op_sel_hi:[0,1,0]
	v_fma_mix_f32 v7, v5, v7, v9 op_sel:[0,1,0] op_sel_hi:[0,1,0]
	s_waitcnt vmcnt(0)
	ds_load_b32 v8, v1 offset:4352
	v_ashrrev_i32_e32 v1, 31, v0
	v_lshlrev_b64 v[0:1], 3, v[0:1]
	s_delay_alu instid0(VALU_DEP_1) | instskip(NEXT) | instid1(VALU_DEP_1)
	v_add_co_u32 v2, s3, s67, v0
	v_add_co_ci_u32_e64 v3, s3, s95, v1, s3
	v_mov_b32_e32 v0, 0
	s_waitcnt lgkmcnt(0)
	v_fma_mix_f32 v4, v5, v8, v10 op_sel_hi:[0,1,0]
	v_fma_mix_f32 v5, v5, v8, v11 op_sel:[0,1,0] op_sel_hi:[0,1,0]
	s_clause 0x1
	global_store_b64 v[2:3], v[6:7], off
	global_store_b64 v[2:3], v[4:5], off offset:256
.LBB25_259:                             ;   in Loop: Header=BB25_10 Depth=1
	s_or_b32 exec_lo, exec_lo, s4
	s_mov_b32 s4, -1
	s_mov_b32 s6, exec_lo
	v_cmpx_gt_i32_e32 0x47, v0
; %bb.260:                              ;   in Loop: Header=BB25_10 Depth=1
	v_cmp_eq_u32_e64 s3, 0, v0
	s_delay_alu instid0(VALU_DEP_1)
	s_or_not1_b32 s4, s3, exec_lo
; %bb.261:                              ;   in Loop: Header=BB25_10 Depth=1
	s_or_b32 exec_lo, exec_lo, s6
	s_delay_alu instid0(SALU_CYCLE_1)
	s_and_b32 exec_lo, exec_lo, s4
	s_cbranch_execz .LBB25_269
; %bb.262:                              ;   in Loop: Header=BB25_10 Depth=1
	scratch_load_b32 v0, off, off offset:736 ; 4-byte Folded Reload
	s_waitcnt vmcnt(0)
	v_dual_mov_b32 v0, 0x47 :: v_dual_add_nc_u32 v1, s78, v0
	s_delay_alu instid0(VALU_DEP_1) | instskip(NEXT) | instid1(VALU_DEP_1)
	v_cmp_gt_i32_e64 s3, s8, v1
	s_and_b32 s4, s3, vcc_lo
	s_delay_alu instid0(SALU_CYCLE_1)
	s_and_saveexec_b32 s3, s4
	s_cbranch_execz .LBB25_264
; %bb.263:                              ;   in Loop: Header=BB25_10 Depth=1
	s_clause 0x1
	scratch_load_b32 v0, off, off offset:748
	scratch_load_b32 v8, off, off offset:752
	s_waitcnt vmcnt(1)
	v_add_nc_u32_e32 v0, 0, v0
	s_waitcnt vmcnt(0)
	ds_load_2addr_b32 v[2:3], v8 offset1:32
	ds_load_2addr_stride64_b32 v[4:5], v0 offset0:1 offset1:18
	scratch_load_b64 v[9:10], off, off offset:260 ; 8-byte Folded Reload
	s_waitcnt lgkmcnt(0)
	v_fma_mix_f32 v11, v4, v3, 0 op_sel:[0,1,0] op_sel_hi:[0,1,0]
	s_waitcnt vmcnt(0)
	v_mad_u64_u32 v[6:7], null, v1, s9, v[9:10]
	scratch_load_b32 v1, off, off offset:756 ; 4-byte Folded Reload
	ds_load_b32 v7, v8 offset:4352
	v_fma_mix_f32 v9, v4, v2, 0 op_sel:[0,1,0] op_sel_hi:[0,1,0]
	v_fma_mix_f32 v10, v4, v3, 0 op_sel_hi:[0,1,0]
	v_lshl_add_u32 v0, v6, 6, v209
	v_fma_mix_f32 v6, v4, v2, 0 op_sel_hi:[0,1,0]
	s_waitcnt lgkmcnt(0)
	s_delay_alu instid0(VALU_DEP_1) | instskip(SKIP_4) | instid1(VALU_DEP_1)
	v_fma_mix_f32 v6, v5, v7, v6 op_sel_hi:[0,1,0]
	v_fma_mix_f32 v7, v5, v7, v9 op_sel:[0,1,0] op_sel_hi:[0,1,0]
	s_waitcnt vmcnt(0)
	ds_load_b32 v8, v1 offset:4352
	v_ashrrev_i32_e32 v1, 31, v0
	v_lshlrev_b64 v[0:1], 3, v[0:1]
	s_delay_alu instid0(VALU_DEP_1) | instskip(NEXT) | instid1(VALU_DEP_2)
	v_add_co_u32 v2, vcc_lo, s67, v0
	v_add_co_ci_u32_e32 v3, vcc_lo, s95, v1, vcc_lo
	v_mov_b32_e32 v0, 0
	s_waitcnt lgkmcnt(0)
	v_fma_mix_f32 v4, v5, v8, v10 op_sel_hi:[0,1,0]
	v_fma_mix_f32 v5, v5, v8, v11 op_sel:[0,1,0] op_sel_hi:[0,1,0]
	s_clause 0x1
	global_store_b64 v[2:3], v[6:7], off
	global_store_b64 v[2:3], v[4:5], off offset:256
.LBB25_264:                             ;   in Loop: Header=BB25_10 Depth=1
	s_or_b32 exec_lo, exec_lo, s3
	s_mov_b32 s3, -1
	s_mov_b32 s4, exec_lo
	v_cmpx_gt_i32_e32 0x47, v0
; %bb.265:                              ;   in Loop: Header=BB25_10 Depth=1
	v_cmp_eq_u32_e32 vcc_lo, 0, v0
	s_or_not1_b32 s3, vcc_lo, exec_lo
; %bb.266:                              ;   in Loop: Header=BB25_10 Depth=1
	s_or_b32 exec_lo, exec_lo, s4
	s_delay_alu instid0(SALU_CYCLE_1)
	s_and_b32 exec_lo, exec_lo, s3
	s_cbranch_execz .LBB25_269
; %bb.267:                              ;   in Loop: Header=BB25_10 Depth=1
	s_clause 0x1
	scratch_load_b32 v0, off, off offset:760
	scratch_load_b64 v[1:2], off, off offset:740
	s_waitcnt vmcnt(1)
	v_add_nc_u32_e32 v0, s78, v0
	s_waitcnt vmcnt(0)
	v_or_b32_e32 v1, s96, v1
	s_delay_alu instid0(VALU_DEP_2) | instskip(NEXT) | instid1(VALU_DEP_2)
	v_cmp_gt_i32_e32 vcc_lo, s8, v0
	v_cmp_gt_i32_e64 s3, s76, v1
	s_delay_alu instid0(VALU_DEP_1) | instskip(NEXT) | instid1(SALU_CYCLE_1)
	s_and_b32 s3, vcc_lo, s3
	s_and_b32 exec_lo, exec_lo, s3
	s_cbranch_execz .LBB25_269
; %bb.268:                              ;   in Loop: Header=BB25_10 Depth=1
	s_clause 0x1
	scratch_load_b32 v1, off, off offset:764
	scratch_load_b32 v7, off, off offset:768
	s_waitcnt vmcnt(1)
	v_add_nc_u32_e32 v3, 0, v1
	s_waitcnt vmcnt(0)
	ds_load_2addr_b32 v[1:2], v7 offset1:32
	ds_load_2addr_stride64_b32 v[3:4], v3 offset0:1 offset1:18
	scratch_load_b64 v[8:9], off, off offset:740 ; 8-byte Folded Reload
	ds_load_b32 v7, v7 offset:4352
	s_waitcnt lgkmcnt(1)
	v_fma_mix_f32 v10, v3, v1, 0 op_sel:[0,1,0] op_sel_hi:[0,1,0]
	v_fma_mix_f32 v11, v3, v2, 0 op_sel_hi:[0,1,0]
	v_fma_mix_f32 v12, v3, v2, 0 op_sel:[0,1,0] op_sel_hi:[0,1,0]
	s_waitcnt vmcnt(0)
	v_mad_u64_u32 v[5:6], null, v0, s9, v[8:9]
	scratch_load_b32 v0, off, off offset:772 ; 4-byte Folded Reload
	v_fma_mix_f32 v9, v3, v1, 0 op_sel_hi:[0,1,0]
	v_lshl_add_u32 v5, v5, 6, v209
	s_delay_alu instid0(VALU_DEP_1) | instskip(NEXT) | instid1(VALU_DEP_1)
	v_ashrrev_i32_e32 v6, 31, v5
	v_lshlrev_b64 v[5:6], 3, v[5:6]
	s_waitcnt vmcnt(0)
	ds_load_b32 v8, v0 offset:4352
	v_add_co_u32 v0, vcc_lo, s67, v5
	v_add_co_ci_u32_e32 v1, vcc_lo, s95, v6, vcc_lo
	s_waitcnt lgkmcnt(1)
	v_fma_mix_f32 v2, v4, v7, v9 op_sel_hi:[0,1,0]
	v_fma_mix_f32 v3, v4, v7, v10 op_sel:[0,1,0] op_sel_hi:[0,1,0]
	s_waitcnt lgkmcnt(0)
	v_fma_mix_f32 v5, v4, v8, v11 op_sel_hi:[0,1,0]
	v_fma_mix_f32 v6, v4, v8, v12 op_sel:[0,1,0] op_sel_hi:[0,1,0]
	s_clause 0x1
	global_store_b64 v[0:1], v[2:3], off
	global_store_b64 v[0:1], v[5:6], off offset:256
.LBB25_269:                             ;   in Loop: Header=BB25_10 Depth=1
	s_or_b32 exec_lo, exec_lo, s5
	s_waitcnt_vscnt null, 0x0
	s_barrier
	s_branch .LBB25_524
.LBB25_270:                             ;   in Loop: Header=BB25_10 Depth=1
	scratch_load_b32 v0, off, off offset:184 ; 4-byte Folded Reload
	s_lshl_b32 s74, s55, 3
	v_cmp_gt_i32_e32 vcc_lo, s76, v225
	s_xor_b32 s4, vcc_lo, -1
	s_waitcnt vmcnt(0)
	v_add_nc_u32_e32 v0, s74, v0
	s_delay_alu instid0(VALU_DEP_1) | instskip(NEXT) | instid1(VALU_DEP_1)
	v_cmp_le_i32_e64 s3, s8, v0
	s_or_b32 s3, s3, s4
	s_delay_alu instid0(SALU_CYCLE_1) | instskip(NEXT) | instid1(SALU_CYCLE_1)
	s_and_saveexec_b32 s5, s3
	s_xor_b32 s3, exec_lo, s5
	s_cbranch_execz .LBB25_272
; %bb.271:                              ;   in Loop: Header=BB25_10 Depth=1
	scratch_load_b32 v0, off, off offset:196 ; 4-byte Folded Reload
	v_mov_b32_e32 v1, 0
	s_waitcnt vmcnt(0)
	ds_store_2addr_b32 v0, v1, v1 offset1:32
                                        ; implicit-def: $vgpr0
.LBB25_272:                             ;   in Loop: Header=BB25_10 Depth=1
	s_and_not1_saveexec_b32 s3, s3
	s_cbranch_execz .LBB25_274
; %bb.273:                              ;   in Loop: Header=BB25_10 Depth=1
	scratch_load_b32 v1, off, off offset:160 ; 4-byte Folded Reload
	v_mul_lo_u32 v0, v0, s59
	s_waitcnt vmcnt(0)
	s_delay_alu instid0(VALU_DEP_1) | instskip(NEXT) | instid1(VALU_DEP_1)
	v_add3_u32 v0, v0, v1, v209
	v_ashrrev_i32_e32 v1, 31, v0
	s_delay_alu instid0(VALU_DEP_1) | instskip(NEXT) | instid1(VALU_DEP_1)
	v_lshlrev_b64 v[0:1], 3, v[0:1]
	v_add_co_u32 v0, vcc_lo, s46, v0
	s_delay_alu instid0(VALU_DEP_2)
	v_add_co_ci_u32_e32 v1, vcc_lo, s66, v1, vcc_lo
	s_clause 0x1
	global_load_b64 v[2:3], v[0:1], off
	global_load_b64 v[0:1], v[0:1], off offset:256
	s_waitcnt vmcnt(1)
	v_cvt_f16_f32_e32 v2, v2
	v_cvt_f16_f32_e32 v3, v3
	s_waitcnt vmcnt(0)
	v_cvt_f16_f32_e32 v0, v0
	v_cvt_f16_f32_e32 v1, v1
	s_delay_alu instid0(VALU_DEP_3)
	v_pack_b32_f16 v2, v2, v3
	scratch_load_b32 v3, off, off offset:156 ; 4-byte Folded Reload
	v_pack_b32_f16 v0, v0, v1
	s_waitcnt vmcnt(0)
	v_pk_mul_f16 v1, v3, v2
	scratch_load_b32 v2, off, off offset:196 ; 4-byte Folded Reload
	v_pk_mul_f16 v0, v3, v0
	s_waitcnt vmcnt(0)
	ds_store_2addr_b32 v2, v1, v0 offset1:32
.LBB25_274:                             ;   in Loop: Header=BB25_10 Depth=1
	s_or_b32 exec_lo, exec_lo, s3
	scratch_load_b32 v0, off, off offset:208 ; 4-byte Folded Reload
	s_waitcnt vmcnt(0)
	v_add_nc_u32_e32 v0, s74, v0
	s_delay_alu instid0(VALU_DEP_1) | instskip(SKIP_1) | instid1(SALU_CYCLE_1)
	v_cmp_le_i32_e32 vcc_lo, s8, v0
	s_or_b32 s3, vcc_lo, s4
	s_and_saveexec_b32 s5, s3
	s_delay_alu instid0(SALU_CYCLE_1)
	s_xor_b32 s3, exec_lo, s5
	s_cbranch_execz .LBB25_276
; %bb.275:                              ;   in Loop: Header=BB25_10 Depth=1
	scratch_load_b32 v1, off, off offset:152 ; 4-byte Folded Reload
	v_mov_b32_e32 v0, 0
	s_waitcnt vmcnt(0)
	ds_store_2addr_b32 v1, v0, v0 offset1:32
                                        ; implicit-def: $vgpr0
.LBB25_276:                             ;   in Loop: Header=BB25_10 Depth=1
	s_and_not1_saveexec_b32 s3, s3
	s_cbranch_execz .LBB25_278
; %bb.277:                              ;   in Loop: Header=BB25_10 Depth=1
	scratch_load_b32 v1, off, off offset:160 ; 4-byte Folded Reload
	v_mul_lo_u32 v0, v0, s59
	s_waitcnt vmcnt(0)
	s_delay_alu instid0(VALU_DEP_1) | instskip(NEXT) | instid1(VALU_DEP_1)
	v_add3_u32 v0, v0, v1, v209
	v_ashrrev_i32_e32 v1, 31, v0
	s_delay_alu instid0(VALU_DEP_1) | instskip(NEXT) | instid1(VALU_DEP_1)
	v_lshlrev_b64 v[0:1], 3, v[0:1]
	v_add_co_u32 v0, vcc_lo, s46, v0
	s_delay_alu instid0(VALU_DEP_2)
	v_add_co_ci_u32_e32 v1, vcc_lo, s66, v1, vcc_lo
	s_clause 0x1
	global_load_b64 v[2:3], v[0:1], off
	global_load_b64 v[0:1], v[0:1], off offset:256
	s_waitcnt vmcnt(1)
	v_cvt_f16_f32_e32 v2, v2
	v_cvt_f16_f32_e32 v3, v3
	s_waitcnt vmcnt(0)
	v_cvt_f16_f32_e32 v0, v0
	v_cvt_f16_f32_e32 v1, v1
	s_delay_alu instid0(VALU_DEP_3)
	v_pack_b32_f16 v2, v2, v3
	scratch_load_b32 v3, off, off offset:156 ; 4-byte Folded Reload
	v_pack_b32_f16 v0, v0, v1
	s_waitcnt vmcnt(0)
	v_pk_mul_f16 v1, v3, v2
	scratch_load_b32 v2, off, off offset:152 ; 4-byte Folded Reload
	v_pk_mul_f16 v0, v3, v0
	s_waitcnt vmcnt(0)
	ds_store_2addr_b32 v2, v1, v0 offset1:32
.LBB25_278:                             ;   in Loop: Header=BB25_10 Depth=1
	s_or_b32 exec_lo, exec_lo, s3
	scratch_load_b32 v0, off, off offset:212 ; 4-byte Folded Reload
	s_waitcnt vmcnt(0)
	v_add_nc_u32_e32 v0, s74, v0
	s_delay_alu instid0(VALU_DEP_1) | instskip(SKIP_1) | instid1(SALU_CYCLE_1)
	v_cmp_le_i32_e32 vcc_lo, s8, v0
	s_or_b32 s3, vcc_lo, s4
	s_and_saveexec_b32 s5, s3
	s_delay_alu instid0(SALU_CYCLE_1)
	s_xor_b32 s3, exec_lo, s5
	s_cbranch_execz .LBB25_280
; %bb.279:                              ;   in Loop: Header=BB25_10 Depth=1
	scratch_load_b32 v0, off, off offset:152 ; 4-byte Folded Reload
	s_waitcnt vmcnt(0)
	v_dual_mov_b32 v1, 0 :: v_dual_add_nc_u32 v0, 0x400, v0
	ds_store_2addr_b32 v0, v1, v1 offset0:16 offset1:48
                                        ; implicit-def: $vgpr0
.LBB25_280:                             ;   in Loop: Header=BB25_10 Depth=1
	s_and_not1_saveexec_b32 s3, s3
	s_cbranch_execz .LBB25_282
; %bb.281:                              ;   in Loop: Header=BB25_10 Depth=1
	scratch_load_b32 v1, off, off offset:160 ; 4-byte Folded Reload
	v_mul_lo_u32 v0, v0, s59
	s_waitcnt vmcnt(0)
	s_delay_alu instid0(VALU_DEP_1) | instskip(NEXT) | instid1(VALU_DEP_1)
	v_add3_u32 v0, v0, v1, v209
	v_ashrrev_i32_e32 v1, 31, v0
	s_delay_alu instid0(VALU_DEP_1) | instskip(NEXT) | instid1(VALU_DEP_1)
	v_lshlrev_b64 v[0:1], 3, v[0:1]
	v_add_co_u32 v0, vcc_lo, s46, v0
	s_delay_alu instid0(VALU_DEP_2)
	v_add_co_ci_u32_e32 v1, vcc_lo, s66, v1, vcc_lo
	s_clause 0x1
	global_load_b64 v[2:3], v[0:1], off
	global_load_b64 v[0:1], v[0:1], off offset:256
	s_waitcnt vmcnt(1)
	v_cvt_f16_f32_e32 v2, v2
	v_cvt_f16_f32_e32 v3, v3
	s_waitcnt vmcnt(0)
	v_cvt_f16_f32_e32 v0, v0
	v_cvt_f16_f32_e32 v1, v1
	s_delay_alu instid0(VALU_DEP_3)
	v_pack_b32_f16 v2, v2, v3
	scratch_load_b32 v3, off, off offset:156 ; 4-byte Folded Reload
	v_pack_b32_f16 v0, v0, v1
	s_waitcnt vmcnt(0)
	v_pk_mul_f16 v1, v3, v2
	scratch_load_b32 v2, off, off offset:152 ; 4-byte Folded Reload
	v_pk_mul_f16 v0, v3, v0
	s_waitcnt vmcnt(0)
	v_add_nc_u32_e32 v2, 0x400, v2
	ds_store_2addr_b32 v2, v1, v0 offset0:16 offset1:48
.LBB25_282:                             ;   in Loop: Header=BB25_10 Depth=1
	s_or_b32 exec_lo, exec_lo, s3
	scratch_load_b32 v0, off, off offset:216 ; 4-byte Folded Reload
	s_waitcnt vmcnt(0)
	v_add_nc_u32_e32 v0, s74, v0
	s_delay_alu instid0(VALU_DEP_1) | instskip(SKIP_1) | instid1(SALU_CYCLE_1)
	v_cmp_le_i32_e32 vcc_lo, s8, v0
	s_or_b32 s3, vcc_lo, s4
	s_and_saveexec_b32 s5, s3
	s_delay_alu instid0(SALU_CYCLE_1)
	s_xor_b32 s3, exec_lo, s5
	s_cbranch_execz .LBB25_284
; %bb.283:                              ;   in Loop: Header=BB25_10 Depth=1
	scratch_load_b32 v0, off, off offset:152 ; 4-byte Folded Reload
	s_waitcnt vmcnt(0)
	v_dual_mov_b32 v1, 0 :: v_dual_add_nc_u32 v0, 0x800, v0
	ds_store_2addr_b32 v0, v1, v1 offset0:32 offset1:64
                                        ; implicit-def: $vgpr0
.LBB25_284:                             ;   in Loop: Header=BB25_10 Depth=1
	s_and_not1_saveexec_b32 s3, s3
	s_cbranch_execz .LBB25_286
; %bb.285:                              ;   in Loop: Header=BB25_10 Depth=1
	scratch_load_b32 v1, off, off offset:160 ; 4-byte Folded Reload
	v_mul_lo_u32 v0, v0, s59
	s_waitcnt vmcnt(0)
	s_delay_alu instid0(VALU_DEP_1) | instskip(NEXT) | instid1(VALU_DEP_1)
	v_add3_u32 v0, v0, v1, v209
	v_ashrrev_i32_e32 v1, 31, v0
	s_delay_alu instid0(VALU_DEP_1) | instskip(NEXT) | instid1(VALU_DEP_1)
	v_lshlrev_b64 v[0:1], 3, v[0:1]
	v_add_co_u32 v0, vcc_lo, s46, v0
	s_delay_alu instid0(VALU_DEP_2)
	v_add_co_ci_u32_e32 v1, vcc_lo, s66, v1, vcc_lo
	s_clause 0x1
	global_load_b64 v[2:3], v[0:1], off
	global_load_b64 v[0:1], v[0:1], off offset:256
	s_waitcnt vmcnt(1)
	v_cvt_f16_f32_e32 v2, v2
	v_cvt_f16_f32_e32 v3, v3
	s_waitcnt vmcnt(0)
	v_cvt_f16_f32_e32 v0, v0
	v_cvt_f16_f32_e32 v1, v1
	s_delay_alu instid0(VALU_DEP_3)
	v_pack_b32_f16 v2, v2, v3
	scratch_load_b32 v3, off, off offset:156 ; 4-byte Folded Reload
	v_pack_b32_f16 v0, v0, v1
	s_waitcnt vmcnt(0)
	v_pk_mul_f16 v1, v3, v2
	scratch_load_b32 v2, off, off offset:152 ; 4-byte Folded Reload
	v_pk_mul_f16 v0, v3, v0
	s_waitcnt vmcnt(0)
	v_add_nc_u32_e32 v2, 0x800, v2
	ds_store_2addr_b32 v2, v1, v0 offset0:32 offset1:64
.LBB25_286:                             ;   in Loop: Header=BB25_10 Depth=1
	;; [unrolled: 53-line block ×6, first 2 shown]
	s_or_b32 exec_lo, exec_lo, s3
	s_clause 0x1
	scratch_load_b32 v0, off, off offset:192
	scratch_load_b32 v1, off, off offset:204
	s_waitcnt vmcnt(0) lgkmcnt(0)
	s_waitcnt_vscnt null, 0x0
	s_barrier
	buffer_gl0_inv
	s_cmp_gt_i32 s101, 1
	v_add_nc_u32_e32 v0, v0, v1
	ds_load_b128 v[40:43], v0
	ds_load_b128 v[44:47], v0 offset:16
	ds_load_b128 v[32:35], v0 offset:32
	;; [unrolled: 1-line block ×15, first 2 shown]
	s_waitcnt lgkmcnt(0)
	s_barrier
	buffer_gl0_inv
	s_cbranch_scc1 .LBB25_304
; %bb.303:                              ;   in Loop: Header=BB25_10 Depth=1
	s_clause 0x1
	scratch_load_b32 v0, off, off offset:176
	scratch_load_b32 v1, off, off offset:188
	s_mov_b32 s3, 0
	s_mov_b32 s4, 0xfeffffff
	;; [unrolled: 1-line block ×4, first 2 shown]
	s_waitcnt vmcnt(1)
	v_add_nc_u32_e32 v0, s74, v0
	s_waitcnt vmcnt(0)
	v_add_nc_u32_e32 v1, s74, v1
	s_delay_alu instid0(VALU_DEP_2) | instskip(NEXT) | instid1(VALU_DEP_2)
	v_mul_hi_u32 v2, s34, v0
	v_mul_hi_u32 v3, s34, v1
	s_delay_alu instid0(VALU_DEP_2) | instskip(NEXT) | instid1(VALU_DEP_2)
	v_add_nc_u32_e32 v2, v0, v2
	v_add_nc_u32_e32 v3, v1, v3
	s_delay_alu instid0(VALU_DEP_2) | instskip(NEXT) | instid1(VALU_DEP_2)
	v_lshrrev_b32_e32 v2, s35, v2
	v_lshrrev_b32_e32 v3, s35, v3
	s_delay_alu instid0(VALU_DEP_2) | instskip(NEXT) | instid1(VALU_DEP_2)
	v_mul_lo_u32 v2, v2, s8
	v_mul_lo_u32 v3, v3, s8
	s_delay_alu instid0(VALU_DEP_2) | instskip(NEXT) | instid1(VALU_DEP_2)
	v_sub_nc_u32_e32 v0, v0, v2
	v_sub_nc_u32_e32 v1, v1, v3
	s_delay_alu instid0(VALU_DEP_2)
	v_mad_i64_i32 v[2:3], null, v0, s48, 0
	scratch_store_b64 off, v[2:3], off offset:252 ; 8-byte Folded Spill
	v_mad_i64_i32 v[2:3], null, v1, s48, 0
	scratch_store_b64 off, v[2:3], off offset:244 ; 8-byte Folded Spill
	s_branch .LBB25_305
.LBB25_304:                             ;   in Loop: Header=BB25_10 Depth=1
                                        ; implicit-def: $vgpr0_vgpr1
	s_mov_b32 s3, -1
                                        ; implicit-def: $sgpr46
                                        ; implicit-def: $sgpr5
                                        ; implicit-def: $sgpr4
                                        ; kill: killed $vgpr0_vgpr1
                                        ; implicit-def: $vgpr0_vgpr1
                                        ; kill: killed $vgpr0_vgpr1
.LBB25_305:                             ;   in Loop: Header=BB25_10 Depth=1
	v_mbcnt_lo_u32_b32 v0, -1, 0
	v_dual_mov_b32 v31, s46 :: v_dual_mov_b32 v30, s46
	v_dual_mov_b32 v235, s5 :: v_dual_mov_b32 v28, s46
	s_delay_alu instid0(VALU_DEP_3)
	v_xor_b32_e32 v0, 16, v0
	v_dual_mov_b32 v191, s4 :: v_dual_mov_b32 v26, s46
	v_dual_mov_b32 v29, s46 :: v_dual_mov_b32 v24, s46
	scratch_store_b32 off, v0, off offset:180 ; 4-byte Folded Spill
	v_dual_mov_b32 v27, s46 :: v_dual_mov_b32 v22, s46
	v_dual_mov_b32 v25, s46 :: v_dual_mov_b32 v20, s46
	;; [unrolled: 1-line block ×12, first 2 shown]
	v_mov_b32_e32 v3, s46
	v_mov_b32_e32 v1, s46
	s_and_not1_b32 vcc_lo, exec_lo, s3
	s_cbranch_vccnz .LBB25_373
; %bb.306:                              ;   in Loop: Header=BB25_10 Depth=1
	s_clause 0x2
	scratch_load_b32 v0, off, off offset:176
	scratch_load_b32 v4, off, off offset:180
	;; [unrolled: 1-line block ×3, first 2 shown]
	v_mbcnt_lo_u32_b32 v3, -1, 0
	s_add_i32 s46, s101, -1
	s_add_u32 s3, s63, s14
	s_addc_u32 s4, s64, s15
	v_readlane_b32 s14, v255, 7
	v_readlane_b32 s15, v255, 8
	scratch_load_b32 v98, off, off offset:316 ; 4-byte Folded Reload
	v_dual_mov_b32 v193, 0xfeffffff :: v_dual_mov_b32 v192, 0
	s_waitcnt vmcnt(3)
	v_add_nc_u32_e32 v8, s74, v0
	scratch_load_b32 v0, off, off offset:188 ; 4-byte Folded Reload
	s_waitcnt vmcnt(3)
	v_cmp_gt_i32_e32 vcc_lo, 32, v4
	v_mul_hi_u32 v1, s34, v8
	s_add_u32 s5, s103, vcc_hi
	s_addc_u32 s6, s104, s60
	s_delay_alu instid0(VALU_DEP_1)
	v_add_nc_u32_e32 v1, v8, v1
	s_waitcnt vmcnt(0)
	v_add_nc_u32_e32 v10, s74, v0
	v_mov_b32_e32 v0, 0
	v_cndmask_b32_e32 v18, v3, v4, vcc_lo
	v_lshrrev_b32_e32 v3, s35, v1
	s_delay_alu instid0(VALU_DEP_3) | instskip(SKIP_1) | instid1(VALU_DEP_3)
	v_mov_b32_e32 v5, v0
	v_mov_b32_e32 v7, v0
	v_mul_lo_u32 v9, v3, s8
	v_mov_b32_e32 v3, v0
	v_mul_hi_u32 v2, s34, v10
	v_mov_b32_e32 v1, v0
	v_mov_b32_e32 v6, v0
	;; [unrolled: 1-line block ×3, first 2 shown]
	v_dual_mov_b32 v13, v0 :: v_dual_lshlrev_b32 v228, 2, v18
	v_sub_nc_u32_e32 v96, v8, v9
	v_mov_b32_e32 v8, v0
	v_dual_mov_b32 v9, v0 :: v_dual_add_nc_u32 v2, v10, v2
	v_mov_b32_e32 v18, v0
	s_delay_alu instid0(VALU_DEP_4) | instskip(NEXT) | instid1(VALU_DEP_3)
	v_mad_i64_i32 v[14:15], null, s14, v96, v[219:220]
	v_lshrrev_b32_e32 v4, s35, v2
	v_mov_b32_e32 v2, v0
	v_mov_b32_e32 v20, v0
	;; [unrolled: 1-line block ×4, first 2 shown]
	v_mul_lo_u32 v11, v4, s8
	v_mov_b32_e32 v4, v0
	v_mov_b32_e32 v23, v0
	;; [unrolled: 1-line block ×7, first 2 shown]
	v_sub_nc_u32_e32 v97, v10, v11
	v_mov_b32_e32 v10, v0
	v_mov_b32_e32 v11, v0
	;; [unrolled: 1-line block ×4, first 2 shown]
	v_mad_i64_i32 v[16:17], null, s14, v97, v[219:220]
	v_add_co_u32 v219, vcc_lo, v19, v14
	scratch_load_b32 v14, off, off offset:312 ; 4-byte Folded Reload
	v_mov_b32_e32 v31, v0
	s_mov_b32 s14, s46
	s_waitcnt vmcnt(0)
	v_add_co_ci_u32_e32 v220, vcc_lo, v14, v15, vcc_lo
	v_add_co_u32 v225, vcc_lo, v19, v16
	v_add_co_ci_u32_e32 v226, vcc_lo, v14, v17, vcc_lo
	v_add_co_u32 v233, vcc_lo, v98, s3
	scratch_load_b32 v98, off, off offset:320 ; 4-byte Folded Reload
	v_mov_b32_e32 v14, v0
	v_mov_b32_e32 v15, v0
	;; [unrolled: 1-line block ×5, first 2 shown]
	s_waitcnt vmcnt(0)
	v_add_co_ci_u32_e32 v242, vcc_lo, s4, v98, vcc_lo
	scratch_load_b32 v98, off, off offset:324 ; 4-byte Folded Reload
	s_waitcnt vmcnt(0)
	v_add_co_u32 v227, vcc_lo, v98, s3
	scratch_load_b32 v98, off, off offset:328 ; 4-byte Folded Reload
	s_waitcnt vmcnt(0)
	v_add_co_ci_u32_e32 v251, vcc_lo, s4, v98, vcc_lo
	v_mad_i64_i32 v[98:99], null, v96, s48, 0
	scratch_load_b32 v96, off, off offset:332 ; 4-byte Folded Reload
	scratch_store_b64 off, v[98:99], off offset:252 ; 8-byte Folded Spill
	v_mad_i64_i32 v[98:99], null, v97, s48, 0
	scratch_store_b64 off, v[98:99], off offset:244 ; 8-byte Folded Spill
	s_waitcnt vmcnt(0)
	v_add_co_u32 v236, vcc_lo, v96, s3
	scratch_load_b32 v96, off, off offset:336 ; 4-byte Folded Reload
	s_waitcnt vmcnt(0)
	v_add_co_ci_u32_e32 v240, vcc_lo, s4, v96, vcc_lo
	scratch_load_b32 v96, off, off offset:340 ; 4-byte Folded Reload
	s_waitcnt vmcnt(0)
	v_add_co_u32 v252, vcc_lo, v96, s3
	scratch_load_b32 v96, off, off offset:344 ; 4-byte Folded Reload
	s_waitcnt vmcnt(0)
	v_add_co_ci_u32_e32 v231, vcc_lo, s4, v96, vcc_lo
	scratch_load_b32 v96, off, off offset:348 ; 4-byte Folded Reload
	;; [unrolled: 6-line block ×13, first 2 shown]
	s_waitcnt vmcnt(0)
	v_add_co_u32 v189, vcc_lo, v96, s5
	scratch_load_b32 v96, off, off offset:440 ; 4-byte Folded Reload
	s_waitcnt vmcnt(0)
	v_add_co_ci_u32_e32 v190, vcc_lo, s6, v96, vcc_lo
.LBB25_307:                             ;   Parent Loop BB25_10 Depth=1
                                        ; =>  This Inner Loop Header: Depth=2
	s_clause 0x1
	scratch_load_b32 v96, off, off
	scratch_load_b32 v97, off, off offset:20
	v_dual_mov_b32 v119, s43 :: v_dual_mov_b32 v116, s40
	v_dual_mov_b32 v115, s39 :: v_dual_mov_b32 v114, s38
	;; [unrolled: 1-line block ×4, first 2 shown]
	s_waitcnt vmcnt(0)
	v_add_nc_u32_e32 v96, v96, v97
	global_load_b32 v97, v[219:220], off
	global_load_b32 v98, v[225:226], off
	v_add_nc_u32_e32 v96, 0x4400, v96
	s_waitcnt vmcnt(0)
	ds_store_2addr_b32 v96, v97, v98 offset1:144
	v_add_co_u32 v96, vcc_lo, v211, v213
	v_add_co_ci_u32_e32 v97, vcc_lo, 0, v237, vcc_lo
	v_add_co_u32 v100, vcc_lo, v243, v213
	v_add_co_ci_u32_e32 v101, vcc_lo, 0, v178, vcc_lo
	global_load_b128 v[96:99], v[96:97], off
	global_load_b128 v[100:103], v[100:101], off
	s_waitcnt vmcnt(1)
	ds_store_b128 v245, v[96:99]
	s_waitcnt vmcnt(0)
	ds_store_b128 v238, v[100:103]
	v_add_co_u32 v96, vcc_lo, v179, v213
	v_add_co_ci_u32_e32 v97, vcc_lo, 0, v180, vcc_lo
	v_add_co_u32 v100, vcc_lo, v181, v213
	v_add_co_ci_u32_e32 v101, vcc_lo, 0, v182, vcc_lo
	global_load_b128 v[96:99], v[96:97], off
	global_load_b128 v[100:103], v[100:101], off
	s_waitcnt vmcnt(1)
	ds_store_b128 v239, v[96:99]
	s_waitcnt vmcnt(0)
	ds_store_b128 v216, v[100:103]
	v_add_co_u32 v96, vcc_lo, v183, v213
	v_add_co_ci_u32_e32 v97, vcc_lo, 0, v184, vcc_lo
	global_load_b128 v[96:99], v[96:97], off
	s_waitcnt vmcnt(0)
	ds_store_b128 v214, v[96:99]
	v_add_co_u32 v96, vcc_lo, v185, v213
	v_add_co_ci_u32_e32 v97, vcc_lo, 0, v186, vcc_lo
	global_load_b128 v[96:99], v[96:97], off
	s_waitcnt vmcnt(0)
	ds_store_b128 v212, v[96:99]
	v_add_co_u32 v96, vcc_lo, v187, v213
	v_add_co_ci_u32_e32 v97, vcc_lo, 0, v188, vcc_lo
	global_load_b128 v[96:99], v[96:97], off
	s_waitcnt vmcnt(0)
	ds_store_b128 v229, v[96:99]
	v_add_co_u32 v96, vcc_lo, v189, v213
	v_add_co_ci_u32_e32 v97, vcc_lo, 0, v190, vcc_lo
	global_load_b128 v[96:99], v[96:97], off
	s_waitcnt vmcnt(0)
	ds_store_b128 v210, v[96:99]
	s_waitcnt lgkmcnt(0)
	s_waitcnt_vscnt null, 0x0
	s_barrier
	buffer_gl0_inv
	s_clause 0x1
	scratch_load_b32 v96, off, off offset:8
	scratch_load_b32 v97, off, off offset:16
	s_waitcnt vmcnt(0)
	v_add_nc_u32_e32 v191, v97, v96
	ds_load_b128 v[104:107], v191
	ds_load_b128 v[108:111], v191 offset:16
	s_waitcnt lgkmcnt(0)
	v_wmma_f32_16x16x16_f16 v[96:103], v[104:111], v[40:47], v[112:119]
	ds_load_b128 v[104:107], v191 offset:32
	ds_load_b128 v[108:111], v191 offset:48
	s_waitcnt lgkmcnt(0)
	v_wmma_f32_16x16x16_f16 v[96:103], v[104:111], v[32:39], v[96:103]
	ds_load_b128 v[104:107], v191 offset:64
	;; [unrolled: 4-line block ×7, first 2 shown]
	ds_load_b128 v[108:111], v191 offset:240
	ds_load_b128 v[168:171], v191 offset:8704
	;; [unrolled: 1-line block ×17, first 2 shown]
	s_waitcnt lgkmcnt(0)
	s_barrier
	buffer_gl0_inv
                                        ; implicit-def: $vgpr191
	v_wmma_f32_16x16x16_f16 v[96:103], v[104:111], v[88:95], v[96:103]
	s_delay_alu instid0(VALU_DEP_1) | instskip(NEXT) | instid1(VALU_DEP_1)
	v_cmp_ngt_f32_e64 s3, 0x3f200000, |v96|
	s_and_saveexec_b32 s4, s3
	s_delay_alu instid0(SALU_CYCLE_1)
	s_xor_b32 s3, exec_lo, s4
	s_cbranch_execz .LBB25_309
; %bb.308:                              ;   in Loop: Header=BB25_307 Depth=2
	v_add_f32_e64 v104, |v96|, |v96|
	s_delay_alu instid0(VALU_DEP_1) | instskip(SKIP_1) | instid1(VALU_DEP_2)
	v_mul_f32_e32 v105, 0x3fb8aa3b, v104
	v_cmp_ngt_f32_e32 vcc_lo, 0xc2ce8ed0, v104
	v_rndne_f32_e32 v106, v105
	v_fma_f32 v107, 0x3fb8aa3b, v104, -v105
	s_delay_alu instid0(VALU_DEP_2) | instskip(NEXT) | instid1(VALU_DEP_2)
	v_sub_f32_e32 v105, v105, v106
	v_fmac_f32_e32 v107, 0x32a5705f, v104
	v_cvt_i32_f32_e32 v106, v106
	s_delay_alu instid0(VALU_DEP_2) | instskip(NEXT) | instid1(VALU_DEP_1)
	v_add_f32_e32 v105, v105, v107
	v_exp_f32_e32 v105, v105
	s_waitcnt_depctr 0xfff
	v_ldexp_f32 v105, v105, v106
	s_delay_alu instid0(VALU_DEP_1) | instskip(SKIP_1) | instid1(VALU_DEP_2)
	v_cndmask_b32_e32 v105, 0, v105, vcc_lo
	v_cmp_nlt_f32_e32 vcc_lo, 0x42b17218, v104
	v_cndmask_b32_e32 v104, 0x7f800000, v105, vcc_lo
	s_delay_alu instid0(VALU_DEP_1) | instskip(NEXT) | instid1(VALU_DEP_1)
	v_add_f32_e32 v104, 1.0, v104
	v_rcp_f32_e32 v104, v104
	s_waitcnt_depctr 0xfff
	v_fma_f32 v191, v104, -2.0, 1.0
.LBB25_309:                             ;   in Loop: Header=BB25_307 Depth=2
	s_and_not1_saveexec_b32 s3, s3
; %bb.310:                              ;   in Loop: Header=BB25_307 Depth=2
	v_mul_f32_e32 v104, v96, v96
	s_delay_alu instid0(VALU_DEP_1) | instskip(NEXT) | instid1(VALU_DEP_1)
	v_fmaak_f32 v105, s49, v104, 0x3ca908c9
	v_fmaak_f32 v105, v104, v105, 0xbd5c1c4e
	s_delay_alu instid0(VALU_DEP_1) | instskip(NEXT) | instid1(VALU_DEP_1)
	v_fmaak_f32 v105, v104, v105, 0x3e088382
	v_fmaak_f32 v105, v104, v105, 0xbeaaaa99
	s_delay_alu instid0(VALU_DEP_1) | instskip(NEXT) | instid1(VALU_DEP_1)
	v_mul_f32_e64 v105, |v96|, v105
	v_fma_f32 v191, v104, v105, |v96|
; %bb.311:                              ;   in Loop: Header=BB25_307 Depth=2
	s_or_b32 exec_lo, exec_lo, s3
	v_cmp_ngt_f32_e64 s3, 0x3f200000, |v97|
                                        ; implicit-def: $vgpr235
	s_delay_alu instid0(VALU_DEP_1) | instskip(NEXT) | instid1(SALU_CYCLE_1)
	s_and_saveexec_b32 s4, s3
	s_xor_b32 s3, exec_lo, s4
	s_cbranch_execz .LBB25_313
; %bb.312:                              ;   in Loop: Header=BB25_307 Depth=2
	v_add_f32_e64 v104, |v97|, |v97|
	s_delay_alu instid0(VALU_DEP_1) | instskip(SKIP_1) | instid1(VALU_DEP_2)
	v_mul_f32_e32 v105, 0x3fb8aa3b, v104
	v_cmp_ngt_f32_e32 vcc_lo, 0xc2ce8ed0, v104
	v_rndne_f32_e32 v106, v105
	v_fma_f32 v107, 0x3fb8aa3b, v104, -v105
	s_delay_alu instid0(VALU_DEP_2) | instskip(NEXT) | instid1(VALU_DEP_2)
	v_sub_f32_e32 v105, v105, v106
	v_fmac_f32_e32 v107, 0x32a5705f, v104
	v_cvt_i32_f32_e32 v106, v106
	s_delay_alu instid0(VALU_DEP_2) | instskip(NEXT) | instid1(VALU_DEP_1)
	v_add_f32_e32 v105, v105, v107
	v_exp_f32_e32 v105, v105
	s_waitcnt_depctr 0xfff
	v_ldexp_f32 v105, v105, v106
	s_delay_alu instid0(VALU_DEP_1) | instskip(SKIP_1) | instid1(VALU_DEP_2)
	v_cndmask_b32_e32 v105, 0, v105, vcc_lo
	v_cmp_nlt_f32_e32 vcc_lo, 0x42b17218, v104
	v_cndmask_b32_e32 v104, 0x7f800000, v105, vcc_lo
	s_delay_alu instid0(VALU_DEP_1) | instskip(NEXT) | instid1(VALU_DEP_1)
	v_add_f32_e32 v104, 1.0, v104
	v_rcp_f32_e32 v104, v104
	s_waitcnt_depctr 0xfff
	v_fma_f32 v235, v104, -2.0, 1.0
.LBB25_313:                             ;   in Loop: Header=BB25_307 Depth=2
	s_and_not1_saveexec_b32 s3, s3
; %bb.314:                              ;   in Loop: Header=BB25_307 Depth=2
	v_mul_f32_e32 v104, v97, v97
	s_delay_alu instid0(VALU_DEP_1) | instskip(NEXT) | instid1(VALU_DEP_1)
	v_fmaak_f32 v105, s49, v104, 0x3ca908c9
	v_fmaak_f32 v105, v104, v105, 0xbd5c1c4e
	s_delay_alu instid0(VALU_DEP_1) | instskip(NEXT) | instid1(VALU_DEP_1)
	v_fmaak_f32 v105, v104, v105, 0x3e088382
	v_fmaak_f32 v105, v104, v105, 0xbeaaaa99
	s_delay_alu instid0(VALU_DEP_1) | instskip(NEXT) | instid1(VALU_DEP_1)
	v_mul_f32_e64 v105, |v97|, v105
	v_fma_f32 v235, v104, v105, |v97|
; %bb.315:                              ;   in Loop: Header=BB25_307 Depth=2
	s_or_b32 exec_lo, exec_lo, s3
	v_cmp_ngt_f32_e64 s3, 0x3f200000, |v98|
                                        ; implicit-def: $vgpr194
	s_delay_alu instid0(VALU_DEP_1) | instskip(NEXT) | instid1(SALU_CYCLE_1)
	s_and_saveexec_b32 s4, s3
	s_xor_b32 s3, exec_lo, s4
	s_cbranch_execz .LBB25_317
; %bb.316:                              ;   in Loop: Header=BB25_307 Depth=2
	v_add_f32_e64 v104, |v98|, |v98|
	s_delay_alu instid0(VALU_DEP_1) | instskip(SKIP_1) | instid1(VALU_DEP_2)
	v_mul_f32_e32 v105, 0x3fb8aa3b, v104
	v_cmp_ngt_f32_e32 vcc_lo, 0xc2ce8ed0, v104
	v_rndne_f32_e32 v106, v105
	v_fma_f32 v107, 0x3fb8aa3b, v104, -v105
	s_delay_alu instid0(VALU_DEP_2) | instskip(NEXT) | instid1(VALU_DEP_2)
	v_sub_f32_e32 v105, v105, v106
	v_fmac_f32_e32 v107, 0x32a5705f, v104
	v_cvt_i32_f32_e32 v106, v106
	s_delay_alu instid0(VALU_DEP_2) | instskip(NEXT) | instid1(VALU_DEP_1)
	v_add_f32_e32 v105, v105, v107
	v_exp_f32_e32 v105, v105
	s_waitcnt_depctr 0xfff
	v_ldexp_f32 v105, v105, v106
	s_delay_alu instid0(VALU_DEP_1) | instskip(SKIP_1) | instid1(VALU_DEP_2)
	v_cndmask_b32_e32 v105, 0, v105, vcc_lo
	v_cmp_nlt_f32_e32 vcc_lo, 0x42b17218, v104
	v_cndmask_b32_e32 v104, 0x7f800000, v105, vcc_lo
	s_delay_alu instid0(VALU_DEP_1) | instskip(NEXT) | instid1(VALU_DEP_1)
	v_add_f32_e32 v104, 1.0, v104
	v_rcp_f32_e32 v104, v104
	s_waitcnt_depctr 0xfff
	v_fma_f32 v194, v104, -2.0, 1.0
.LBB25_317:                             ;   in Loop: Header=BB25_307 Depth=2
	s_and_not1_saveexec_b32 s3, s3
; %bb.318:                              ;   in Loop: Header=BB25_307 Depth=2
	v_mul_f32_e32 v104, v98, v98
	s_delay_alu instid0(VALU_DEP_1) | instskip(NEXT) | instid1(VALU_DEP_1)
	v_fmaak_f32 v105, s49, v104, 0x3ca908c9
	v_fmaak_f32 v105, v104, v105, 0xbd5c1c4e
	s_delay_alu instid0(VALU_DEP_1) | instskip(NEXT) | instid1(VALU_DEP_1)
	v_fmaak_f32 v105, v104, v105, 0x3e088382
	v_fmaak_f32 v105, v104, v105, 0xbeaaaa99
	s_delay_alu instid0(VALU_DEP_1) | instskip(NEXT) | instid1(VALU_DEP_1)
	v_mul_f32_e64 v105, |v98|, v105
	v_fma_f32 v194, v104, v105, |v98|
; %bb.319:                              ;   in Loop: Header=BB25_307 Depth=2
	s_or_b32 exec_lo, exec_lo, s3
	v_cmp_ngt_f32_e64 s3, 0x3f200000, |v99|
                                        ; implicit-def: $vgpr195
	s_delay_alu instid0(VALU_DEP_1) | instskip(NEXT) | instid1(SALU_CYCLE_1)
	s_and_saveexec_b32 s4, s3
	s_xor_b32 s3, exec_lo, s4
	s_cbranch_execz .LBB25_321
; %bb.320:                              ;   in Loop: Header=BB25_307 Depth=2
	v_add_f32_e64 v104, |v99|, |v99|
	s_delay_alu instid0(VALU_DEP_1) | instskip(SKIP_1) | instid1(VALU_DEP_2)
	v_mul_f32_e32 v105, 0x3fb8aa3b, v104
	v_cmp_ngt_f32_e32 vcc_lo, 0xc2ce8ed0, v104
	v_rndne_f32_e32 v106, v105
	v_fma_f32 v107, 0x3fb8aa3b, v104, -v105
	s_delay_alu instid0(VALU_DEP_2) | instskip(NEXT) | instid1(VALU_DEP_2)
	v_sub_f32_e32 v105, v105, v106
	v_fmac_f32_e32 v107, 0x32a5705f, v104
	v_cvt_i32_f32_e32 v106, v106
	s_delay_alu instid0(VALU_DEP_2) | instskip(NEXT) | instid1(VALU_DEP_1)
	v_add_f32_e32 v105, v105, v107
	v_exp_f32_e32 v105, v105
	s_waitcnt_depctr 0xfff
	v_ldexp_f32 v105, v105, v106
	s_delay_alu instid0(VALU_DEP_1) | instskip(SKIP_1) | instid1(VALU_DEP_2)
	v_cndmask_b32_e32 v105, 0, v105, vcc_lo
	v_cmp_nlt_f32_e32 vcc_lo, 0x42b17218, v104
	v_cndmask_b32_e32 v104, 0x7f800000, v105, vcc_lo
	s_delay_alu instid0(VALU_DEP_1) | instskip(NEXT) | instid1(VALU_DEP_1)
	v_add_f32_e32 v104, 1.0, v104
	v_rcp_f32_e32 v104, v104
	s_waitcnt_depctr 0xfff
	v_fma_f32 v195, v104, -2.0, 1.0
.LBB25_321:                             ;   in Loop: Header=BB25_307 Depth=2
	s_and_not1_saveexec_b32 s3, s3
; %bb.322:                              ;   in Loop: Header=BB25_307 Depth=2
	v_mul_f32_e32 v104, v99, v99
	s_delay_alu instid0(VALU_DEP_1) | instskip(NEXT) | instid1(VALU_DEP_1)
	v_fmaak_f32 v105, s49, v104, 0x3ca908c9
	v_fmaak_f32 v105, v104, v105, 0xbd5c1c4e
	s_delay_alu instid0(VALU_DEP_1) | instskip(NEXT) | instid1(VALU_DEP_1)
	v_fmaak_f32 v105, v104, v105, 0x3e088382
	v_fmaak_f32 v105, v104, v105, 0xbeaaaa99
	s_delay_alu instid0(VALU_DEP_1) | instskip(NEXT) | instid1(VALU_DEP_1)
	v_mul_f32_e64 v105, |v99|, v105
	v_fma_f32 v195, v104, v105, |v99|
; %bb.323:                              ;   in Loop: Header=BB25_307 Depth=2
	s_or_b32 exec_lo, exec_lo, s3
	v_cmp_ngt_f32_e64 s3, 0x3f200000, |v100|
                                        ; implicit-def: $vgpr196
	s_delay_alu instid0(VALU_DEP_1) | instskip(NEXT) | instid1(SALU_CYCLE_1)
	s_and_saveexec_b32 s4, s3
	s_xor_b32 s3, exec_lo, s4
	s_cbranch_execz .LBB25_325
; %bb.324:                              ;   in Loop: Header=BB25_307 Depth=2
	v_add_f32_e64 v104, |v100|, |v100|
	s_delay_alu instid0(VALU_DEP_1) | instskip(SKIP_1) | instid1(VALU_DEP_2)
	v_mul_f32_e32 v105, 0x3fb8aa3b, v104
	v_cmp_ngt_f32_e32 vcc_lo, 0xc2ce8ed0, v104
	v_rndne_f32_e32 v106, v105
	v_fma_f32 v107, 0x3fb8aa3b, v104, -v105
	s_delay_alu instid0(VALU_DEP_2) | instskip(NEXT) | instid1(VALU_DEP_2)
	v_sub_f32_e32 v105, v105, v106
	v_fmac_f32_e32 v107, 0x32a5705f, v104
	v_cvt_i32_f32_e32 v106, v106
	s_delay_alu instid0(VALU_DEP_2) | instskip(NEXT) | instid1(VALU_DEP_1)
	v_add_f32_e32 v105, v105, v107
	v_exp_f32_e32 v105, v105
	s_waitcnt_depctr 0xfff
	v_ldexp_f32 v105, v105, v106
	s_delay_alu instid0(VALU_DEP_1) | instskip(SKIP_1) | instid1(VALU_DEP_2)
	v_cndmask_b32_e32 v105, 0, v105, vcc_lo
	v_cmp_nlt_f32_e32 vcc_lo, 0x42b17218, v104
	v_cndmask_b32_e32 v104, 0x7f800000, v105, vcc_lo
	s_delay_alu instid0(VALU_DEP_1) | instskip(NEXT) | instid1(VALU_DEP_1)
	v_add_f32_e32 v104, 1.0, v104
	v_rcp_f32_e32 v104, v104
	s_waitcnt_depctr 0xfff
	v_fma_f32 v196, v104, -2.0, 1.0
.LBB25_325:                             ;   in Loop: Header=BB25_307 Depth=2
	s_and_not1_saveexec_b32 s3, s3
; %bb.326:                              ;   in Loop: Header=BB25_307 Depth=2
	v_mul_f32_e32 v104, v100, v100
	s_delay_alu instid0(VALU_DEP_1) | instskip(NEXT) | instid1(VALU_DEP_1)
	v_fmaak_f32 v105, s49, v104, 0x3ca908c9
	v_fmaak_f32 v105, v104, v105, 0xbd5c1c4e
	s_delay_alu instid0(VALU_DEP_1) | instskip(NEXT) | instid1(VALU_DEP_1)
	v_fmaak_f32 v105, v104, v105, 0x3e088382
	v_fmaak_f32 v105, v104, v105, 0xbeaaaa99
	s_delay_alu instid0(VALU_DEP_1) | instskip(NEXT) | instid1(VALU_DEP_1)
	v_mul_f32_e64 v105, |v100|, v105
	v_fma_f32 v196, v104, v105, |v100|
; %bb.327:                              ;   in Loop: Header=BB25_307 Depth=2
	s_or_b32 exec_lo, exec_lo, s3
	v_cmp_ngt_f32_e64 s3, 0x3f200000, |v101|
                                        ; implicit-def: $vgpr197
	s_delay_alu instid0(VALU_DEP_1) | instskip(NEXT) | instid1(SALU_CYCLE_1)
	s_and_saveexec_b32 s4, s3
	s_xor_b32 s3, exec_lo, s4
	s_cbranch_execz .LBB25_329
; %bb.328:                              ;   in Loop: Header=BB25_307 Depth=2
	v_add_f32_e64 v104, |v101|, |v101|
	s_delay_alu instid0(VALU_DEP_1) | instskip(SKIP_1) | instid1(VALU_DEP_2)
	v_mul_f32_e32 v105, 0x3fb8aa3b, v104
	v_cmp_ngt_f32_e32 vcc_lo, 0xc2ce8ed0, v104
	v_rndne_f32_e32 v106, v105
	v_fma_f32 v107, 0x3fb8aa3b, v104, -v105
	s_delay_alu instid0(VALU_DEP_2) | instskip(NEXT) | instid1(VALU_DEP_2)
	v_sub_f32_e32 v105, v105, v106
	v_fmac_f32_e32 v107, 0x32a5705f, v104
	v_cvt_i32_f32_e32 v106, v106
	s_delay_alu instid0(VALU_DEP_2) | instskip(NEXT) | instid1(VALU_DEP_1)
	v_add_f32_e32 v105, v105, v107
	v_exp_f32_e32 v105, v105
	s_waitcnt_depctr 0xfff
	v_ldexp_f32 v105, v105, v106
	s_delay_alu instid0(VALU_DEP_1) | instskip(SKIP_1) | instid1(VALU_DEP_2)
	v_cndmask_b32_e32 v105, 0, v105, vcc_lo
	v_cmp_nlt_f32_e32 vcc_lo, 0x42b17218, v104
	v_cndmask_b32_e32 v104, 0x7f800000, v105, vcc_lo
	s_delay_alu instid0(VALU_DEP_1) | instskip(NEXT) | instid1(VALU_DEP_1)
	v_add_f32_e32 v104, 1.0, v104
	v_rcp_f32_e32 v104, v104
	s_waitcnt_depctr 0xfff
	v_fma_f32 v197, v104, -2.0, 1.0
.LBB25_329:                             ;   in Loop: Header=BB25_307 Depth=2
	s_and_not1_saveexec_b32 s3, s3
; %bb.330:                              ;   in Loop: Header=BB25_307 Depth=2
	v_mul_f32_e32 v104, v101, v101
	s_delay_alu instid0(VALU_DEP_1) | instskip(NEXT) | instid1(VALU_DEP_1)
	v_fmaak_f32 v105, s49, v104, 0x3ca908c9
	v_fmaak_f32 v105, v104, v105, 0xbd5c1c4e
	s_delay_alu instid0(VALU_DEP_1) | instskip(NEXT) | instid1(VALU_DEP_1)
	v_fmaak_f32 v105, v104, v105, 0x3e088382
	v_fmaak_f32 v105, v104, v105, 0xbeaaaa99
	s_delay_alu instid0(VALU_DEP_1) | instskip(NEXT) | instid1(VALU_DEP_1)
	v_mul_f32_e64 v105, |v101|, v105
	v_fma_f32 v197, v104, v105, |v101|
; %bb.331:                              ;   in Loop: Header=BB25_307 Depth=2
	s_or_b32 exec_lo, exec_lo, s3
	v_cmp_ngt_f32_e64 s3, 0x3f200000, |v102|
                                        ; implicit-def: $vgpr198
	s_delay_alu instid0(VALU_DEP_1) | instskip(NEXT) | instid1(SALU_CYCLE_1)
	s_and_saveexec_b32 s4, s3
	s_xor_b32 s3, exec_lo, s4
	s_cbranch_execz .LBB25_333
; %bb.332:                              ;   in Loop: Header=BB25_307 Depth=2
	v_add_f32_e64 v104, |v102|, |v102|
	s_delay_alu instid0(VALU_DEP_1) | instskip(SKIP_1) | instid1(VALU_DEP_2)
	v_mul_f32_e32 v105, 0x3fb8aa3b, v104
	v_cmp_ngt_f32_e32 vcc_lo, 0xc2ce8ed0, v104
	v_rndne_f32_e32 v106, v105
	v_fma_f32 v107, 0x3fb8aa3b, v104, -v105
	s_delay_alu instid0(VALU_DEP_2) | instskip(NEXT) | instid1(VALU_DEP_2)
	v_sub_f32_e32 v105, v105, v106
	v_fmac_f32_e32 v107, 0x32a5705f, v104
	v_cvt_i32_f32_e32 v106, v106
	s_delay_alu instid0(VALU_DEP_2) | instskip(NEXT) | instid1(VALU_DEP_1)
	v_add_f32_e32 v105, v105, v107
	v_exp_f32_e32 v105, v105
	s_waitcnt_depctr 0xfff
	v_ldexp_f32 v105, v105, v106
	s_delay_alu instid0(VALU_DEP_1) | instskip(SKIP_1) | instid1(VALU_DEP_2)
	v_cndmask_b32_e32 v105, 0, v105, vcc_lo
	v_cmp_nlt_f32_e32 vcc_lo, 0x42b17218, v104
	v_cndmask_b32_e32 v104, 0x7f800000, v105, vcc_lo
	s_delay_alu instid0(VALU_DEP_1) | instskip(NEXT) | instid1(VALU_DEP_1)
	v_add_f32_e32 v104, 1.0, v104
	v_rcp_f32_e32 v104, v104
	s_waitcnt_depctr 0xfff
	v_fma_f32 v198, v104, -2.0, 1.0
.LBB25_333:                             ;   in Loop: Header=BB25_307 Depth=2
	s_and_not1_saveexec_b32 s3, s3
; %bb.334:                              ;   in Loop: Header=BB25_307 Depth=2
	v_mul_f32_e32 v104, v102, v102
	s_delay_alu instid0(VALU_DEP_1) | instskip(NEXT) | instid1(VALU_DEP_1)
	v_fmaak_f32 v105, s49, v104, 0x3ca908c9
	v_fmaak_f32 v105, v104, v105, 0xbd5c1c4e
	s_delay_alu instid0(VALU_DEP_1) | instskip(NEXT) | instid1(VALU_DEP_1)
	v_fmaak_f32 v105, v104, v105, 0x3e088382
	v_fmaak_f32 v105, v104, v105, 0xbeaaaa99
	s_delay_alu instid0(VALU_DEP_1) | instskip(NEXT) | instid1(VALU_DEP_1)
	v_mul_f32_e64 v105, |v102|, v105
	v_fma_f32 v198, v104, v105, |v102|
; %bb.335:                              ;   in Loop: Header=BB25_307 Depth=2
	s_or_b32 exec_lo, exec_lo, s3
	v_cmp_ngt_f32_e64 s3, 0x3f200000, |v103|
                                        ; implicit-def: $vgpr199
	s_delay_alu instid0(VALU_DEP_1) | instskip(NEXT) | instid1(SALU_CYCLE_1)
	s_and_saveexec_b32 s4, s3
	s_xor_b32 s3, exec_lo, s4
	s_cbranch_execz .LBB25_337
; %bb.336:                              ;   in Loop: Header=BB25_307 Depth=2
	v_add_f32_e64 v104, |v103|, |v103|
	s_delay_alu instid0(VALU_DEP_1) | instskip(SKIP_1) | instid1(VALU_DEP_2)
	v_mul_f32_e32 v105, 0x3fb8aa3b, v104
	v_cmp_ngt_f32_e32 vcc_lo, 0xc2ce8ed0, v104
	v_rndne_f32_e32 v106, v105
	v_fma_f32 v107, 0x3fb8aa3b, v104, -v105
	s_delay_alu instid0(VALU_DEP_2) | instskip(NEXT) | instid1(VALU_DEP_2)
	v_sub_f32_e32 v105, v105, v106
	v_fmac_f32_e32 v107, 0x32a5705f, v104
	v_cvt_i32_f32_e32 v106, v106
	s_delay_alu instid0(VALU_DEP_2) | instskip(NEXT) | instid1(VALU_DEP_1)
	v_add_f32_e32 v105, v105, v107
	v_exp_f32_e32 v105, v105
	s_waitcnt_depctr 0xfff
	v_ldexp_f32 v105, v105, v106
	s_delay_alu instid0(VALU_DEP_1) | instskip(SKIP_1) | instid1(VALU_DEP_2)
	v_cndmask_b32_e32 v105, 0, v105, vcc_lo
	v_cmp_nlt_f32_e32 vcc_lo, 0x42b17218, v104
	v_cndmask_b32_e32 v104, 0x7f800000, v105, vcc_lo
	s_delay_alu instid0(VALU_DEP_1) | instskip(NEXT) | instid1(VALU_DEP_1)
	v_add_f32_e32 v104, 1.0, v104
	v_rcp_f32_e32 v104, v104
	s_waitcnt_depctr 0xfff
	v_fma_f32 v199, v104, -2.0, 1.0
.LBB25_337:                             ;   in Loop: Header=BB25_307 Depth=2
	s_and_not1_saveexec_b32 s3, s3
; %bb.338:                              ;   in Loop: Header=BB25_307 Depth=2
	v_mul_f32_e32 v104, v103, v103
	s_delay_alu instid0(VALU_DEP_1) | instskip(NEXT) | instid1(VALU_DEP_1)
	v_fmaak_f32 v105, s49, v104, 0x3ca908c9
	v_fmaak_f32 v105, v104, v105, 0xbd5c1c4e
	s_delay_alu instid0(VALU_DEP_1) | instskip(NEXT) | instid1(VALU_DEP_1)
	v_fmaak_f32 v105, v104, v105, 0x3e088382
	v_fmaak_f32 v105, v104, v105, 0xbeaaaa99
	s_delay_alu instid0(VALU_DEP_1) | instskip(NEXT) | instid1(VALU_DEP_1)
	v_mul_f32_e64 v105, |v103|, v105
	v_fma_f32 v199, v104, v105, |v103|
; %bb.339:                              ;   in Loop: Header=BB25_307 Depth=2
	s_or_b32 exec_lo, exec_lo, s3
	v_dual_mov_b32 v207, s43 :: v_dual_mov_b32 v206, s42
	v_dual_mov_b32 v205, s41 :: v_dual_mov_b32 v204, s40
	;; [unrolled: 1-line block ×4, first 2 shown]
	s_delay_alu instid0(VALU_DEP_1) | instskip(NEXT) | instid1(VALU_DEP_1)
	v_wmma_f32_16x16x16_f16 v[104:111], v[168:175], v[40:47], v[200:207]
	v_wmma_f32_16x16x16_f16 v[104:111], v[160:167], v[32:39], v[104:111]
	s_delay_alu instid0(VALU_DEP_1) | instskip(NEXT) | instid1(VALU_DEP_1)
	v_wmma_f32_16x16x16_f16 v[104:111], v[152:159], v[48:55], v[104:111]
	v_wmma_f32_16x16x16_f16 v[104:111], v[144:151], v[56:63], v[104:111]
	;; [unrolled: 3-line block ×4, first 2 shown]
                                        ; implicit-def: $vgpr116
	s_delay_alu instid0(VALU_DEP_1) | instskip(NEXT) | instid1(VALU_DEP_1)
	v_cmp_ngt_f32_e64 s3, 0x3f200000, |v104|
	s_and_saveexec_b32 s4, s3
	s_delay_alu instid0(SALU_CYCLE_1)
	s_xor_b32 s3, exec_lo, s4
	s_cbranch_execz .LBB25_341
; %bb.340:                              ;   in Loop: Header=BB25_307 Depth=2
	v_add_f32_e64 v112, |v104|, |v104|
	s_delay_alu instid0(VALU_DEP_1) | instskip(SKIP_1) | instid1(VALU_DEP_2)
	v_mul_f32_e32 v113, 0x3fb8aa3b, v112
	v_cmp_ngt_f32_e32 vcc_lo, 0xc2ce8ed0, v112
	v_rndne_f32_e32 v114, v113
	v_fma_f32 v115, 0x3fb8aa3b, v112, -v113
	s_delay_alu instid0(VALU_DEP_2) | instskip(NEXT) | instid1(VALU_DEP_2)
	v_sub_f32_e32 v113, v113, v114
	v_fmac_f32_e32 v115, 0x32a5705f, v112
	v_cvt_i32_f32_e32 v114, v114
	s_delay_alu instid0(VALU_DEP_2) | instskip(NEXT) | instid1(VALU_DEP_1)
	v_add_f32_e32 v113, v113, v115
	v_exp_f32_e32 v113, v113
	s_waitcnt_depctr 0xfff
	v_ldexp_f32 v113, v113, v114
	s_delay_alu instid0(VALU_DEP_1) | instskip(SKIP_1) | instid1(VALU_DEP_2)
	v_cndmask_b32_e32 v113, 0, v113, vcc_lo
	v_cmp_nlt_f32_e32 vcc_lo, 0x42b17218, v112
	v_cndmask_b32_e32 v112, 0x7f800000, v113, vcc_lo
	s_delay_alu instid0(VALU_DEP_1) | instskip(NEXT) | instid1(VALU_DEP_1)
	v_add_f32_e32 v112, 1.0, v112
	v_rcp_f32_e32 v112, v112
	s_waitcnt_depctr 0xfff
	v_fma_f32 v116, v112, -2.0, 1.0
.LBB25_341:                             ;   in Loop: Header=BB25_307 Depth=2
	s_and_not1_saveexec_b32 s3, s3
; %bb.342:                              ;   in Loop: Header=BB25_307 Depth=2
	v_mul_f32_e32 v112, v104, v104
	s_delay_alu instid0(VALU_DEP_1) | instskip(NEXT) | instid1(VALU_DEP_1)
	v_fmaak_f32 v113, s49, v112, 0x3ca908c9
	v_fmaak_f32 v113, v112, v113, 0xbd5c1c4e
	s_delay_alu instid0(VALU_DEP_1) | instskip(NEXT) | instid1(VALU_DEP_1)
	v_fmaak_f32 v113, v112, v113, 0x3e088382
	v_fmaak_f32 v113, v112, v113, 0xbeaaaa99
	s_delay_alu instid0(VALU_DEP_1) | instskip(NEXT) | instid1(VALU_DEP_1)
	v_mul_f32_e64 v113, |v104|, v113
	v_fma_f32 v116, v112, v113, |v104|
; %bb.343:                              ;   in Loop: Header=BB25_307 Depth=2
	s_or_b32 exec_lo, exec_lo, s3
	v_cmp_ngt_f32_e64 s3, 0x3f200000, |v105|
                                        ; implicit-def: $vgpr117
	s_delay_alu instid0(VALU_DEP_1) | instskip(NEXT) | instid1(SALU_CYCLE_1)
	s_and_saveexec_b32 s4, s3
	s_xor_b32 s3, exec_lo, s4
	s_cbranch_execz .LBB25_345
; %bb.344:                              ;   in Loop: Header=BB25_307 Depth=2
	v_add_f32_e64 v112, |v105|, |v105|
	s_delay_alu instid0(VALU_DEP_1) | instskip(SKIP_1) | instid1(VALU_DEP_2)
	v_mul_f32_e32 v113, 0x3fb8aa3b, v112
	v_cmp_ngt_f32_e32 vcc_lo, 0xc2ce8ed0, v112
	v_rndne_f32_e32 v114, v113
	v_fma_f32 v115, 0x3fb8aa3b, v112, -v113
	s_delay_alu instid0(VALU_DEP_2) | instskip(NEXT) | instid1(VALU_DEP_2)
	v_sub_f32_e32 v113, v113, v114
	v_fmac_f32_e32 v115, 0x32a5705f, v112
	v_cvt_i32_f32_e32 v114, v114
	s_delay_alu instid0(VALU_DEP_2) | instskip(NEXT) | instid1(VALU_DEP_1)
	v_add_f32_e32 v113, v113, v115
	v_exp_f32_e32 v113, v113
	s_waitcnt_depctr 0xfff
	v_ldexp_f32 v113, v113, v114
	s_delay_alu instid0(VALU_DEP_1) | instskip(SKIP_1) | instid1(VALU_DEP_2)
	v_cndmask_b32_e32 v113, 0, v113, vcc_lo
	v_cmp_nlt_f32_e32 vcc_lo, 0x42b17218, v112
	v_cndmask_b32_e32 v112, 0x7f800000, v113, vcc_lo
	s_delay_alu instid0(VALU_DEP_1) | instskip(NEXT) | instid1(VALU_DEP_1)
	v_add_f32_e32 v112, 1.0, v112
	v_rcp_f32_e32 v112, v112
	s_waitcnt_depctr 0xfff
	v_fma_f32 v117, v112, -2.0, 1.0
.LBB25_345:                             ;   in Loop: Header=BB25_307 Depth=2
	s_and_not1_saveexec_b32 s3, s3
; %bb.346:                              ;   in Loop: Header=BB25_307 Depth=2
	v_mul_f32_e32 v112, v105, v105
	s_delay_alu instid0(VALU_DEP_1) | instskip(NEXT) | instid1(VALU_DEP_1)
	v_fmaak_f32 v113, s49, v112, 0x3ca908c9
	v_fmaak_f32 v113, v112, v113, 0xbd5c1c4e
	s_delay_alu instid0(VALU_DEP_1) | instskip(NEXT) | instid1(VALU_DEP_1)
	v_fmaak_f32 v113, v112, v113, 0x3e088382
	v_fmaak_f32 v113, v112, v113, 0xbeaaaa99
	s_delay_alu instid0(VALU_DEP_1) | instskip(NEXT) | instid1(VALU_DEP_1)
	v_mul_f32_e64 v113, |v105|, v113
	v_fma_f32 v117, v112, v113, |v105|
; %bb.347:                              ;   in Loop: Header=BB25_307 Depth=2
	s_or_b32 exec_lo, exec_lo, s3
	v_cmp_ngt_f32_e64 s3, 0x3f200000, |v106|
                                        ; implicit-def: $vgpr118
	s_delay_alu instid0(VALU_DEP_1) | instskip(NEXT) | instid1(SALU_CYCLE_1)
	s_and_saveexec_b32 s4, s3
	s_xor_b32 s3, exec_lo, s4
	s_cbranch_execz .LBB25_349
; %bb.348:                              ;   in Loop: Header=BB25_307 Depth=2
	v_add_f32_e64 v112, |v106|, |v106|
	s_delay_alu instid0(VALU_DEP_1) | instskip(SKIP_1) | instid1(VALU_DEP_2)
	v_mul_f32_e32 v113, 0x3fb8aa3b, v112
	v_cmp_ngt_f32_e32 vcc_lo, 0xc2ce8ed0, v112
	v_rndne_f32_e32 v114, v113
	v_fma_f32 v115, 0x3fb8aa3b, v112, -v113
	s_delay_alu instid0(VALU_DEP_2) | instskip(NEXT) | instid1(VALU_DEP_2)
	v_sub_f32_e32 v113, v113, v114
	v_fmac_f32_e32 v115, 0x32a5705f, v112
	v_cvt_i32_f32_e32 v114, v114
	s_delay_alu instid0(VALU_DEP_2) | instskip(NEXT) | instid1(VALU_DEP_1)
	v_add_f32_e32 v113, v113, v115
	v_exp_f32_e32 v113, v113
	s_waitcnt_depctr 0xfff
	v_ldexp_f32 v113, v113, v114
	s_delay_alu instid0(VALU_DEP_1) | instskip(SKIP_1) | instid1(VALU_DEP_2)
	v_cndmask_b32_e32 v113, 0, v113, vcc_lo
	v_cmp_nlt_f32_e32 vcc_lo, 0x42b17218, v112
	v_cndmask_b32_e32 v112, 0x7f800000, v113, vcc_lo
	s_delay_alu instid0(VALU_DEP_1) | instskip(NEXT) | instid1(VALU_DEP_1)
	v_add_f32_e32 v112, 1.0, v112
	v_rcp_f32_e32 v112, v112
	s_waitcnt_depctr 0xfff
	v_fma_f32 v118, v112, -2.0, 1.0
.LBB25_349:                             ;   in Loop: Header=BB25_307 Depth=2
	s_and_not1_saveexec_b32 s3, s3
; %bb.350:                              ;   in Loop: Header=BB25_307 Depth=2
	v_mul_f32_e32 v112, v106, v106
	s_delay_alu instid0(VALU_DEP_1) | instskip(NEXT) | instid1(VALU_DEP_1)
	v_fmaak_f32 v113, s49, v112, 0x3ca908c9
	v_fmaak_f32 v113, v112, v113, 0xbd5c1c4e
	s_delay_alu instid0(VALU_DEP_1) | instskip(NEXT) | instid1(VALU_DEP_1)
	v_fmaak_f32 v113, v112, v113, 0x3e088382
	v_fmaak_f32 v113, v112, v113, 0xbeaaaa99
	s_delay_alu instid0(VALU_DEP_1) | instskip(NEXT) | instid1(VALU_DEP_1)
	v_mul_f32_e64 v113, |v106|, v113
	v_fma_f32 v118, v112, v113, |v106|
; %bb.351:                              ;   in Loop: Header=BB25_307 Depth=2
	s_or_b32 exec_lo, exec_lo, s3
	v_cmp_ngt_f32_e64 s3, 0x3f200000, |v107|
                                        ; implicit-def: $vgpr119
	s_delay_alu instid0(VALU_DEP_1) | instskip(NEXT) | instid1(SALU_CYCLE_1)
	s_and_saveexec_b32 s4, s3
	s_xor_b32 s3, exec_lo, s4
	s_cbranch_execz .LBB25_353
; %bb.352:                              ;   in Loop: Header=BB25_307 Depth=2
	v_add_f32_e64 v112, |v107|, |v107|
	s_delay_alu instid0(VALU_DEP_1) | instskip(SKIP_1) | instid1(VALU_DEP_2)
	v_mul_f32_e32 v113, 0x3fb8aa3b, v112
	v_cmp_ngt_f32_e32 vcc_lo, 0xc2ce8ed0, v112
	v_rndne_f32_e32 v114, v113
	v_fma_f32 v115, 0x3fb8aa3b, v112, -v113
	s_delay_alu instid0(VALU_DEP_2) | instskip(NEXT) | instid1(VALU_DEP_2)
	v_sub_f32_e32 v113, v113, v114
	v_fmac_f32_e32 v115, 0x32a5705f, v112
	v_cvt_i32_f32_e32 v114, v114
	s_delay_alu instid0(VALU_DEP_2) | instskip(NEXT) | instid1(VALU_DEP_1)
	v_add_f32_e32 v113, v113, v115
	v_exp_f32_e32 v113, v113
	s_waitcnt_depctr 0xfff
	v_ldexp_f32 v113, v113, v114
	s_delay_alu instid0(VALU_DEP_1) | instskip(SKIP_1) | instid1(VALU_DEP_2)
	v_cndmask_b32_e32 v113, 0, v113, vcc_lo
	v_cmp_nlt_f32_e32 vcc_lo, 0x42b17218, v112
	v_cndmask_b32_e32 v112, 0x7f800000, v113, vcc_lo
	s_delay_alu instid0(VALU_DEP_1) | instskip(NEXT) | instid1(VALU_DEP_1)
	v_add_f32_e32 v112, 1.0, v112
	v_rcp_f32_e32 v112, v112
	s_waitcnt_depctr 0xfff
	v_fma_f32 v119, v112, -2.0, 1.0
.LBB25_353:                             ;   in Loop: Header=BB25_307 Depth=2
	s_and_not1_saveexec_b32 s3, s3
; %bb.354:                              ;   in Loop: Header=BB25_307 Depth=2
	v_mul_f32_e32 v112, v107, v107
	s_delay_alu instid0(VALU_DEP_1) | instskip(NEXT) | instid1(VALU_DEP_1)
	v_fmaak_f32 v113, s49, v112, 0x3ca908c9
	v_fmaak_f32 v113, v112, v113, 0xbd5c1c4e
	s_delay_alu instid0(VALU_DEP_1) | instskip(NEXT) | instid1(VALU_DEP_1)
	v_fmaak_f32 v113, v112, v113, 0x3e088382
	v_fmaak_f32 v113, v112, v113, 0xbeaaaa99
	s_delay_alu instid0(VALU_DEP_1) | instskip(NEXT) | instid1(VALU_DEP_1)
	v_mul_f32_e64 v113, |v107|, v113
	v_fma_f32 v119, v112, v113, |v107|
; %bb.355:                              ;   in Loop: Header=BB25_307 Depth=2
	s_or_b32 exec_lo, exec_lo, s3
	v_cmp_ngt_f32_e64 s3, 0x3f200000, |v108|
                                        ; implicit-def: $vgpr120
	s_delay_alu instid0(VALU_DEP_1) | instskip(NEXT) | instid1(SALU_CYCLE_1)
	s_and_saveexec_b32 s4, s3
	s_xor_b32 s3, exec_lo, s4
	s_cbranch_execz .LBB25_357
; %bb.356:                              ;   in Loop: Header=BB25_307 Depth=2
	v_add_f32_e64 v112, |v108|, |v108|
	s_delay_alu instid0(VALU_DEP_1) | instskip(SKIP_1) | instid1(VALU_DEP_2)
	v_mul_f32_e32 v113, 0x3fb8aa3b, v112
	v_cmp_ngt_f32_e32 vcc_lo, 0xc2ce8ed0, v112
	v_rndne_f32_e32 v114, v113
	v_fma_f32 v115, 0x3fb8aa3b, v112, -v113
	s_delay_alu instid0(VALU_DEP_2) | instskip(NEXT) | instid1(VALU_DEP_2)
	v_sub_f32_e32 v113, v113, v114
	v_fmac_f32_e32 v115, 0x32a5705f, v112
	v_cvt_i32_f32_e32 v114, v114
	s_delay_alu instid0(VALU_DEP_2) | instskip(NEXT) | instid1(VALU_DEP_1)
	v_add_f32_e32 v113, v113, v115
	v_exp_f32_e32 v113, v113
	s_waitcnt_depctr 0xfff
	v_ldexp_f32 v113, v113, v114
	s_delay_alu instid0(VALU_DEP_1) | instskip(SKIP_1) | instid1(VALU_DEP_2)
	v_cndmask_b32_e32 v113, 0, v113, vcc_lo
	v_cmp_nlt_f32_e32 vcc_lo, 0x42b17218, v112
	v_cndmask_b32_e32 v112, 0x7f800000, v113, vcc_lo
	s_delay_alu instid0(VALU_DEP_1) | instskip(NEXT) | instid1(VALU_DEP_1)
	v_add_f32_e32 v112, 1.0, v112
	v_rcp_f32_e32 v112, v112
	s_waitcnt_depctr 0xfff
	v_fma_f32 v120, v112, -2.0, 1.0
.LBB25_357:                             ;   in Loop: Header=BB25_307 Depth=2
	s_and_not1_saveexec_b32 s3, s3
; %bb.358:                              ;   in Loop: Header=BB25_307 Depth=2
	v_mul_f32_e32 v112, v108, v108
	s_delay_alu instid0(VALU_DEP_1) | instskip(NEXT) | instid1(VALU_DEP_1)
	v_fmaak_f32 v113, s49, v112, 0x3ca908c9
	v_fmaak_f32 v113, v112, v113, 0xbd5c1c4e
	s_delay_alu instid0(VALU_DEP_1) | instskip(NEXT) | instid1(VALU_DEP_1)
	v_fmaak_f32 v113, v112, v113, 0x3e088382
	v_fmaak_f32 v113, v112, v113, 0xbeaaaa99
	s_delay_alu instid0(VALU_DEP_1) | instskip(NEXT) | instid1(VALU_DEP_1)
	v_mul_f32_e64 v113, |v108|, v113
	v_fma_f32 v120, v112, v113, |v108|
; %bb.359:                              ;   in Loop: Header=BB25_307 Depth=2
	s_or_b32 exec_lo, exec_lo, s3
	v_cmp_ngt_f32_e64 s3, 0x3f200000, |v109|
                                        ; implicit-def: $vgpr121
	s_delay_alu instid0(VALU_DEP_1) | instskip(NEXT) | instid1(SALU_CYCLE_1)
	s_and_saveexec_b32 s4, s3
	s_xor_b32 s3, exec_lo, s4
	s_cbranch_execz .LBB25_361
; %bb.360:                              ;   in Loop: Header=BB25_307 Depth=2
	v_add_f32_e64 v112, |v109|, |v109|
	s_delay_alu instid0(VALU_DEP_1) | instskip(SKIP_1) | instid1(VALU_DEP_2)
	v_mul_f32_e32 v113, 0x3fb8aa3b, v112
	v_cmp_ngt_f32_e32 vcc_lo, 0xc2ce8ed0, v112
	v_rndne_f32_e32 v114, v113
	v_fma_f32 v115, 0x3fb8aa3b, v112, -v113
	s_delay_alu instid0(VALU_DEP_2) | instskip(NEXT) | instid1(VALU_DEP_2)
	v_sub_f32_e32 v113, v113, v114
	v_fmac_f32_e32 v115, 0x32a5705f, v112
	v_cvt_i32_f32_e32 v114, v114
	s_delay_alu instid0(VALU_DEP_2) | instskip(NEXT) | instid1(VALU_DEP_1)
	v_add_f32_e32 v113, v113, v115
	v_exp_f32_e32 v113, v113
	s_waitcnt_depctr 0xfff
	v_ldexp_f32 v113, v113, v114
	s_delay_alu instid0(VALU_DEP_1) | instskip(SKIP_1) | instid1(VALU_DEP_2)
	v_cndmask_b32_e32 v113, 0, v113, vcc_lo
	v_cmp_nlt_f32_e32 vcc_lo, 0x42b17218, v112
	v_cndmask_b32_e32 v112, 0x7f800000, v113, vcc_lo
	s_delay_alu instid0(VALU_DEP_1) | instskip(NEXT) | instid1(VALU_DEP_1)
	v_add_f32_e32 v112, 1.0, v112
	v_rcp_f32_e32 v112, v112
	s_waitcnt_depctr 0xfff
	v_fma_f32 v121, v112, -2.0, 1.0
.LBB25_361:                             ;   in Loop: Header=BB25_307 Depth=2
	s_and_not1_saveexec_b32 s3, s3
; %bb.362:                              ;   in Loop: Header=BB25_307 Depth=2
	v_mul_f32_e32 v112, v109, v109
	s_delay_alu instid0(VALU_DEP_1) | instskip(NEXT) | instid1(VALU_DEP_1)
	v_fmaak_f32 v113, s49, v112, 0x3ca908c9
	v_fmaak_f32 v113, v112, v113, 0xbd5c1c4e
	s_delay_alu instid0(VALU_DEP_1) | instskip(NEXT) | instid1(VALU_DEP_1)
	v_fmaak_f32 v113, v112, v113, 0x3e088382
	v_fmaak_f32 v113, v112, v113, 0xbeaaaa99
	s_delay_alu instid0(VALU_DEP_1) | instskip(NEXT) | instid1(VALU_DEP_1)
	v_mul_f32_e64 v113, |v109|, v113
	v_fma_f32 v121, v112, v113, |v109|
; %bb.363:                              ;   in Loop: Header=BB25_307 Depth=2
	s_or_b32 exec_lo, exec_lo, s3
	v_cmp_ngt_f32_e64 s3, 0x3f200000, |v110|
                                        ; implicit-def: $vgpr122
	s_delay_alu instid0(VALU_DEP_1) | instskip(NEXT) | instid1(SALU_CYCLE_1)
	s_and_saveexec_b32 s4, s3
	s_xor_b32 s3, exec_lo, s4
	s_cbranch_execz .LBB25_365
; %bb.364:                              ;   in Loop: Header=BB25_307 Depth=2
	v_add_f32_e64 v112, |v110|, |v110|
	s_delay_alu instid0(VALU_DEP_1) | instskip(SKIP_1) | instid1(VALU_DEP_2)
	v_mul_f32_e32 v113, 0x3fb8aa3b, v112
	v_cmp_ngt_f32_e32 vcc_lo, 0xc2ce8ed0, v112
	v_rndne_f32_e32 v114, v113
	v_fma_f32 v115, 0x3fb8aa3b, v112, -v113
	s_delay_alu instid0(VALU_DEP_2) | instskip(NEXT) | instid1(VALU_DEP_2)
	v_sub_f32_e32 v113, v113, v114
	v_fmac_f32_e32 v115, 0x32a5705f, v112
	v_cvt_i32_f32_e32 v114, v114
	s_delay_alu instid0(VALU_DEP_2) | instskip(NEXT) | instid1(VALU_DEP_1)
	v_add_f32_e32 v113, v113, v115
	v_exp_f32_e32 v113, v113
	s_waitcnt_depctr 0xfff
	v_ldexp_f32 v113, v113, v114
	s_delay_alu instid0(VALU_DEP_1) | instskip(SKIP_1) | instid1(VALU_DEP_2)
	v_cndmask_b32_e32 v113, 0, v113, vcc_lo
	v_cmp_nlt_f32_e32 vcc_lo, 0x42b17218, v112
	v_cndmask_b32_e32 v112, 0x7f800000, v113, vcc_lo
	s_delay_alu instid0(VALU_DEP_1) | instskip(NEXT) | instid1(VALU_DEP_1)
	v_add_f32_e32 v112, 1.0, v112
	v_rcp_f32_e32 v112, v112
	s_waitcnt_depctr 0xfff
	v_fma_f32 v122, v112, -2.0, 1.0
.LBB25_365:                             ;   in Loop: Header=BB25_307 Depth=2
	s_and_not1_saveexec_b32 s3, s3
; %bb.366:                              ;   in Loop: Header=BB25_307 Depth=2
	v_mul_f32_e32 v112, v110, v110
	s_delay_alu instid0(VALU_DEP_1) | instskip(NEXT) | instid1(VALU_DEP_1)
	v_fmaak_f32 v113, s49, v112, 0x3ca908c9
	v_fmaak_f32 v113, v112, v113, 0xbd5c1c4e
	s_delay_alu instid0(VALU_DEP_1) | instskip(NEXT) | instid1(VALU_DEP_1)
	v_fmaak_f32 v113, v112, v113, 0x3e088382
	v_fmaak_f32 v113, v112, v113, 0xbeaaaa99
	s_delay_alu instid0(VALU_DEP_1) | instskip(NEXT) | instid1(VALU_DEP_1)
	v_mul_f32_e64 v113, |v110|, v113
	v_fma_f32 v122, v112, v113, |v110|
; %bb.367:                              ;   in Loop: Header=BB25_307 Depth=2
	s_or_b32 exec_lo, exec_lo, s3
	v_cmp_ngt_f32_e64 s3, 0x3f200000, |v111|
                                        ; implicit-def: $vgpr123
	s_delay_alu instid0(VALU_DEP_1) | instskip(NEXT) | instid1(SALU_CYCLE_1)
	s_and_saveexec_b32 s4, s3
	s_xor_b32 s3, exec_lo, s4
	s_cbranch_execz .LBB25_369
; %bb.368:                              ;   in Loop: Header=BB25_307 Depth=2
	v_add_f32_e64 v112, |v111|, |v111|
	s_delay_alu instid0(VALU_DEP_1) | instskip(SKIP_1) | instid1(VALU_DEP_2)
	v_mul_f32_e32 v113, 0x3fb8aa3b, v112
	v_cmp_ngt_f32_e32 vcc_lo, 0xc2ce8ed0, v112
	v_rndne_f32_e32 v114, v113
	v_fma_f32 v115, 0x3fb8aa3b, v112, -v113
	s_delay_alu instid0(VALU_DEP_2) | instskip(NEXT) | instid1(VALU_DEP_2)
	v_sub_f32_e32 v113, v113, v114
	v_fmac_f32_e32 v115, 0x32a5705f, v112
	v_cvt_i32_f32_e32 v114, v114
	s_delay_alu instid0(VALU_DEP_2) | instskip(NEXT) | instid1(VALU_DEP_1)
	v_add_f32_e32 v113, v113, v115
	v_exp_f32_e32 v113, v113
	s_waitcnt_depctr 0xfff
	v_ldexp_f32 v113, v113, v114
	s_delay_alu instid0(VALU_DEP_1) | instskip(SKIP_1) | instid1(VALU_DEP_2)
	v_cndmask_b32_e32 v113, 0, v113, vcc_lo
	v_cmp_nlt_f32_e32 vcc_lo, 0x42b17218, v112
	v_cndmask_b32_e32 v112, 0x7f800000, v113, vcc_lo
	s_delay_alu instid0(VALU_DEP_1) | instskip(NEXT) | instid1(VALU_DEP_1)
	v_add_f32_e32 v112, 1.0, v112
	v_rcp_f32_e32 v112, v112
	s_waitcnt_depctr 0xfff
	v_fma_f32 v123, v112, -2.0, 1.0
.LBB25_369:                             ;   in Loop: Header=BB25_307 Depth=2
	s_and_not1_saveexec_b32 s3, s3
; %bb.370:                              ;   in Loop: Header=BB25_307 Depth=2
	v_mul_f32_e32 v112, v111, v111
	s_delay_alu instid0(VALU_DEP_1) | instskip(NEXT) | instid1(VALU_DEP_1)
	v_fmaak_f32 v113, s49, v112, 0x3ca908c9
	v_fmaak_f32 v113, v112, v113, 0xbd5c1c4e
	s_delay_alu instid0(VALU_DEP_1) | instskip(NEXT) | instid1(VALU_DEP_1)
	v_fmaak_f32 v113, v112, v113, 0x3e088382
	v_fmaak_f32 v113, v112, v113, 0xbeaaaa99
	s_delay_alu instid0(VALU_DEP_1) | instskip(NEXT) | instid1(VALU_DEP_1)
	v_mul_f32_e64 v113, |v111|, v113
	v_fma_f32 v123, v112, v113, |v111|
; %bb.371:                              ;   in Loop: Header=BB25_307 Depth=2
	s_or_b32 exec_lo, exec_lo, s3
	v_bfi_b32 v112, 0x7fffffff, v191, v96
	v_bfi_b32 v96, 0x7fffffff, v116, v104
	;; [unrolled: 1-line block ×3, first 2 shown]
	v_add_co_u32 v108, vcc_lo, v233, v213
	v_bfi_b32 v113, 0x7fffffff, v235, v97
	v_bfi_b32 v97, 0x7fffffff, v117, v105
	;; [unrolled: 1-line block ×3, first 2 shown]
	v_add_co_ci_u32_e32 v109, vcc_lo, 0, v242, vcc_lo
	v_add_co_u32 v116, vcc_lo, v227, v213
	v_add_co_ci_u32_e32 v117, vcc_lo, 0, v251, vcc_lo
	v_bfi_b32 v114, 0x7fffffff, v194, v98
	v_bfi_b32 v115, 0x7fffffff, v195, v99
	;; [unrolled: 1-line block ×9, first 2 shown]
	ds_load_u16 v120, v246 offset:17408
	ds_load_u16 v121, v246 offset:17412
	;; [unrolled: 1-line block ×16, first 2 shown]
	global_load_b128 v[108:111], v[108:109], off
	global_load_b128 v[116:119], v[116:117], off
	v_bfi_b32 v103, 0x7fffffff, v199, v103
	v_cmp_eq_u32_e64 s4, 0, v241
	v_cmp_eq_u32_e64 s5, 1, v241
	v_add_nc_u32_e32 v148, 0x400, v247
	v_add_nc_u32_e32 v146, 0x800, v247
	s_add_i32 s14, s14, -1
	s_waitcnt vmcnt(1)
	ds_store_b128 v245, v[108:111]
	s_waitcnt vmcnt(0)
	ds_store_b128 v238, v[116:119]
	v_add_co_u32 v108, vcc_lo, v236, v213
	v_add_co_ci_u32_e32 v109, vcc_lo, 0, v240, vcc_lo
	v_add_co_u32 v116, vcc_lo, v252, v213
	v_add_co_ci_u32_e32 v117, vcc_lo, 0, v231, vcc_lo
	global_load_b128 v[108:111], v[108:109], off
	global_load_b128 v[116:119], v[116:117], off
	s_waitcnt lgkmcnt(10)
	v_fma_mix_f32 v103, v103, s33, v127 op_sel_hi:[0,0,1]
	s_waitcnt lgkmcnt(9)
	v_fma_mix_f32 v143, v96, s33, v128 op_sel_hi:[0,0,1]
	;; [unrolled: 2-line block ×6, first 2 shown]
	v_add_f32_e32 v96, 0x40051340, v143
	s_waitcnt lgkmcnt(4)
	v_fma_mix_f32 v139, v105, s33, v133 op_sel_hi:[0,0,1]
	s_waitcnt lgkmcnt(3)
	v_fma_mix_f32 v136, v106, s33, v134 op_sel_hi:[0,0,1]
	;; [unrolled: 2-line block ×3, first 2 shown]
	s_cmp_lg_u32 s14, 0
	s_waitcnt vmcnt(1)
	ds_store_b128 v239, v[108:111]
	s_waitcnt vmcnt(0)
	ds_store_b128 v216, v[116:119]
	v_add_co_u32 v108, vcc_lo, v230, v213
	v_add_co_ci_u32_e32 v109, vcc_lo, 0, v221, vcc_lo
	v_add_f32_e32 v97, 0x40051340, v144
	v_add_nc_u32_e32 v147, 0xc00, v247
	global_load_b128 v[108:111], v[108:109], off
	s_waitcnt vmcnt(0)
	ds_store_b128 v214, v[108:111]
	v_add_co_u32 v108, vcc_lo, v222, v213
	v_add_co_ci_u32_e32 v109, vcc_lo, 0, v223, vcc_lo
	global_load_b128 v[108:111], v[108:109], off
	s_waitcnt vmcnt(0)
	ds_store_b128 v212, v[108:111]
	v_add_co_u32 v108, vcc_lo, v224, v213
	v_add_co_ci_u32_e32 v109, vcc_lo, 0, v232, vcc_lo
	;; [unrolled: 5-line block ×3, first 2 shown]
	global_load_b128 v[108:111], v[108:109], off
	s_waitcnt vmcnt(0)
	ds_store_b128 v210, v[108:111]
	v_fma_mix_f32 v108, v112, s33, v120 op_sel_hi:[0,0,1]
	v_fma_mix_f32 v109, v113, s33, v121 op_sel_hi:[0,0,1]
	v_fma_mix_f32 v110, v114, s33, v122 op_sel_hi:[0,0,1]
	v_fma_mix_f32 v111, v115, s33, v123 op_sel_hi:[0,0,1]
	s_waitcnt lgkmcnt(0)
	s_delay_alu instid0(VALU_DEP_3) | instskip(SKIP_1) | instid1(VALU_DEP_2)
	v_dual_add_f32 v112, 0x40051340, v108 :: v_dual_add_f32 v113, 0x40051340, v109
	s_barrier
	v_add_f32_e32 v114, 0x40051340, v111
	buffer_gl0_inv
	v_max3_f32 v112, v193, v112, v113
	v_add_f32_e32 v113, 0x40051340, v110
	s_delay_alu instid0(VALU_DEP_1) | instskip(SKIP_2) | instid1(VALU_DEP_1)
	v_max3_f32 v112, v112, v113, v114
	v_fma_mix_f32 v113, v99, s33, v124 op_sel_hi:[0,0,1]
	v_fma_mix_f32 v114, v100, s33, v125 op_sel_hi:[0,0,1]
	v_dual_add_f32 v99, 0x40051340, v113 :: v_dual_add_f32 v100, 0x40051340, v114
	s_delay_alu instid0(VALU_DEP_1) | instskip(SKIP_2) | instid1(VALU_DEP_2)
	v_max3_f32 v99, v112, v99, v100
	v_fma_mix_f32 v112, v98, s33, v126 op_sel_hi:[0,0,1]
	v_add_f32_e32 v100, 0x40051340, v103
	v_add_f32_e32 v98, 0x40051340, v112
	s_delay_alu instid0(VALU_DEP_1) | instskip(NEXT) | instid1(VALU_DEP_1)
	v_max3_f32 v98, v99, v98, v100
	v_max3_f32 v96, v98, v96, v97
	v_dual_add_f32 v97, 0x40051340, v142 :: v_dual_add_f32 v98, 0x40051340, v141
	s_delay_alu instid0(VALU_DEP_1) | instskip(SKIP_1) | instid1(VALU_DEP_1)
	v_max3_f32 v96, v96, v97, v98
	v_dual_add_f32 v97, 0x40051340, v140 :: v_dual_add_f32 v98, 0x40051340, v139
	v_max3_f32 v96, v96, v97, v98
	v_dual_add_f32 v97, 0x40051340, v136 :: v_dual_add_f32 v98, 0x40051340, v135
	s_delay_alu instid0(VALU_DEP_1) | instskip(SKIP_3) | instid1(VALU_DEP_1)
	v_max3_f32 v96, v96, v97, v98
	ds_bpermute_b32 v97, v228, v96
	s_waitcnt lgkmcnt(0)
	v_max_f32_e32 v97, v97, v97
	v_max_f32_e32 v191, v96, v97
	s_delay_alu instid0(VALU_DEP_1) | instskip(SKIP_1) | instid1(VALU_DEP_2)
	v_sub_f32_e32 v96, v109, v191
	v_sub_f32_e32 v103, v103, v191
	v_mul_f32_e32 v97, 0x3fb8aa3b, v96
	s_delay_alu instid0(VALU_DEP_1) | instskip(SKIP_1) | instid1(VALU_DEP_1)
	v_fma_f32 v98, 0x3fb8aa3b, v96, -v97
	v_rndne_f32_e32 v99, v97
	v_dual_fmac_f32 v98, 0x32a5705f, v96 :: v_dual_sub_f32 v97, v97, v99
	v_cvt_i32_f32_e32 v99, v99
	s_delay_alu instid0(VALU_DEP_2) | instskip(NEXT) | instid1(VALU_DEP_1)
	v_dual_add_f32 v97, v97, v98 :: v_dual_sub_f32 v98, v108, v191
	v_mul_f32_e32 v100, 0x3fb8aa3b, v98
	v_cmp_ngt_f32_e64 s3, 0xc2ce8ed0, v98
	s_delay_alu instid0(VALU_DEP_2) | instskip(SKIP_1) | instid1(VALU_DEP_2)
	v_fma_f32 v101, 0x3fb8aa3b, v98, -v100
	v_rndne_f32_e32 v102, v100
	v_fmac_f32_e32 v101, 0x32a5705f, v98
	s_delay_alu instid0(VALU_DEP_2) | instskip(SKIP_1) | instid1(VALU_DEP_2)
	v_sub_f32_e32 v100, v100, v102
	v_cmp_ngt_f32_e32 vcc_lo, 0xc2ce8ed0, v96
	v_add_f32_e32 v100, v100, v101
	v_exp_f32_e32 v97, v97
	s_waitcnt_depctr 0xfff
	v_ldexp_f32 v97, v97, v99
	v_exp_f32_e32 v99, v100
	v_cvt_i32_f32_e32 v100, v102
	s_delay_alu instid0(VALU_DEP_2) | instskip(SKIP_1) | instid1(VALU_DEP_2)
	v_cndmask_b32_e32 v97, 0, v97, vcc_lo
	v_cmp_nlt_f32_e32 vcc_lo, 0x42b17218, v96
	v_cndmask_b32_e32 v129, 0x7f800000, v97, vcc_lo
	s_waitcnt_depctr 0xfff
	v_ldexp_f32 v99, v99, v100
	v_cmp_eq_u32_e32 vcc_lo, 1, v177
	s_delay_alu instid0(VALU_DEP_2)
	v_cndmask_b32_e64 v96, 0, v99, s3
	v_cmp_nlt_f32_e64 s3, 0x42b17218, v98
	ds_bpermute_b32 v98, v228, v129
	v_cndmask_b32_e64 v128, 0x7f800000, v96, s3
	v_cmp_eq_u32_e64 s3, 0, v177
	ds_bpermute_b32 v96, v228, v128
	s_waitcnt lgkmcnt(0)
	v_cndmask_b32_e64 v97, v128, v96, s3
	v_cndmask_b32_e32 v96, v128, v96, vcc_lo
	s_delay_alu instid0(VALU_DEP_2) | instskip(NEXT) | instid1(VALU_DEP_2)
	v_cndmask_b32_e64 v99, v97, v129, s4
	v_cndmask_b32_e64 v100, v96, v129, s5
	v_cvt_f16_f32_e32 v97, v97
	v_cvt_f16_f32_e32 v96, v96
	s_delay_alu instid0(VALU_DEP_4) | instskip(NEXT) | instid1(VALU_DEP_4)
	v_cndmask_b32_e64 v99, v99, v98, s3
	v_cndmask_b32_e32 v98, v100, v98, vcc_lo
	s_delay_alu instid0(VALU_DEP_3) | instskip(NEXT) | instid1(VALU_DEP_3)
	v_pack_b32_f16 v96, v97, v96
	v_cvt_f16_f32_e32 v100, v99
	s_delay_alu instid0(VALU_DEP_3) | instskip(NEXT) | instid1(VALU_DEP_1)
	v_cvt_f16_f32_e32 v101, v98
	v_pack_b32_f16 v97, v100, v101
	v_sub_f32_e32 v100, v110, v191
	s_delay_alu instid0(VALU_DEP_1) | instskip(NEXT) | instid1(VALU_DEP_1)
	v_mul_f32_e32 v101, 0x3fb8aa3b, v100
	v_fma_f32 v102, 0x3fb8aa3b, v100, -v101
	v_rndne_f32_e32 v104, v101
	s_delay_alu instid0(VALU_DEP_1) | instskip(NEXT) | instid1(VALU_DEP_3)
	v_sub_f32_e32 v101, v101, v104
	v_fmac_f32_e32 v102, 0x32a5705f, v100
	v_cmp_ngt_f32_e64 s6, 0xc2ce8ed0, v100
	s_delay_alu instid0(VALU_DEP_2) | instskip(SKIP_1) | instid1(VALU_DEP_2)
	v_add_f32_e32 v101, v101, v102
	v_cvt_i32_f32_e32 v102, v104
	v_exp_f32_e32 v101, v101
	s_waitcnt_depctr 0xfff
	v_ldexp_f32 v101, v101, v102
	s_delay_alu instid0(VALU_DEP_1) | instskip(SKIP_1) | instid1(VALU_DEP_1)
	v_cndmask_b32_e64 v101, 0, v101, s6
	v_cmp_nlt_f32_e64 s6, 0x42b17218, v100
	v_cndmask_b32_e64 v130, 0x7f800000, v101, s6
	ds_bpermute_b32 v100, v228, v130
	v_cndmask_b32_e64 v99, v99, v130, s4
	v_cndmask_b32_e64 v98, v98, v130, s5
	s_waitcnt lgkmcnt(0)
	s_delay_alu instid0(VALU_DEP_2) | instskip(NEXT) | instid1(VALU_DEP_2)
	v_cndmask_b32_e64 v99, v99, v100, s3
	v_cndmask_b32_e32 v100, v98, v100, vcc_lo
	s_delay_alu instid0(VALU_DEP_2) | instskip(NEXT) | instid1(VALU_DEP_2)
	v_cvt_f16_f32_e32 v98, v99
	v_cvt_f16_f32_e32 v101, v100
	s_delay_alu instid0(VALU_DEP_1) | instskip(SKIP_1) | instid1(VALU_DEP_1)
	v_pack_b32_f16 v98, v98, v101
	v_sub_f32_e32 v101, v111, v191
	v_mul_f32_e32 v102, 0x3fb8aa3b, v101
	v_cmp_ngt_f32_e64 s6, 0xc2ce8ed0, v101
	s_delay_alu instid0(VALU_DEP_2) | instskip(SKIP_1) | instid1(VALU_DEP_2)
	v_fma_f32 v104, 0x3fb8aa3b, v101, -v102
	v_rndne_f32_e32 v105, v102
	v_fmac_f32_e32 v104, 0x32a5705f, v101
	s_delay_alu instid0(VALU_DEP_2) | instskip(NEXT) | instid1(VALU_DEP_1)
	v_sub_f32_e32 v102, v102, v105
	v_add_f32_e32 v102, v102, v104
	v_cvt_i32_f32_e32 v104, v105
	s_delay_alu instid0(VALU_DEP_2) | instskip(SKIP_2) | instid1(VALU_DEP_1)
	v_exp_f32_e32 v102, v102
	s_waitcnt_depctr 0xfff
	v_ldexp_f32 v102, v102, v104
	v_cndmask_b32_e64 v102, 0, v102, s6
	v_cmp_nlt_f32_e64 s6, 0x42b17218, v101
	s_delay_alu instid0(VALU_DEP_1) | instskip(SKIP_4) | instid1(VALU_DEP_2)
	v_cndmask_b32_e64 v131, 0x7f800000, v102, s6
	ds_bpermute_b32 v101, v228, v131
	v_cndmask_b32_e64 v99, v99, v131, s4
	v_cndmask_b32_e64 v100, v100, v131, s5
	s_waitcnt lgkmcnt(0)
	v_cndmask_b32_e64 v102, v99, v101, s3
	s_delay_alu instid0(VALU_DEP_2) | instskip(NEXT) | instid1(VALU_DEP_2)
	v_cndmask_b32_e32 v100, v100, v101, vcc_lo
	v_cvt_f16_f32_e32 v99, v102
	s_delay_alu instid0(VALU_DEP_2) | instskip(NEXT) | instid1(VALU_DEP_1)
	v_cvt_f16_f32_e32 v101, v100
	v_pack_b32_f16 v99, v99, v101
	v_sub_f32_e32 v101, v113, v191
	s_delay_alu instid0(VALU_DEP_1) | instskip(SKIP_1) | instid1(VALU_DEP_2)
	v_mul_f32_e32 v104, 0x3fb8aa3b, v101
	v_cmp_ngt_f32_e64 s6, 0xc2ce8ed0, v101
	v_fma_f32 v105, 0x3fb8aa3b, v101, -v104
	v_rndne_f32_e32 v106, v104
	s_delay_alu instid0(VALU_DEP_1) | instskip(NEXT) | instid1(VALU_DEP_1)
	v_dual_fmac_f32 v105, 0x32a5705f, v101 :: v_dual_sub_f32 v104, v104, v106
	v_add_f32_e32 v104, v104, v105
	v_cvt_i32_f32_e32 v105, v106
	s_delay_alu instid0(VALU_DEP_2) | instskip(SKIP_2) | instid1(VALU_DEP_1)
	v_exp_f32_e32 v104, v104
	s_waitcnt_depctr 0xfff
	v_ldexp_f32 v104, v104, v105
	v_cndmask_b32_e64 v104, 0, v104, s6
	v_cmp_nlt_f32_e64 s6, 0x42b17218, v101
	s_delay_alu instid0(VALU_DEP_1) | instskip(NEXT) | instid1(VALU_DEP_1)
	v_cndmask_b32_e64 v132, 0x7f800000, v104, s6
	v_cndmask_b32_e64 v101, v102, v132, s4
	ds_bpermute_b32 v102, v228, v132
	v_cndmask_b32_e64 v100, v100, v132, s5
	s_waitcnt lgkmcnt(0)
	v_cndmask_b32_e64 v101, v101, v102, s3
	s_delay_alu instid0(VALU_DEP_2) | instskip(NEXT) | instid1(VALU_DEP_2)
	v_cndmask_b32_e32 v102, v100, v102, vcc_lo
	v_cvt_f16_f32_e32 v100, v101
	s_delay_alu instid0(VALU_DEP_2) | instskip(NEXT) | instid1(VALU_DEP_1)
	v_cvt_f16_f32_e32 v104, v102
	v_pack_b32_f16 v100, v100, v104
	v_sub_f32_e32 v104, v114, v191
	ds_load_2addr_b32 v[114:115], v247 offset1:16
	ds_load_2addr_b32 v[116:117], v247 offset0:68 offset1:84
	ds_load_2addr_b32 v[118:119], v247 offset0:136 offset1:152
	;; [unrolled: 1-line block ×4, first 2 shown]
	v_mul_f32_e32 v105, 0x3fb8aa3b, v104
	v_cmp_ngt_f32_e64 s6, 0xc2ce8ed0, v104
	s_delay_alu instid0(VALU_DEP_2) | instskip(SKIP_1) | instid1(VALU_DEP_1)
	v_fma_f32 v106, 0x3fb8aa3b, v104, -v105
	v_rndne_f32_e32 v107, v105
	v_dual_fmac_f32 v106, 0x32a5705f, v104 :: v_dual_sub_f32 v105, v105, v107
	s_waitcnt lgkmcnt(3)
	v_perm_b32 v149, v116, v114, 0x5040100
	s_delay_alu instid0(VALU_DEP_2)
	v_add_f32_e32 v105, v105, v106
	v_cvt_i32_f32_e32 v106, v107
	s_waitcnt lgkmcnt(1)
	v_perm_b32 v150, v120, v118, 0x5040100
	s_waitcnt lgkmcnt(0)
	v_perm_b32 v151, v158, v157, 0x5040100
	v_exp_f32_e32 v105, v105
	s_waitcnt_depctr 0xfff
	v_ldexp_f32 v105, v105, v106
	s_delay_alu instid0(VALU_DEP_1) | instskip(SKIP_1) | instid1(VALU_DEP_1)
	v_cndmask_b32_e64 v105, 0, v105, s6
	v_cmp_nlt_f32_e64 s6, 0x42b17218, v104
	v_cndmask_b32_e64 v133, 0x7f800000, v105, s6
	ds_bpermute_b32 v104, v228, v133
	v_cndmask_b32_e64 v101, v101, v133, s4
	v_cndmask_b32_e64 v102, v102, v133, s5
	s_waitcnt lgkmcnt(0)
	s_delay_alu instid0(VALU_DEP_2) | instskip(NEXT) | instid1(VALU_DEP_2)
	v_cndmask_b32_e64 v105, v101, v104, s3
	v_cndmask_b32_e32 v102, v102, v104, vcc_lo
	s_delay_alu instid0(VALU_DEP_2) | instskip(NEXT) | instid1(VALU_DEP_2)
	v_cvt_f16_f32_e32 v101, v105
	v_cvt_f16_f32_e32 v104, v102
	s_delay_alu instid0(VALU_DEP_1) | instskip(SKIP_1) | instid1(VALU_DEP_1)
	v_pack_b32_f16 v101, v101, v104
	v_sub_f32_e32 v104, v112, v191
	v_mul_f32_e32 v106, 0x3fb8aa3b, v104
	v_cmp_ngt_f32_e64 s6, 0xc2ce8ed0, v104
	s_delay_alu instid0(VALU_DEP_2) | instskip(SKIP_1) | instid1(VALU_DEP_2)
	v_fma_f32 v107, 0x3fb8aa3b, v104, -v106
	v_rndne_f32_e32 v108, v106
	v_fmac_f32_e32 v107, 0x32a5705f, v104
	s_delay_alu instid0(VALU_DEP_2) | instskip(NEXT) | instid1(VALU_DEP_1)
	v_sub_f32_e32 v106, v106, v108
	v_add_f32_e32 v106, v106, v107
	v_cvt_i32_f32_e32 v107, v108
	s_delay_alu instid0(VALU_DEP_2) | instskip(SKIP_2) | instid1(VALU_DEP_1)
	v_exp_f32_e32 v106, v106
	s_waitcnt_depctr 0xfff
	v_ldexp_f32 v106, v106, v107
	v_cndmask_b32_e64 v106, 0, v106, s6
	v_cmp_nlt_f32_e64 s6, 0x42b17218, v104
	s_delay_alu instid0(VALU_DEP_1) | instskip(SKIP_1) | instid1(VALU_DEP_2)
	v_cndmask_b32_e64 v134, 0x7f800000, v106, s6
	v_cmp_ngt_f32_e64 s6, 0xc2ce8ed0, v103
	v_cndmask_b32_e64 v104, v105, v134, s4
	ds_bpermute_b32 v105, v228, v134
	v_cndmask_b32_e64 v102, v102, v134, s5
	s_waitcnt lgkmcnt(0)
	v_cndmask_b32_e64 v104, v104, v105, s3
	s_delay_alu instid0(VALU_DEP_2) | instskip(NEXT) | instid1(VALU_DEP_2)
	v_cndmask_b32_e32 v105, v102, v105, vcc_lo
	v_cvt_f16_f32_e32 v102, v104
	s_delay_alu instid0(VALU_DEP_2) | instskip(NEXT) | instid1(VALU_DEP_1)
	v_cvt_f16_f32_e32 v106, v105
	v_pack_b32_f16 v102, v102, v106
	v_mul_f32_e32 v106, 0x3fb8aa3b, v103
	s_delay_alu instid0(VALU_DEP_1) | instskip(SKIP_1) | instid1(VALU_DEP_1)
	v_fma_f32 v107, 0x3fb8aa3b, v103, -v106
	v_rndne_f32_e32 v108, v106
	v_dual_fmac_f32 v107, 0x32a5705f, v103 :: v_dual_sub_f32 v106, v106, v108
	s_delay_alu instid0(VALU_DEP_1) | instskip(SKIP_1) | instid1(VALU_DEP_2)
	v_add_f32_e32 v106, v106, v107
	v_cvt_i32_f32_e32 v107, v108
	v_exp_f32_e32 v106, v106
	s_waitcnt_depctr 0xfff
	v_ldexp_f32 v106, v106, v107
	s_delay_alu instid0(VALU_DEP_1) | instskip(SKIP_1) | instid1(VALU_DEP_1)
	v_cndmask_b32_e64 v106, 0, v106, s6
	v_cmp_nlt_f32_e64 s6, 0x42b17218, v103
	v_cndmask_b32_e64 v137, 0x7f800000, v106, s6
	s_delay_alu instid0(VALU_DEP_1)
	v_cndmask_b32_e64 v103, v104, v137, s4
	v_cndmask_b32_e64 v104, v105, v137, s5
	ds_bpermute_b32 v105, v228, v137
	s_waitcnt lgkmcnt(0)
	v_cndmask_b32_e64 v103, v103, v105, s3
	v_cndmask_b32_e32 v104, v104, v105, vcc_lo
	s_delay_alu instid0(VALU_DEP_2) | instskip(NEXT) | instid1(VALU_DEP_2)
	v_cvt_f16_f32_e32 v103, v103
	v_cvt_f16_f32_e32 v104, v104
	s_delay_alu instid0(VALU_DEP_1) | instskip(SKIP_1) | instid1(VALU_DEP_1)
	v_pack_b32_f16 v103, v103, v104
	v_sub_f32_e32 v104, v193, v191
	v_mul_f32_e32 v105, 0x3fb8aa3b, v104
	v_cmp_ngt_f32_e64 s6, 0xc2ce8ed0, v104
	s_delay_alu instid0(VALU_DEP_2) | instskip(SKIP_1) | instid1(VALU_DEP_1)
	v_fma_f32 v106, 0x3fb8aa3b, v104, -v105
	v_rndne_f32_e32 v107, v105
	v_dual_fmac_f32 v106, 0x32a5705f, v104 :: v_dual_sub_f32 v105, v105, v107
	s_delay_alu instid0(VALU_DEP_1) | instskip(SKIP_1) | instid1(VALU_DEP_2)
	v_add_f32_e32 v105, v105, v106
	v_cvt_i32_f32_e32 v106, v107
	v_exp_f32_e32 v105, v105
	s_waitcnt_depctr 0xfff
	v_ldexp_f32 v105, v105, v106
	s_delay_alu instid0(VALU_DEP_1) | instskip(SKIP_1) | instid1(VALU_DEP_1)
	v_cndmask_b32_e64 v105, 0, v105, s6
	v_cmp_nlt_f32_e64 s6, 0x42b17218, v104
	v_cndmask_b32_e64 v105, 0x7f800000, v105, s6
	v_cmp_le_f32_e64 s6, 0xc1a00000, v104
	s_delay_alu instid0(VALU_DEP_1)
	v_cndmask_b32_e64 v138, 0, v105, s6
	ds_load_2addr_b32 v[104:105], v148 offset0:132 offset1:152
	ds_load_2addr_b32 v[106:107], v148 offset0:200 offset1:220
	;; [unrolled: 1-line block ×9, first 2 shown]
	v_cvt_f16_f32_e64 v145, v138
	s_delay_alu instid0(VALU_DEP_1)
	v_pk_mul_f16 v24, v145, v24 op_sel_hi:[0,1]
	v_pk_mul_f16 v25, v145, v25 op_sel_hi:[0,1]
	;; [unrolled: 1-line block ×10, first 2 shown]
	s_waitcnt lgkmcnt(7)
	v_perm_b32 v152, v107, v105, 0x5040100
	s_waitcnt lgkmcnt(5)
	v_perm_b32 v153, v122, v109, 0x5040100
	;; [unrolled: 2-line block ×5, first 2 shown]
	v_pk_mul_f16 v18, v145, v18 op_sel_hi:[0,1]
	v_pk_mul_f16 v19, v145, v19 op_sel_hi:[0,1]
	v_pk_mul_f16 v20, v145, v20 op_sel_hi:[0,1]
	v_pk_mul_f16 v21, v145, v21 op_sel_hi:[0,1]
	v_wmma_f16_16x16x16_f16 v[24:31], v[149:156], v[96:103], v[24:31]
	v_perm_b32 v156, v113, v111, 0x7060302
	v_add_nc_u32_e32 v111, 0x1000, v247
	v_perm_b32 v151, v158, v157, 0x7060302
	v_perm_b32 v155, v160, v159, 0x7060302
	;; [unrolled: 1-line block ×4, first 2 shown]
	ds_load_b32 v105, v254 offset:2176
	ds_load_b32 v107, v254 offset:3264
	;; [unrolled: 1-line block ×4, first 2 shown]
	ds_load_2addr_b32 v[157:158], v148 offset0:100 offset1:116
	ds_load_2addr_b32 v[159:160], v148 offset0:168 offset1:184
	;; [unrolled: 1-line block ×6, first 2 shown]
	v_perm_b32 v149, v116, v114, 0x7060302
	v_perm_b32 v150, v120, v118, 0x7060302
	;; [unrolled: 1-line block ×3, first 2 shown]
	v_pk_mul_f16 v22, v145, v22 op_sel_hi:[0,1]
	v_pk_mul_f16 v23, v145, v23 op_sel_hi:[0,1]
	v_perm_b32 v113, v117, v115, 0x7060302
	v_perm_b32 v114, v121, v119, 0x7060302
	v_wmma_f16_16x16x16_f16 v[24:31], v[149:156], v[96:103], v[24:31] op_sel:[0,0,1]
	v_perm_b32 v149, v117, v115, 0x5040100
	v_perm_b32 v150, v121, v119, 0x5040100
	;; [unrolled: 1-line block ×4, first 2 shown]
	s_waitcnt lgkmcnt(9)
	v_perm_b32 v153, v123, v105, 0x5040100
	v_perm_b32 v117, v123, v105, 0x7060302
	v_pk_mul_f16 v8, v145, v8 op_sel_hi:[0,1]
	v_pk_mul_f16 v9, v145, v9 op_sel_hi:[0,1]
	s_waitcnt lgkmcnt(5)
	v_perm_b32 v151, v157, v109, 0x5040100
	s_waitcnt lgkmcnt(3)
	v_perm_b32 v152, v161, v159, 0x5040100
	;; [unrolled: 2-line block ×4, first 2 shown]
	v_perm_b32 v115, v157, v109, 0x7060302
	v_perm_b32 v119, v163, v107, 0x7060302
	;; [unrolled: 1-line block ×4, first 2 shown]
	v_wmma_f16_16x16x16_f16 v[16:23], v[149:156], v[96:103], v[16:23]
	ds_load_2addr_b32 v[121:122], v247 offset0:32 offset1:48
	ds_load_2addr_b32 v[123:124], v247 offset0:100 offset1:116
	;; [unrolled: 1-line block ×4, first 2 shown]
	ds_load_b32 v105, v215 offset:1088
	ds_load_b32 v107, v215 offset:2176
	;; [unrolled: 1-line block ×5, first 2 shown]
	ds_load_2addr_b32 v[150:151], v146 offset0:132 offset1:148
	ds_load_2addr_b32 v[152:153], v146 offset0:200 offset1:216
	ds_load_2addr_b32 v[146:147], v147 offset0:12 offset1:28
	v_wmma_f16_16x16x16_f16 v[16:23], v[113:120], v[96:103], v[16:23] op_sel:[0,0,1]
	v_pk_mul_f16 v10, v145, v10 op_sel_hi:[0,1]
	v_pk_mul_f16 v11, v145, v11 op_sel_hi:[0,1]
	;; [unrolled: 1-line block ×6, first 2 shown]
	v_perm_b32 v116, v162, v160, 0x5040100
	v_perm_b32 v120, v166, v168, 0x5040100
	v_pk_mul_f16 v0, v145, v0 op_sel_hi:[0,1]
	v_pk_mul_f16 v1, v145, v1 op_sel_hi:[0,1]
	;; [unrolled: 1-line block ×4, first 2 shown]
	s_waitcnt lgkmcnt(7)
	v_perm_b32 v115, v158, v105, 0x5040100
	v_perm_b32 v113, v123, v121, 0x5040100
	s_waitcnt lgkmcnt(5)
	v_perm_b32 v119, v164, v109, 0x5040100
	v_perm_b32 v114, v148, v125, 0x5040100
	v_pk_mul_f16 v4, v145, v4 op_sel_hi:[0,1]
	s_waitcnt lgkmcnt(2)
	v_perm_b32 v117, v150, v107, 0x5040100
	s_waitcnt lgkmcnt(0)
	v_perm_b32 v118, v146, v152, 0x5040100
	v_pk_mul_f16 v5, v145, v5 op_sel_hi:[0,1]
	v_pk_mul_f16 v6, v145, v6 op_sel_hi:[0,1]
	;; [unrolled: 1-line block ×3, first 2 shown]
	s_delay_alu instid0(VALU_DEP_4)
	v_wmma_f16_16x16x16_f16 v[8:15], v[113:120], v[96:103], v[8:15]
	v_perm_b32 v115, v158, v105, 0x7060302
	v_perm_b32 v119, v164, v109, 0x7060302
	;; [unrolled: 1-line block ×3, first 2 shown]
	ds_load_b32 v105, v218 offset:1088
	ds_load_b32 v107, v218 offset:2176
	;; [unrolled: 1-line block ×8, first 2 shown]
	v_perm_b32 v116, v162, v160, 0x7060302
	v_perm_b32 v120, v166, v168, 0x7060302
	;; [unrolled: 1-line block ×5, first 2 shown]
	s_delay_alu instid0(VALU_DEP_1)
	v_wmma_f16_16x16x16_f16 v[8:15], v[113:120], v[96:103], v[8:15] op_sel:[0,0,1]
	v_perm_b32 v113, v124, v122, 0x5040100
	v_perm_b32 v114, v149, v126, 0x5040100
	v_perm_b32 v116, v108, v106, 0x5040100
	v_perm_b32 v118, v147, v153, 0x5040100
	s_waitcnt lgkmcnt(7)
	v_perm_b32 v115, v104, v105, 0x5040100
	s_waitcnt lgkmcnt(6)
	v_perm_b32 v117, v151, v107, 0x5040100
	;; [unrolled: 2-line block ×4, first 2 shown]
	s_delay_alu instid0(VALU_DEP_1)
	v_wmma_f16_16x16x16_f16 v[0:7], v[113:120], v[96:103], v[0:7]
	v_perm_b32 v113, v124, v122, 0x7060302
	v_perm_b32 v114, v149, v126, 0x7060302
	;; [unrolled: 1-line block ×8, first 2 shown]
	v_add_nc_u32_e32 v110, 0x2e00, v247
	v_add_nc_u32_e32 v109, 0x2c00, v247
	s_delay_alu instid0(VALU_DEP_3) | instskip(SKIP_1) | instid1(VALU_DEP_1)
	v_wmma_f16_16x16x16_f16 v[0:7], v[113:120], v[96:103], v[0:7] op_sel:[0,0,1]
	v_sub_f32_e32 v96, v144, v191
	v_mul_f32_e32 v97, 0x3fb8aa3b, v96
	v_cmp_ngt_f32_e64 s6, 0xc2ce8ed0, v96
	s_delay_alu instid0(VALU_DEP_2) | instskip(SKIP_1) | instid1(VALU_DEP_1)
	v_fma_f32 v98, 0x3fb8aa3b, v96, -v97
	v_rndne_f32_e32 v99, v97
	v_dual_fmac_f32 v98, 0x32a5705f, v96 :: v_dual_sub_f32 v97, v97, v99
	v_cvt_i32_f32_e32 v99, v99
	s_delay_alu instid0(VALU_DEP_2) | instskip(NEXT) | instid1(VALU_DEP_1)
	v_dual_add_f32 v97, v97, v98 :: v_dual_sub_f32 v98, v143, v191
	v_exp_f32_e32 v97, v97
	s_delay_alu instid0(VALU_DEP_1) | instskip(SKIP_1) | instid1(VALU_DEP_2)
	v_mul_f32_e32 v100, 0x3fb8aa3b, v98
	v_cmp_ngt_f32_e64 s7, 0xc2ce8ed0, v98
	v_fma_f32 v101, 0x3fb8aa3b, v98, -v100
	v_rndne_f32_e32 v102, v100
	s_waitcnt_depctr 0xfff
	v_ldexp_f32 v97, v97, v99
	v_fmac_f32_e32 v101, 0x32a5705f, v98
	v_sub_f32_e32 v100, v100, v102
	s_delay_alu instid0(VALU_DEP_3) | instskip(SKIP_1) | instid1(VALU_DEP_3)
	v_cndmask_b32_e64 v97, 0, v97, s6
	v_cmp_nlt_f32_e64 s6, 0x42b17218, v96
	v_add_f32_e32 v100, v100, v101
	s_delay_alu instid0(VALU_DEP_2) | instskip(NEXT) | instid1(VALU_DEP_2)
	v_cndmask_b32_e64 v194, 0x7f800000, v97, s6
	v_exp_f32_e32 v99, v100
	v_cvt_i32_f32_e32 v100, v102
	s_waitcnt_depctr 0xfff
	v_ldexp_f32 v99, v99, v100
	s_delay_alu instid0(VALU_DEP_1)
	v_cndmask_b32_e64 v96, 0, v99, s7
	v_cmp_nlt_f32_e64 s7, 0x42b17218, v98
	ds_bpermute_b32 v98, v228, v194
	v_cndmask_b32_e64 v193, 0x7f800000, v96, s7
	ds_bpermute_b32 v96, v228, v193
	s_waitcnt lgkmcnt(0)
	v_cndmask_b32_e64 v97, v193, v96, s3
	v_cndmask_b32_e32 v96, v193, v96, vcc_lo
	s_delay_alu instid0(VALU_DEP_2) | instskip(NEXT) | instid1(VALU_DEP_2)
	v_cndmask_b32_e64 v99, v97, v194, s4
	v_cndmask_b32_e64 v100, v96, v194, s5
	v_cvt_f16_f32_e32 v97, v97
	v_cvt_f16_f32_e32 v96, v96
	s_delay_alu instid0(VALU_DEP_4) | instskip(NEXT) | instid1(VALU_DEP_4)
	v_cndmask_b32_e64 v99, v99, v98, s3
	v_cndmask_b32_e32 v98, v100, v98, vcc_lo
	s_delay_alu instid0(VALU_DEP_3) | instskip(NEXT) | instid1(VALU_DEP_3)
	v_pack_b32_f16 v96, v97, v96
	v_cvt_f16_f32_e32 v100, v99
	s_delay_alu instid0(VALU_DEP_3) | instskip(NEXT) | instid1(VALU_DEP_1)
	v_cvt_f16_f32_e32 v101, v98
	v_pack_b32_f16 v97, v100, v101
	v_sub_f32_e32 v100, v142, v191
	s_delay_alu instid0(VALU_DEP_1) | instskip(SKIP_1) | instid1(VALU_DEP_2)
	v_mul_f32_e32 v101, 0x3fb8aa3b, v100
	v_cmp_ngt_f32_e64 s6, 0xc2ce8ed0, v100
	v_fma_f32 v102, 0x3fb8aa3b, v100, -v101
	v_rndne_f32_e32 v103, v101
	s_delay_alu instid0(VALU_DEP_1) | instskip(NEXT) | instid1(VALU_DEP_1)
	v_dual_fmac_f32 v102, 0x32a5705f, v100 :: v_dual_sub_f32 v101, v101, v103
	v_add_f32_e32 v101, v101, v102
	v_cvt_i32_f32_e32 v102, v103
	s_delay_alu instid0(VALU_DEP_2) | instskip(SKIP_2) | instid1(VALU_DEP_1)
	v_exp_f32_e32 v101, v101
	s_waitcnt_depctr 0xfff
	v_ldexp_f32 v101, v101, v102
	v_cndmask_b32_e64 v101, 0, v101, s6
	v_cmp_nlt_f32_e64 s6, 0x42b17218, v100
	s_delay_alu instid0(VALU_DEP_1) | instskip(SKIP_4) | instid1(VALU_DEP_2)
	v_cndmask_b32_e64 v195, 0x7f800000, v101, s6
	ds_bpermute_b32 v100, v228, v195
	v_cndmask_b32_e64 v99, v99, v195, s4
	v_cndmask_b32_e64 v98, v98, v195, s5
	s_waitcnt lgkmcnt(0)
	v_cndmask_b32_e64 v99, v99, v100, s3
	s_delay_alu instid0(VALU_DEP_2) | instskip(NEXT) | instid1(VALU_DEP_2)
	v_cndmask_b32_e32 v100, v98, v100, vcc_lo
	v_cvt_f16_f32_e32 v98, v99
	s_delay_alu instid0(VALU_DEP_2) | instskip(NEXT) | instid1(VALU_DEP_1)
	v_cvt_f16_f32_e32 v101, v100
	v_pack_b32_f16 v98, v98, v101
	v_sub_f32_e32 v101, v141, v191
	s_delay_alu instid0(VALU_DEP_1) | instskip(SKIP_1) | instid1(VALU_DEP_2)
	v_mul_f32_e32 v102, 0x3fb8aa3b, v101
	v_cmp_ngt_f32_e64 s6, 0xc2ce8ed0, v101
	v_fma_f32 v103, 0x3fb8aa3b, v101, -v102
	v_rndne_f32_e32 v104, v102
	s_delay_alu instid0(VALU_DEP_1) | instskip(NEXT) | instid1(VALU_DEP_1)
	v_dual_fmac_f32 v103, 0x32a5705f, v101 :: v_dual_sub_f32 v102, v102, v104
	v_add_f32_e32 v102, v102, v103
	v_cvt_i32_f32_e32 v103, v104
	s_delay_alu instid0(VALU_DEP_2) | instskip(SKIP_2) | instid1(VALU_DEP_1)
	v_exp_f32_e32 v102, v102
	s_waitcnt_depctr 0xfff
	v_ldexp_f32 v102, v102, v103
	v_cndmask_b32_e64 v102, 0, v102, s6
	v_cmp_nlt_f32_e64 s6, 0x42b17218, v101
	s_delay_alu instid0(VALU_DEP_1) | instskip(SKIP_4) | instid1(VALU_DEP_2)
	v_cndmask_b32_e64 v196, 0x7f800000, v102, s6
	ds_bpermute_b32 v101, v228, v196
	v_cndmask_b32_e64 v99, v99, v196, s4
	v_cndmask_b32_e64 v100, v100, v196, s5
	s_waitcnt lgkmcnt(0)
	v_cndmask_b32_e64 v102, v99, v101, s3
	s_delay_alu instid0(VALU_DEP_2) | instskip(NEXT) | instid1(VALU_DEP_2)
	v_cndmask_b32_e32 v100, v100, v101, vcc_lo
	v_cvt_f16_f32_e32 v99, v102
	s_delay_alu instid0(VALU_DEP_2) | instskip(NEXT) | instid1(VALU_DEP_1)
	v_cvt_f16_f32_e32 v101, v100
	v_pack_b32_f16 v99, v99, v101
	v_sub_f32_e32 v101, v140, v191
	s_delay_alu instid0(VALU_DEP_1) | instskip(SKIP_1) | instid1(VALU_DEP_2)
	v_mul_f32_e32 v103, 0x3fb8aa3b, v101
	v_cmp_ngt_f32_e64 s6, 0xc2ce8ed0, v101
	v_fma_f32 v104, 0x3fb8aa3b, v101, -v103
	v_rndne_f32_e32 v105, v103
	s_delay_alu instid0(VALU_DEP_2) | instskip(NEXT) | instid1(VALU_DEP_2)
	v_fmac_f32_e32 v104, 0x32a5705f, v101
	v_sub_f32_e32 v103, v103, v105
	s_delay_alu instid0(VALU_DEP_1) | instskip(SKIP_1) | instid1(VALU_DEP_2)
	v_add_f32_e32 v103, v103, v104
	v_cvt_i32_f32_e32 v104, v105
	v_exp_f32_e32 v103, v103
	s_waitcnt_depctr 0xfff
	v_ldexp_f32 v103, v103, v104
	s_delay_alu instid0(VALU_DEP_1) | instskip(SKIP_1) | instid1(VALU_DEP_1)
	v_cndmask_b32_e64 v103, 0, v103, s6
	v_cmp_nlt_f32_e64 s6, 0x42b17218, v101
	v_cndmask_b32_e64 v197, 0x7f800000, v103, s6
	s_delay_alu instid0(VALU_DEP_1) | instskip(SKIP_4) | instid1(VALU_DEP_2)
	v_cndmask_b32_e64 v101, v102, v197, s4
	ds_bpermute_b32 v102, v228, v197
	v_cndmask_b32_e64 v100, v100, v197, s5
	s_waitcnt lgkmcnt(0)
	v_cndmask_b32_e64 v101, v101, v102, s3
	v_cndmask_b32_e32 v102, v100, v102, vcc_lo
	s_delay_alu instid0(VALU_DEP_2) | instskip(NEXT) | instid1(VALU_DEP_2)
	v_cvt_f16_f32_e32 v100, v101
	v_cvt_f16_f32_e32 v103, v102
	s_delay_alu instid0(VALU_DEP_1) | instskip(SKIP_1) | instid1(VALU_DEP_1)
	v_pack_b32_f16 v100, v100, v103
	v_sub_f32_e32 v103, v139, v191
	v_mul_f32_e32 v104, 0x3fb8aa3b, v103
	v_cmp_ngt_f32_e64 s6, 0xc2ce8ed0, v103
	s_delay_alu instid0(VALU_DEP_2) | instskip(SKIP_1) | instid1(VALU_DEP_1)
	v_fma_f32 v105, 0x3fb8aa3b, v103, -v104
	v_rndne_f32_e32 v106, v104
	v_dual_fmac_f32 v105, 0x32a5705f, v103 :: v_dual_sub_f32 v104, v104, v106
	s_delay_alu instid0(VALU_DEP_1) | instskip(SKIP_1) | instid1(VALU_DEP_2)
	v_add_f32_e32 v104, v104, v105
	v_cvt_i32_f32_e32 v105, v106
	v_exp_f32_e32 v104, v104
	s_waitcnt_depctr 0xfff
	v_ldexp_f32 v104, v104, v105
	s_delay_alu instid0(VALU_DEP_1) | instskip(SKIP_1) | instid1(VALU_DEP_1)
	v_cndmask_b32_e64 v104, 0, v104, s6
	v_cmp_nlt_f32_e64 s6, 0x42b17218, v103
	v_cndmask_b32_e64 v198, 0x7f800000, v104, s6
	ds_bpermute_b32 v103, v228, v198
	v_cndmask_b32_e64 v101, v101, v198, s4
	v_cndmask_b32_e64 v102, v102, v198, s5
	s_waitcnt lgkmcnt(0)
	s_delay_alu instid0(VALU_DEP_2) | instskip(NEXT) | instid1(VALU_DEP_2)
	v_cndmask_b32_e64 v104, v101, v103, s3
	v_cndmask_b32_e32 v102, v102, v103, vcc_lo
	s_delay_alu instid0(VALU_DEP_2) | instskip(NEXT) | instid1(VALU_DEP_2)
	v_cvt_f16_f32_e32 v101, v104
	v_cvt_f16_f32_e32 v103, v102
	s_delay_alu instid0(VALU_DEP_1) | instskip(SKIP_1) | instid1(VALU_DEP_1)
	v_pack_b32_f16 v101, v101, v103
	v_sub_f32_e32 v103, v136, v191
	v_mul_f32_e32 v105, 0x3fb8aa3b, v103
	v_cmp_ngt_f32_e64 s6, 0xc2ce8ed0, v103
	s_delay_alu instid0(VALU_DEP_2) | instskip(SKIP_1) | instid1(VALU_DEP_2)
	v_fma_f32 v106, 0x3fb8aa3b, v103, -v105
	v_rndne_f32_e32 v107, v105
	v_fmac_f32_e32 v106, 0x32a5705f, v103
	s_delay_alu instid0(VALU_DEP_2) | instskip(NEXT) | instid1(VALU_DEP_1)
	v_sub_f32_e32 v105, v105, v107
	v_add_f32_e32 v105, v105, v106
	v_cvt_i32_f32_e32 v106, v107
	s_delay_alu instid0(VALU_DEP_2) | instskip(SKIP_2) | instid1(VALU_DEP_1)
	v_exp_f32_e32 v105, v105
	s_waitcnt_depctr 0xfff
	v_ldexp_f32 v105, v105, v106
	v_cndmask_b32_e64 v105, 0, v105, s6
	v_cmp_nlt_f32_e64 s6, 0x42b17218, v103
	s_delay_alu instid0(VALU_DEP_1) | instskip(NEXT) | instid1(VALU_DEP_1)
	v_cndmask_b32_e64 v199, 0x7f800000, v105, s6
	v_cndmask_b32_e64 v103, v104, v199, s4
	ds_bpermute_b32 v104, v228, v199
	v_cndmask_b32_e64 v102, v102, v199, s5
	s_waitcnt lgkmcnt(0)
	v_cndmask_b32_e64 v103, v103, v104, s3
	s_delay_alu instid0(VALU_DEP_2) | instskip(NEXT) | instid1(VALU_DEP_2)
	v_cndmask_b32_e32 v104, v102, v104, vcc_lo
	v_cvt_f16_f32_e32 v102, v103
	s_delay_alu instid0(VALU_DEP_2) | instskip(NEXT) | instid1(VALU_DEP_1)
	v_cvt_f16_f32_e32 v105, v104
	v_pack_b32_f16 v102, v102, v105
	v_sub_f32_e32 v105, v135, v191
	s_delay_alu instid0(VALU_DEP_1) | instskip(SKIP_1) | instid1(VALU_DEP_2)
	v_mul_f32_e32 v106, 0x3fb8aa3b, v105
	v_cmp_ngt_f32_e64 s6, 0xc2ce8ed0, v105
	v_fma_f32 v107, 0x3fb8aa3b, v105, -v106
	v_rndne_f32_e32 v108, v106
	s_delay_alu instid0(VALU_DEP_1) | instskip(NEXT) | instid1(VALU_DEP_1)
	v_dual_fmac_f32 v107, 0x32a5705f, v105 :: v_dual_sub_f32 v106, v106, v108
	v_add_f32_e32 v106, v106, v107
	v_cvt_i32_f32_e32 v107, v108
	s_delay_alu instid0(VALU_DEP_2) | instskip(SKIP_3) | instid1(VALU_DEP_2)
	v_exp_f32_e32 v106, v106
	s_waitcnt_depctr 0xfff
	v_ldexp_f32 v106, v106, v107
	v_add_nc_u32_e32 v107, 0x2800, v247
	v_cndmask_b32_e64 v106, 0, v106, s6
	v_cmp_nlt_f32_e64 s6, 0x42b17218, v105
	s_delay_alu instid0(VALU_DEP_1)
	v_cndmask_b32_e64 v200, 0x7f800000, v106, s6
	v_add_nc_u32_e32 v106, 0x2600, v247
	ds_bpermute_b32 v105, v228, v200
	v_cndmask_b32_e64 v103, v103, v200, s4
	v_cndmask_b32_e64 v104, v104, v200, s5
	s_waitcnt lgkmcnt(0)
	s_delay_alu instid0(VALU_DEP_2) | instskip(NEXT) | instid1(VALU_DEP_2)
	v_cndmask_b32_e64 v103, v103, v105, s3
	v_dual_cndmask_b32 v104, v104, v105 :: v_dual_add_nc_u32 v105, 0x2400, v247
	v_add_co_u32 v219, vcc_lo, 0x80, v219
	s_delay_alu instid0(VALU_DEP_3) | instskip(NEXT) | instid1(VALU_DEP_3)
	v_cvt_f16_f32_e32 v103, v103
	v_cvt_f16_f32_e32 v104, v104
	v_add_co_ci_u32_e32 v220, vcc_lo, 0, v220, vcc_lo
	v_add_co_u32 v225, vcc_lo, 0x80, v225
	s_delay_alu instid0(VALU_DEP_3)
	v_pack_b32_f16 v103, v103, v104
	v_add_nc_u32_e32 v104, 0x2000, v247
	ds_load_2addr_b32 v[112:113], v104 offset0:128 offset1:196
	ds_load_2addr_b32 v[114:115], v105 offset0:8 offset1:76
	ds_load_b32 v201, v253 offset:1088
	ds_load_2addr_b32 v[116:117], v106 offset0:84 offset1:152
	ds_load_2addr_b32 v[118:119], v107 offset0:92 offset1:228
	;; [unrolled: 1-line block ×4, first 2 shown]
	v_add_co_ci_u32_e32 v226, vcc_lo, 0, v226, vcc_lo
	v_add_co_u32 v233, vcc_lo, v233, s68
	v_add_co_ci_u32_e32 v242, vcc_lo, s69, v242, vcc_lo
	v_add_co_u32 v227, vcc_lo, v227, s68
	;; [unrolled: 2-line block ×3, first 2 shown]
	v_add_co_ci_u32_e32 v240, vcc_lo, s69, v240, vcc_lo
	s_waitcnt lgkmcnt(6)
	v_perm_b32 v104, v113, v112, 0x5040100
	s_waitcnt lgkmcnt(5)
	v_perm_b32 v105, v115, v114, 0x5040100
	;; [unrolled: 2-line block ×4, first 2 shown]
	v_perm_b32 v108, v119, v174, 0x5040100
	s_waitcnt lgkmcnt(1)
	v_perm_b32 v109, v121, v120, 0x5040100
	s_waitcnt lgkmcnt(0)
	v_perm_b32 v110, v122, v169, 0x5040100
	v_perm_b32 v111, v175, v123, 0x5040100
	v_add_co_u32 v252, vcc_lo, v252, s68
	v_add_co_ci_u32_e32 v231, vcc_lo, s69, v231, vcc_lo
	s_delay_alu instid0(VALU_DEP_3)
	v_wmma_f16_16x16x16_f16 v[24:31], v[104:111], v[96:103], v[24:31]
	v_add_nc_u32_e32 v104, 0x2000, v254
	v_add_nc_u32_e32 v106, 0x2600, v254
	v_add_nc_u32_e32 v107, 0x2800, v254
	v_add_nc_u32_e32 v109, 0x2c00, v254
	v_add_nc_u32_e32 v110, 0x2e00, v254
	v_add_nc_u32_e32 v105, 0x2400, v254
	ds_load_2addr_b32 v[124:125], v104 offset0:128 offset1:196
	ds_load_2addr_b32 v[126:127], v105 offset0:8 offset1:76
	;; [unrolled: 1-line block ×3, first 2 shown]
	ds_load_b32 v202, v248 offset:1088
	ds_load_b32 v203, v248 offset:2176
	;; [unrolled: 1-line block ×3, first 2 shown]
	ds_load_2addr_b32 v[139:140], v107 offset0:92 offset1:228
	ds_load_2addr_b32 v[141:142], v109 offset0:40 offset1:108
	;; [unrolled: 1-line block ×3, first 2 shown]
	v_add_co_u32 v230, vcc_lo, v230, s68
	v_add_co_ci_u32_e32 v221, vcc_lo, s69, v221, vcc_lo
	v_add_co_u32 v222, vcc_lo, v222, s68
	v_add_co_ci_u32_e32 v223, vcc_lo, s69, v223, vcc_lo
	;; [unrolled: 2-line block ×3, first 2 shown]
	v_add_co_u32 v217, vcc_lo, v217, s68
	s_waitcnt lgkmcnt(8)
	v_perm_b32 v104, v125, v124, 0x5040100
	s_waitcnt lgkmcnt(7)
	v_perm_b32 v105, v127, v126, 0x5040100
	;; [unrolled: 2-line block ×4, first 2 shown]
	v_perm_b32 v108, v140, v203, 0x5040100
	s_waitcnt lgkmcnt(1)
	v_perm_b32 v109, v142, v141, 0x5040100
	s_waitcnt lgkmcnt(0)
	v_perm_b32 v110, v143, v171, 0x5040100
	v_perm_b32 v111, v204, v144, 0x5040100
	v_add_co_ci_u32_e32 v244, vcc_lo, s69, v244, vcc_lo
	v_add_co_u32 v211, vcc_lo, v211, s70
	s_delay_alu instid0(VALU_DEP_3)
	v_wmma_f16_16x16x16_f16 v[16:23], v[104:111], v[96:103], v[16:23]
	v_add_nc_u32_e32 v104, 0x2000, v215
	v_add_nc_u32_e32 v106, 0x2600, v215
	;; [unrolled: 1-line block ×6, first 2 shown]
	ds_load_2addr_b32 v[145:146], v104 offset0:128 offset1:196
	ds_load_2addr_b32 v[147:148], v105 offset0:8 offset1:76
	;; [unrolled: 1-line block ×3, first 2 shown]
	ds_load_b32 v205, v249 offset:1088
	ds_load_b32 v206, v249 offset:2176
	ds_load_2addr_b32 v[151:152], v107 offset0:92 offset1:228
	ds_load_2addr_b32 v[153:154], v109 offset0:40 offset1:108
	;; [unrolled: 1-line block ×3, first 2 shown]
	v_add_co_ci_u32_e32 v237, vcc_lo, s71, v237, vcc_lo
	v_add_co_u32 v243, vcc_lo, v243, s70
	v_add_co_ci_u32_e32 v178, vcc_lo, s71, v178, vcc_lo
	v_add_co_u32 v179, vcc_lo, v179, s70
	;; [unrolled: 2-line block ×3, first 2 shown]
	v_add_co_ci_u32_e32 v182, vcc_lo, s71, v182, vcc_lo
	s_waitcnt lgkmcnt(7)
	v_perm_b32 v104, v146, v145, 0x5040100
	s_waitcnt lgkmcnt(6)
	v_perm_b32 v105, v148, v147, 0x5040100
	;; [unrolled: 2-line block ×4, first 2 shown]
	v_perm_b32 v108, v152, v206, 0x5040100
	s_waitcnt lgkmcnt(1)
	v_perm_b32 v109, v154, v153, 0x5040100
	s_waitcnt lgkmcnt(0)
	v_perm_b32 v110, v155, v173, 0x5040100
	v_perm_b32 v111, v170, v156, 0x5040100
	v_add_co_u32 v183, vcc_lo, v183, s70
	v_add_co_ci_u32_e32 v184, vcc_lo, s71, v184, vcc_lo
	s_delay_alu instid0(VALU_DEP_3)
	v_wmma_f16_16x16x16_f16 v[8:15], v[104:111], v[96:103], v[8:15]
	v_add_nc_u32_e32 v109, 0x2c00, v218
	v_add_nc_u32_e32 v104, 0x2000, v218
	;; [unrolled: 1-line block ×6, first 2 shown]
	ds_load_2addr_b32 v[157:158], v104 offset0:128 offset1:196
	ds_load_2addr_b32 v[159:160], v105 offset0:8 offset1:76
	ds_load_b32 v207, v250 offset:1088
	ds_load_2addr_b32 v[161:162], v106 offset0:84 offset1:152
	ds_load_2addr_b32 v[163:164], v107 offset0:92 offset1:228
	ds_load_b32 v235, v250 offset:2176
	ds_load_b32 v208, v250 offset:3264
	ds_load_2addr_b32 v[165:166], v109 offset0:40 offset1:108
	ds_load_2addr_b32 v[167:168], v110 offset0:116 offset1:184
	v_add_co_u32 v185, vcc_lo, v185, s70
	v_add_co_ci_u32_e32 v186, vcc_lo, s71, v186, vcc_lo
	v_add_co_u32 v187, vcc_lo, v187, s70
	v_add_co_ci_u32_e32 v188, vcc_lo, s71, v188, vcc_lo
	v_add_co_u32 v189, vcc_lo, v189, s70
	v_add_co_ci_u32_e32 v190, vcc_lo, s71, v190, vcc_lo
	s_waitcnt lgkmcnt(0)
	v_perm_b32 v104, v158, v157, 0x5040100
	v_perm_b32 v105, v160, v159, 0x5040100
	;; [unrolled: 1-line block ×8, first 2 shown]
	s_barrier
	buffer_gl0_inv
	v_wmma_f16_16x16x16_f16 v[0:7], v[104:111], v[96:103], v[0:7]
	v_perm_b32 v106, v116, v201, 0x7060302
	v_perm_b32 v107, v118, v117, 0x7060302
	v_perm_b32 v108, v119, v174, 0x7060302
	v_perm_b32 v110, v122, v169, 0x7060302
	v_perm_b32 v111, v175, v123, 0x7060302
	v_perm_b32 v104, v113, v112, 0x7060302
	v_perm_b32 v105, v115, v114, 0x7060302
	v_perm_b32 v109, v121, v120, 0x7060302
	s_delay_alu instid0(VALU_DEP_1)
	v_wmma_f16_16x16x16_f16 v[24:31], v[104:111], v[96:103], v[24:31] op_sel:[0,0,1]
	v_perm_b32 v106, v135, v202, 0x7060302
	v_perm_b32 v107, v139, v136, 0x7060302
	v_perm_b32 v108, v140, v203, 0x7060302
	v_perm_b32 v110, v143, v171, 0x7060302
	v_perm_b32 v111, v204, v144, 0x7060302
	v_perm_b32 v104, v125, v124, 0x7060302
	v_perm_b32 v105, v127, v126, 0x7060302
	v_perm_b32 v109, v142, v141, 0x7060302
	s_delay_alu instid0(VALU_DEP_1)
	v_wmma_f16_16x16x16_f16 v[16:23], v[104:111], v[96:103], v[16:23] op_sel:[0,0,1]
	;; [unrolled: 10-line block ×3, first 2 shown]
	v_perm_b32 v106, v161, v207, 0x7060302
	v_perm_b32 v107, v163, v162, 0x7060302
	;; [unrolled: 1-line block ×8, first 2 shown]
	s_delay_alu instid0(VALU_DEP_1) | instskip(SKIP_1) | instid1(VALU_DEP_1)
	v_wmma_f16_16x16x16_f16 v[0:7], v[104:111], v[96:103], v[0:7] op_sel:[0,0,1]
	v_add_f32_e32 v96, v128, v129
	v_add_f32_e32 v96, v130, v96
	s_delay_alu instid0(VALU_DEP_1) | instskip(NEXT) | instid1(VALU_DEP_1)
	v_add_f32_e32 v96, v131, v96
	v_add_f32_e32 v96, v132, v96
	s_delay_alu instid0(VALU_DEP_1) | instskip(NEXT) | instid1(VALU_DEP_1)
	v_add_f32_e32 v96, v133, v96
	v_add_f32_e32 v96, v134, v96
	s_delay_alu instid0(VALU_DEP_1) | instskip(NEXT) | instid1(VALU_DEP_1)
	v_add_f32_e32 v96, v137, v96
	v_add_f32_e32 v96, v193, v96
	s_delay_alu instid0(VALU_DEP_1) | instskip(NEXT) | instid1(VALU_DEP_1)
	v_add_f32_e32 v96, v194, v96
	v_add_f32_e32 v96, v195, v96
	s_delay_alu instid0(VALU_DEP_1) | instskip(NEXT) | instid1(VALU_DEP_1)
	v_add_f32_e32 v96, v196, v96
	v_add_f32_e32 v96, v197, v96
	s_delay_alu instid0(VALU_DEP_1) | instskip(NEXT) | instid1(VALU_DEP_1)
	v_add_f32_e32 v96, v198, v96
	v_add_f32_e32 v96, v199, v96
	s_delay_alu instid0(VALU_DEP_1) | instskip(NEXT) | instid1(VALU_DEP_1)
	v_add_f32_e32 v235, v200, v96
	v_fmac_f32_e32 v235, v192, v138
	s_cbranch_scc0 .LBB25_373
; %bb.372:                              ;   in Loop: Header=BB25_307 Depth=2
	s_delay_alu instid0(VALU_DEP_1)
	v_mov_b32_e32 v192, v235
	v_mov_b32_e32 v193, v191
	s_branch .LBB25_307
.LBB25_373:                             ;   in Loop: Header=BB25_10 Depth=1
	s_clause 0x1
	scratch_load_b32 v96, off, off offset:168
	scratch_load_b32 v97, off, off offset:164
	s_lshl_b32 s64, s46, 6
	v_dual_mov_b32 v119, s43 :: v_dual_mov_b32 v116, s40
	s_lshl_b64 s[4:5], s[64:65], 1
	s_mul_i32 s3, s13, s64
	v_mov_b32_e32 v114, s38
	v_mov_b32_e32 v112, s36
	v_dual_mov_b32 v118, s42 :: v_dual_mov_b32 v117, s41
	v_mov_b32_e32 v115, s39
	v_mov_b32_e32 v113, s37
	s_waitcnt vmcnt(1)
	v_add_co_u32 v96, vcc_lo, v96, s4
	s_waitcnt vmcnt(0)
	v_add_co_ci_u32_e32 v98, vcc_lo, s5, v97, vcc_lo
	scratch_load_b32 v97, off, off offset:172 ; 4-byte Folded Reload
	s_mul_hi_u32 s5, s12, s64
	s_mul_i32 s4, s12, s64
	s_add_i32 s5, s5, s3
	s_delay_alu instid0(SALU_CYCLE_1) | instskip(NEXT) | instid1(SALU_CYCLE_1)
	s_lshl_b64 s[4:5], s[4:5], 2
	s_add_u32 s3, s99, s4
	s_addc_u32 s4, s100, s5
	s_waitcnt vmcnt(0)
	v_lshlrev_b32_e32 v97, 1, v97
	s_delay_alu instid0(VALU_DEP_1)
	v_add_co_u32 v100, vcc_lo, v96, v97
	scratch_load_b64 v[96:97], off, off offset:252 ; 8-byte Folded Reload
	v_add_co_ci_u32_e32 v101, vcc_lo, 0, v98, vcc_lo
	scratch_load_b64 v[98:99], off, off offset:244 ; 8-byte Folded Reload
	s_waitcnt vmcnt(1)
	v_lshlrev_b64 v[96:97], 1, v[96:97]
	s_waitcnt vmcnt(0)
	v_lshlrev_b64 v[98:99], 1, v[98:99]
	s_delay_alu instid0(VALU_DEP_2) | instskip(NEXT) | instid1(VALU_DEP_3)
	v_add_co_u32 v96, vcc_lo, v100, v96
	v_add_co_ci_u32_e32 v97, vcc_lo, v101, v97, vcc_lo
	s_delay_alu instid0(VALU_DEP_3) | instskip(NEXT) | instid1(VALU_DEP_4)
	v_add_co_u32 v98, vcc_lo, v100, v98
	v_add_co_ci_u32_e32 v99, vcc_lo, v101, v99, vcc_lo
	s_clause 0x1
	global_load_b32 v96, v[96:97], off
	global_load_b32 v97, v[98:99], off
	s_clause 0x1
	scratch_load_b32 v98, off, off
	scratch_load_b32 v99, off, off offset:20
	s_waitcnt vmcnt(0)
	v_add_nc_u32_e32 v98, v98, v99
	s_delay_alu instid0(VALU_DEP_1)
	v_add_nc_u32_e32 v98, 0x4400, v98
	ds_store_2addr_b32 v98, v96, v97 offset1:144
	s_clause 0x1
	scratch_load_b64 v[96:97], off, off offset:88
	scratch_load_b64 v[98:99], off, off offset:96
	s_waitcnt vmcnt(1)
	v_add_co_u32 v96, vcc_lo, s3, v96
	v_add_co_ci_u32_e32 v97, vcc_lo, s4, v97, vcc_lo
	s_delay_alu instid0(VALU_DEP_2) | instskip(NEXT) | instid1(VALU_DEP_2)
	v_add_co_u32 v96, vcc_lo, v96, v234
	v_add_co_ci_u32_e32 v97, vcc_lo, 0, v97, vcc_lo
	s_waitcnt vmcnt(0)
	v_add_co_u32 v98, vcc_lo, s3, v98
	v_add_co_ci_u32_e32 v99, vcc_lo, s4, v99, vcc_lo
	s_delay_alu instid0(VALU_DEP_2) | instskip(NEXT) | instid1(VALU_DEP_2)
	v_add_co_u32 v100, vcc_lo, v98, v234
	v_add_co_ci_u32_e32 v101, vcc_lo, 0, v99, vcc_lo
	s_clause 0x1
	global_load_b128 v[96:99], v[96:97], off
	global_load_b128 v[100:103], v[100:101], off
	s_waitcnt vmcnt(1)
	ds_store_b128 v245, v[96:99]
	s_waitcnt vmcnt(0)
	ds_store_b128 v238, v[100:103]
	s_clause 0x1
	scratch_load_b64 v[96:97], off, off offset:104
	scratch_load_b64 v[98:99], off, off offset:112
	s_waitcnt vmcnt(1)
	v_add_co_u32 v96, vcc_lo, s3, v96
	v_add_co_ci_u32_e32 v97, vcc_lo, s4, v97, vcc_lo
	s_delay_alu instid0(VALU_DEP_2) | instskip(NEXT) | instid1(VALU_DEP_2)
	v_add_co_u32 v96, vcc_lo, v96, v234
	v_add_co_ci_u32_e32 v97, vcc_lo, 0, v97, vcc_lo
	s_waitcnt vmcnt(0)
	v_add_co_u32 v98, vcc_lo, s3, v98
	v_add_co_ci_u32_e32 v99, vcc_lo, s4, v99, vcc_lo
	s_delay_alu instid0(VALU_DEP_2) | instskip(NEXT) | instid1(VALU_DEP_2)
	v_add_co_u32 v100, vcc_lo, v98, v234
	v_add_co_ci_u32_e32 v101, vcc_lo, 0, v99, vcc_lo
	s_clause 0x1
	global_load_b128 v[96:99], v[96:97], off
	global_load_b128 v[100:103], v[100:101], off
	s_waitcnt vmcnt(1)
	ds_store_b128 v239, v[96:99]
	s_waitcnt vmcnt(0)
	ds_store_b128 v216, v[100:103]
	s_clause 0x1
	scratch_load_b64 v[96:97], off, off offset:120
	scratch_load_b64 v[98:99], off, off offset:128
	s_waitcnt vmcnt(1)
	v_add_co_u32 v96, vcc_lo, s3, v96
	v_add_co_ci_u32_e32 v97, vcc_lo, s4, v97, vcc_lo
	s_delay_alu instid0(VALU_DEP_2) | instskip(NEXT) | instid1(VALU_DEP_2)
	v_add_co_u32 v96, vcc_lo, v96, v234
	v_add_co_ci_u32_e32 v97, vcc_lo, 0, v97, vcc_lo
	s_waitcnt vmcnt(0)
	v_add_co_u32 v98, vcc_lo, s3, v98
	v_add_co_ci_u32_e32 v99, vcc_lo, s4, v99, vcc_lo
	s_delay_alu instid0(VALU_DEP_2) | instskip(NEXT) | instid1(VALU_DEP_2)
	v_add_co_u32 v100, vcc_lo, v98, v234
	v_add_co_ci_u32_e32 v101, vcc_lo, 0, v99, vcc_lo
	s_clause 0x1
	global_load_b128 v[96:99], v[96:97], off
	global_load_b128 v[100:103], v[100:101], off
	s_waitcnt vmcnt(1)
	ds_store_b128 v214, v[96:99]
	s_waitcnt vmcnt(0)
	ds_store_b128 v212, v[100:103]
	s_clause 0x1
	scratch_load_b64 v[96:97], off, off offset:136
	scratch_load_b64 v[98:99], off, off offset:144
	s_waitcnt vmcnt(1)
	v_add_co_u32 v96, vcc_lo, s3, v96
	v_add_co_ci_u32_e32 v97, vcc_lo, s4, v97, vcc_lo
	s_delay_alu instid0(VALU_DEP_2) | instskip(NEXT) | instid1(VALU_DEP_2)
	v_add_co_u32 v96, vcc_lo, v96, v234
	v_add_co_ci_u32_e32 v97, vcc_lo, 0, v97, vcc_lo
	s_waitcnt vmcnt(0)
	v_add_co_u32 v98, vcc_lo, s3, v98
	v_add_co_ci_u32_e32 v99, vcc_lo, s4, v99, vcc_lo
	s_delay_alu instid0(VALU_DEP_2) | instskip(NEXT) | instid1(VALU_DEP_2)
	v_add_co_u32 v100, vcc_lo, v98, v234
	v_add_co_ci_u32_e32 v101, vcc_lo, 0, v99, vcc_lo
	s_clause 0x1
	global_load_b128 v[96:99], v[96:97], off
	global_load_b128 v[100:103], v[100:101], off
	s_waitcnt vmcnt(1)
	ds_store_b128 v229, v[96:99]
	s_waitcnt vmcnt(0)
	ds_store_b128 v210, v[100:103]
	s_waitcnt lgkmcnt(0)
	s_waitcnt_vscnt null, 0x0
	s_barrier
	buffer_gl0_inv
	s_clause 0x1
	scratch_load_b32 v96, off, off offset:8
	scratch_load_b32 v97, off, off offset:16
	s_waitcnt vmcnt(0)
	v_add_nc_u32_e32 v178, v97, v96
	ds_load_b128 v[104:107], v178
	ds_load_b128 v[108:111], v178 offset:16
	s_waitcnt lgkmcnt(0)
	v_wmma_f32_16x16x16_f16 v[96:103], v[104:111], v[40:47], v[112:119]
	ds_load_b128 v[104:107], v178 offset:32
	ds_load_b128 v[108:111], v178 offset:48
	s_waitcnt lgkmcnt(0)
	v_wmma_f32_16x16x16_f16 v[96:103], v[104:111], v[32:39], v[96:103]
	ds_load_b128 v[104:107], v178 offset:64
	;; [unrolled: 4-line block ×7, first 2 shown]
	ds_load_b128 v[108:111], v178 offset:240
	ds_load_b128 v[168:171], v178 offset:8704
	ds_load_b128 v[172:175], v178 offset:8720
	ds_load_b128 v[160:163], v178 offset:8736
	ds_load_b128 v[164:167], v178 offset:8752
	ds_load_b128 v[152:155], v178 offset:8768
	ds_load_b128 v[156:159], v178 offset:8784
	ds_load_b128 v[144:147], v178 offset:8800
	ds_load_b128 v[148:151], v178 offset:8816
	ds_load_b128 v[136:139], v178 offset:8832
	ds_load_b128 v[140:143], v178 offset:8848
	ds_load_b128 v[128:131], v178 offset:8864
	ds_load_b128 v[132:135], v178 offset:8880
	ds_load_b128 v[120:123], v178 offset:8896
	ds_load_b128 v[124:127], v178 offset:8912
	ds_load_b128 v[112:115], v178 offset:8928
	ds_load_b128 v[116:119], v178 offset:8944
	s_waitcnt lgkmcnt(0)
	s_barrier
	buffer_gl0_inv
                                        ; implicit-def: $vgpr178
	v_wmma_f32_16x16x16_f16 v[96:103], v[104:111], v[88:95], v[96:103]
	s_delay_alu instid0(VALU_DEP_1) | instskip(NEXT) | instid1(VALU_DEP_1)
	v_cmp_ngt_f32_e64 s3, 0x3f200000, |v96|
	s_and_saveexec_b32 s4, s3
	s_delay_alu instid0(SALU_CYCLE_1)
	s_xor_b32 s3, exec_lo, s4
	s_cbranch_execz .LBB25_375
; %bb.374:                              ;   in Loop: Header=BB25_10 Depth=1
	v_add_f32_e64 v104, |v96|, |v96|
	s_delay_alu instid0(VALU_DEP_1) | instskip(SKIP_1) | instid1(VALU_DEP_2)
	v_mul_f32_e32 v105, 0x3fb8aa3b, v104
	v_cmp_ngt_f32_e32 vcc_lo, 0xc2ce8ed0, v104
	v_rndne_f32_e32 v106, v105
	v_fma_f32 v107, 0x3fb8aa3b, v104, -v105
	s_delay_alu instid0(VALU_DEP_2) | instskip(NEXT) | instid1(VALU_DEP_2)
	v_sub_f32_e32 v105, v105, v106
	v_fmac_f32_e32 v107, 0x32a5705f, v104
	v_cvt_i32_f32_e32 v106, v106
	s_delay_alu instid0(VALU_DEP_2) | instskip(NEXT) | instid1(VALU_DEP_1)
	v_add_f32_e32 v105, v105, v107
	v_exp_f32_e32 v105, v105
	s_waitcnt_depctr 0xfff
	v_ldexp_f32 v105, v105, v106
	s_delay_alu instid0(VALU_DEP_1) | instskip(SKIP_1) | instid1(VALU_DEP_2)
	v_cndmask_b32_e32 v105, 0, v105, vcc_lo
	v_cmp_nlt_f32_e32 vcc_lo, 0x42b17218, v104
	v_cndmask_b32_e32 v104, 0x7f800000, v105, vcc_lo
	s_delay_alu instid0(VALU_DEP_1) | instskip(NEXT) | instid1(VALU_DEP_1)
	v_add_f32_e32 v104, 1.0, v104
	v_rcp_f32_e32 v104, v104
	s_waitcnt_depctr 0xfff
	v_fma_f32 v178, v104, -2.0, 1.0
.LBB25_375:                             ;   in Loop: Header=BB25_10 Depth=1
	s_and_not1_saveexec_b32 s3, s3
; %bb.376:                              ;   in Loop: Header=BB25_10 Depth=1
	v_mul_f32_e32 v104, v96, v96
	s_delay_alu instid0(VALU_DEP_1) | instskip(NEXT) | instid1(VALU_DEP_1)
	v_fmaak_f32 v105, s49, v104, 0x3ca908c9
	v_fmaak_f32 v105, v104, v105, 0xbd5c1c4e
	s_delay_alu instid0(VALU_DEP_1) | instskip(NEXT) | instid1(VALU_DEP_1)
	v_fmaak_f32 v105, v104, v105, 0x3e088382
	v_fmaak_f32 v105, v104, v105, 0xbeaaaa99
	s_delay_alu instid0(VALU_DEP_1) | instskip(NEXT) | instid1(VALU_DEP_1)
	v_mul_f32_e64 v105, |v96|, v105
	v_fma_f32 v178, v104, v105, |v96|
; %bb.377:                              ;   in Loop: Header=BB25_10 Depth=1
	s_or_b32 exec_lo, exec_lo, s3
	v_cmp_ngt_f32_e64 s3, 0x3f200000, |v97|
                                        ; implicit-def: $vgpr179
	s_delay_alu instid0(VALU_DEP_1) | instskip(NEXT) | instid1(SALU_CYCLE_1)
	s_and_saveexec_b32 s4, s3
	s_xor_b32 s3, exec_lo, s4
	s_cbranch_execz .LBB25_379
; %bb.378:                              ;   in Loop: Header=BB25_10 Depth=1
	v_add_f32_e64 v104, |v97|, |v97|
	s_delay_alu instid0(VALU_DEP_1) | instskip(SKIP_1) | instid1(VALU_DEP_2)
	v_mul_f32_e32 v105, 0x3fb8aa3b, v104
	v_cmp_ngt_f32_e32 vcc_lo, 0xc2ce8ed0, v104
	v_rndne_f32_e32 v106, v105
	v_fma_f32 v107, 0x3fb8aa3b, v104, -v105
	s_delay_alu instid0(VALU_DEP_2) | instskip(NEXT) | instid1(VALU_DEP_2)
	v_sub_f32_e32 v105, v105, v106
	v_fmac_f32_e32 v107, 0x32a5705f, v104
	v_cvt_i32_f32_e32 v106, v106
	s_delay_alu instid0(VALU_DEP_2) | instskip(NEXT) | instid1(VALU_DEP_1)
	v_add_f32_e32 v105, v105, v107
	v_exp_f32_e32 v105, v105
	s_waitcnt_depctr 0xfff
	v_ldexp_f32 v105, v105, v106
	s_delay_alu instid0(VALU_DEP_1) | instskip(SKIP_1) | instid1(VALU_DEP_2)
	v_cndmask_b32_e32 v105, 0, v105, vcc_lo
	v_cmp_nlt_f32_e32 vcc_lo, 0x42b17218, v104
	v_cndmask_b32_e32 v104, 0x7f800000, v105, vcc_lo
	s_delay_alu instid0(VALU_DEP_1) | instskip(NEXT) | instid1(VALU_DEP_1)
	v_add_f32_e32 v104, 1.0, v104
	v_rcp_f32_e32 v104, v104
	s_waitcnt_depctr 0xfff
	v_fma_f32 v179, v104, -2.0, 1.0
.LBB25_379:                             ;   in Loop: Header=BB25_10 Depth=1
	s_and_not1_saveexec_b32 s3, s3
; %bb.380:                              ;   in Loop: Header=BB25_10 Depth=1
	v_mul_f32_e32 v104, v97, v97
	s_delay_alu instid0(VALU_DEP_1) | instskip(NEXT) | instid1(VALU_DEP_1)
	v_fmaak_f32 v105, s49, v104, 0x3ca908c9
	v_fmaak_f32 v105, v104, v105, 0xbd5c1c4e
	s_delay_alu instid0(VALU_DEP_1) | instskip(NEXT) | instid1(VALU_DEP_1)
	v_fmaak_f32 v105, v104, v105, 0x3e088382
	v_fmaak_f32 v105, v104, v105, 0xbeaaaa99
	s_delay_alu instid0(VALU_DEP_1) | instskip(NEXT) | instid1(VALU_DEP_1)
	v_mul_f32_e64 v105, |v97|, v105
	v_fma_f32 v179, v104, v105, |v97|
; %bb.381:                              ;   in Loop: Header=BB25_10 Depth=1
	s_or_b32 exec_lo, exec_lo, s3
	v_cmp_ngt_f32_e64 s3, 0x3f200000, |v98|
                                        ; implicit-def: $vgpr180
	s_delay_alu instid0(VALU_DEP_1) | instskip(NEXT) | instid1(SALU_CYCLE_1)
	s_and_saveexec_b32 s4, s3
	s_xor_b32 s3, exec_lo, s4
	s_cbranch_execz .LBB25_383
; %bb.382:                              ;   in Loop: Header=BB25_10 Depth=1
	v_add_f32_e64 v104, |v98|, |v98|
	s_delay_alu instid0(VALU_DEP_1) | instskip(SKIP_1) | instid1(VALU_DEP_2)
	v_mul_f32_e32 v105, 0x3fb8aa3b, v104
	v_cmp_ngt_f32_e32 vcc_lo, 0xc2ce8ed0, v104
	v_rndne_f32_e32 v106, v105
	v_fma_f32 v107, 0x3fb8aa3b, v104, -v105
	s_delay_alu instid0(VALU_DEP_2) | instskip(NEXT) | instid1(VALU_DEP_2)
	v_sub_f32_e32 v105, v105, v106
	v_fmac_f32_e32 v107, 0x32a5705f, v104
	v_cvt_i32_f32_e32 v106, v106
	s_delay_alu instid0(VALU_DEP_2) | instskip(NEXT) | instid1(VALU_DEP_1)
	v_add_f32_e32 v105, v105, v107
	v_exp_f32_e32 v105, v105
	s_waitcnt_depctr 0xfff
	v_ldexp_f32 v105, v105, v106
	s_delay_alu instid0(VALU_DEP_1) | instskip(SKIP_1) | instid1(VALU_DEP_2)
	v_cndmask_b32_e32 v105, 0, v105, vcc_lo
	v_cmp_nlt_f32_e32 vcc_lo, 0x42b17218, v104
	v_cndmask_b32_e32 v104, 0x7f800000, v105, vcc_lo
	s_delay_alu instid0(VALU_DEP_1) | instskip(NEXT) | instid1(VALU_DEP_1)
	v_add_f32_e32 v104, 1.0, v104
	v_rcp_f32_e32 v104, v104
	s_waitcnt_depctr 0xfff
	v_fma_f32 v180, v104, -2.0, 1.0
.LBB25_383:                             ;   in Loop: Header=BB25_10 Depth=1
	s_and_not1_saveexec_b32 s3, s3
; %bb.384:                              ;   in Loop: Header=BB25_10 Depth=1
	v_mul_f32_e32 v104, v98, v98
	s_delay_alu instid0(VALU_DEP_1) | instskip(NEXT) | instid1(VALU_DEP_1)
	v_fmaak_f32 v105, s49, v104, 0x3ca908c9
	v_fmaak_f32 v105, v104, v105, 0xbd5c1c4e
	s_delay_alu instid0(VALU_DEP_1) | instskip(NEXT) | instid1(VALU_DEP_1)
	v_fmaak_f32 v105, v104, v105, 0x3e088382
	v_fmaak_f32 v105, v104, v105, 0xbeaaaa99
	s_delay_alu instid0(VALU_DEP_1) | instskip(NEXT) | instid1(VALU_DEP_1)
	v_mul_f32_e64 v105, |v98|, v105
	v_fma_f32 v180, v104, v105, |v98|
; %bb.385:                              ;   in Loop: Header=BB25_10 Depth=1
	s_or_b32 exec_lo, exec_lo, s3
	v_cmp_ngt_f32_e64 s3, 0x3f200000, |v99|
                                        ; implicit-def: $vgpr181
	s_delay_alu instid0(VALU_DEP_1) | instskip(NEXT) | instid1(SALU_CYCLE_1)
	s_and_saveexec_b32 s4, s3
	s_xor_b32 s3, exec_lo, s4
	s_cbranch_execz .LBB25_387
; %bb.386:                              ;   in Loop: Header=BB25_10 Depth=1
	v_add_f32_e64 v104, |v99|, |v99|
	s_delay_alu instid0(VALU_DEP_1) | instskip(SKIP_1) | instid1(VALU_DEP_2)
	v_mul_f32_e32 v105, 0x3fb8aa3b, v104
	v_cmp_ngt_f32_e32 vcc_lo, 0xc2ce8ed0, v104
	v_rndne_f32_e32 v106, v105
	v_fma_f32 v107, 0x3fb8aa3b, v104, -v105
	s_delay_alu instid0(VALU_DEP_2) | instskip(NEXT) | instid1(VALU_DEP_2)
	v_sub_f32_e32 v105, v105, v106
	v_fmac_f32_e32 v107, 0x32a5705f, v104
	v_cvt_i32_f32_e32 v106, v106
	s_delay_alu instid0(VALU_DEP_2) | instskip(NEXT) | instid1(VALU_DEP_1)
	v_add_f32_e32 v105, v105, v107
	v_exp_f32_e32 v105, v105
	s_waitcnt_depctr 0xfff
	v_ldexp_f32 v105, v105, v106
	s_delay_alu instid0(VALU_DEP_1) | instskip(SKIP_1) | instid1(VALU_DEP_2)
	v_cndmask_b32_e32 v105, 0, v105, vcc_lo
	v_cmp_nlt_f32_e32 vcc_lo, 0x42b17218, v104
	v_cndmask_b32_e32 v104, 0x7f800000, v105, vcc_lo
	s_delay_alu instid0(VALU_DEP_1) | instskip(NEXT) | instid1(VALU_DEP_1)
	v_add_f32_e32 v104, 1.0, v104
	v_rcp_f32_e32 v104, v104
	s_waitcnt_depctr 0xfff
	v_fma_f32 v181, v104, -2.0, 1.0
.LBB25_387:                             ;   in Loop: Header=BB25_10 Depth=1
	s_and_not1_saveexec_b32 s3, s3
; %bb.388:                              ;   in Loop: Header=BB25_10 Depth=1
	v_mul_f32_e32 v104, v99, v99
	s_delay_alu instid0(VALU_DEP_1) | instskip(NEXT) | instid1(VALU_DEP_1)
	v_fmaak_f32 v105, s49, v104, 0x3ca908c9
	v_fmaak_f32 v105, v104, v105, 0xbd5c1c4e
	s_delay_alu instid0(VALU_DEP_1) | instskip(NEXT) | instid1(VALU_DEP_1)
	v_fmaak_f32 v105, v104, v105, 0x3e088382
	v_fmaak_f32 v105, v104, v105, 0xbeaaaa99
	s_delay_alu instid0(VALU_DEP_1) | instskip(NEXT) | instid1(VALU_DEP_1)
	v_mul_f32_e64 v105, |v99|, v105
	v_fma_f32 v181, v104, v105, |v99|
; %bb.389:                              ;   in Loop: Header=BB25_10 Depth=1
	s_or_b32 exec_lo, exec_lo, s3
	v_cmp_ngt_f32_e64 s3, 0x3f200000, |v100|
                                        ; implicit-def: $vgpr182
	s_delay_alu instid0(VALU_DEP_1) | instskip(NEXT) | instid1(SALU_CYCLE_1)
	s_and_saveexec_b32 s4, s3
	s_xor_b32 s3, exec_lo, s4
	s_cbranch_execz .LBB25_391
; %bb.390:                              ;   in Loop: Header=BB25_10 Depth=1
	v_add_f32_e64 v104, |v100|, |v100|
	s_delay_alu instid0(VALU_DEP_1) | instskip(SKIP_1) | instid1(VALU_DEP_2)
	v_mul_f32_e32 v105, 0x3fb8aa3b, v104
	v_cmp_ngt_f32_e32 vcc_lo, 0xc2ce8ed0, v104
	v_rndne_f32_e32 v106, v105
	v_fma_f32 v107, 0x3fb8aa3b, v104, -v105
	s_delay_alu instid0(VALU_DEP_2) | instskip(NEXT) | instid1(VALU_DEP_2)
	v_sub_f32_e32 v105, v105, v106
	v_fmac_f32_e32 v107, 0x32a5705f, v104
	v_cvt_i32_f32_e32 v106, v106
	s_delay_alu instid0(VALU_DEP_2) | instskip(NEXT) | instid1(VALU_DEP_1)
	v_add_f32_e32 v105, v105, v107
	v_exp_f32_e32 v105, v105
	s_waitcnt_depctr 0xfff
	v_ldexp_f32 v105, v105, v106
	s_delay_alu instid0(VALU_DEP_1) | instskip(SKIP_1) | instid1(VALU_DEP_2)
	v_cndmask_b32_e32 v105, 0, v105, vcc_lo
	v_cmp_nlt_f32_e32 vcc_lo, 0x42b17218, v104
	v_cndmask_b32_e32 v104, 0x7f800000, v105, vcc_lo
	s_delay_alu instid0(VALU_DEP_1) | instskip(NEXT) | instid1(VALU_DEP_1)
	v_add_f32_e32 v104, 1.0, v104
	v_rcp_f32_e32 v104, v104
	s_waitcnt_depctr 0xfff
	v_fma_f32 v182, v104, -2.0, 1.0
.LBB25_391:                             ;   in Loop: Header=BB25_10 Depth=1
	s_and_not1_saveexec_b32 s3, s3
; %bb.392:                              ;   in Loop: Header=BB25_10 Depth=1
	v_mul_f32_e32 v104, v100, v100
	s_delay_alu instid0(VALU_DEP_1) | instskip(NEXT) | instid1(VALU_DEP_1)
	v_fmaak_f32 v105, s49, v104, 0x3ca908c9
	v_fmaak_f32 v105, v104, v105, 0xbd5c1c4e
	s_delay_alu instid0(VALU_DEP_1) | instskip(NEXT) | instid1(VALU_DEP_1)
	v_fmaak_f32 v105, v104, v105, 0x3e088382
	v_fmaak_f32 v105, v104, v105, 0xbeaaaa99
	s_delay_alu instid0(VALU_DEP_1) | instskip(NEXT) | instid1(VALU_DEP_1)
	v_mul_f32_e64 v105, |v100|, v105
	v_fma_f32 v182, v104, v105, |v100|
; %bb.393:                              ;   in Loop: Header=BB25_10 Depth=1
	s_or_b32 exec_lo, exec_lo, s3
	v_cmp_ngt_f32_e64 s3, 0x3f200000, |v101|
                                        ; implicit-def: $vgpr183
	s_delay_alu instid0(VALU_DEP_1) | instskip(NEXT) | instid1(SALU_CYCLE_1)
	s_and_saveexec_b32 s4, s3
	s_xor_b32 s3, exec_lo, s4
	s_cbranch_execz .LBB25_395
; %bb.394:                              ;   in Loop: Header=BB25_10 Depth=1
	v_add_f32_e64 v104, |v101|, |v101|
	s_delay_alu instid0(VALU_DEP_1) | instskip(SKIP_1) | instid1(VALU_DEP_2)
	v_mul_f32_e32 v105, 0x3fb8aa3b, v104
	v_cmp_ngt_f32_e32 vcc_lo, 0xc2ce8ed0, v104
	v_rndne_f32_e32 v106, v105
	v_fma_f32 v107, 0x3fb8aa3b, v104, -v105
	s_delay_alu instid0(VALU_DEP_2) | instskip(NEXT) | instid1(VALU_DEP_2)
	v_sub_f32_e32 v105, v105, v106
	v_fmac_f32_e32 v107, 0x32a5705f, v104
	v_cvt_i32_f32_e32 v106, v106
	s_delay_alu instid0(VALU_DEP_2) | instskip(NEXT) | instid1(VALU_DEP_1)
	v_add_f32_e32 v105, v105, v107
	v_exp_f32_e32 v105, v105
	s_waitcnt_depctr 0xfff
	v_ldexp_f32 v105, v105, v106
	s_delay_alu instid0(VALU_DEP_1) | instskip(SKIP_1) | instid1(VALU_DEP_2)
	v_cndmask_b32_e32 v105, 0, v105, vcc_lo
	v_cmp_nlt_f32_e32 vcc_lo, 0x42b17218, v104
	v_cndmask_b32_e32 v104, 0x7f800000, v105, vcc_lo
	s_delay_alu instid0(VALU_DEP_1) | instskip(NEXT) | instid1(VALU_DEP_1)
	v_add_f32_e32 v104, 1.0, v104
	v_rcp_f32_e32 v104, v104
	s_waitcnt_depctr 0xfff
	v_fma_f32 v183, v104, -2.0, 1.0
.LBB25_395:                             ;   in Loop: Header=BB25_10 Depth=1
	s_and_not1_saveexec_b32 s3, s3
; %bb.396:                              ;   in Loop: Header=BB25_10 Depth=1
	v_mul_f32_e32 v104, v101, v101
	s_delay_alu instid0(VALU_DEP_1) | instskip(NEXT) | instid1(VALU_DEP_1)
	v_fmaak_f32 v105, s49, v104, 0x3ca908c9
	v_fmaak_f32 v105, v104, v105, 0xbd5c1c4e
	s_delay_alu instid0(VALU_DEP_1) | instskip(NEXT) | instid1(VALU_DEP_1)
	v_fmaak_f32 v105, v104, v105, 0x3e088382
	v_fmaak_f32 v105, v104, v105, 0xbeaaaa99
	s_delay_alu instid0(VALU_DEP_1) | instskip(NEXT) | instid1(VALU_DEP_1)
	v_mul_f32_e64 v105, |v101|, v105
	v_fma_f32 v183, v104, v105, |v101|
; %bb.397:                              ;   in Loop: Header=BB25_10 Depth=1
	s_or_b32 exec_lo, exec_lo, s3
	v_cmp_ngt_f32_e64 s3, 0x3f200000, |v102|
                                        ; implicit-def: $vgpr184
	s_delay_alu instid0(VALU_DEP_1) | instskip(NEXT) | instid1(SALU_CYCLE_1)
	s_and_saveexec_b32 s4, s3
	s_xor_b32 s3, exec_lo, s4
	s_cbranch_execz .LBB25_399
; %bb.398:                              ;   in Loop: Header=BB25_10 Depth=1
	v_add_f32_e64 v104, |v102|, |v102|
	s_delay_alu instid0(VALU_DEP_1) | instskip(SKIP_1) | instid1(VALU_DEP_2)
	v_mul_f32_e32 v105, 0x3fb8aa3b, v104
	v_cmp_ngt_f32_e32 vcc_lo, 0xc2ce8ed0, v104
	v_rndne_f32_e32 v106, v105
	v_fma_f32 v107, 0x3fb8aa3b, v104, -v105
	s_delay_alu instid0(VALU_DEP_2) | instskip(NEXT) | instid1(VALU_DEP_2)
	v_sub_f32_e32 v105, v105, v106
	v_fmac_f32_e32 v107, 0x32a5705f, v104
	v_cvt_i32_f32_e32 v106, v106
	s_delay_alu instid0(VALU_DEP_2) | instskip(NEXT) | instid1(VALU_DEP_1)
	v_add_f32_e32 v105, v105, v107
	v_exp_f32_e32 v105, v105
	s_waitcnt_depctr 0xfff
	v_ldexp_f32 v105, v105, v106
	s_delay_alu instid0(VALU_DEP_1) | instskip(SKIP_1) | instid1(VALU_DEP_2)
	v_cndmask_b32_e32 v105, 0, v105, vcc_lo
	v_cmp_nlt_f32_e32 vcc_lo, 0x42b17218, v104
	v_cndmask_b32_e32 v104, 0x7f800000, v105, vcc_lo
	s_delay_alu instid0(VALU_DEP_1) | instskip(NEXT) | instid1(VALU_DEP_1)
	v_add_f32_e32 v104, 1.0, v104
	v_rcp_f32_e32 v104, v104
	s_waitcnt_depctr 0xfff
	v_fma_f32 v184, v104, -2.0, 1.0
.LBB25_399:                             ;   in Loop: Header=BB25_10 Depth=1
	s_and_not1_saveexec_b32 s3, s3
; %bb.400:                              ;   in Loop: Header=BB25_10 Depth=1
	v_mul_f32_e32 v104, v102, v102
	s_delay_alu instid0(VALU_DEP_1) | instskip(NEXT) | instid1(VALU_DEP_1)
	v_fmaak_f32 v105, s49, v104, 0x3ca908c9
	v_fmaak_f32 v105, v104, v105, 0xbd5c1c4e
	s_delay_alu instid0(VALU_DEP_1) | instskip(NEXT) | instid1(VALU_DEP_1)
	v_fmaak_f32 v105, v104, v105, 0x3e088382
	v_fmaak_f32 v105, v104, v105, 0xbeaaaa99
	s_delay_alu instid0(VALU_DEP_1) | instskip(NEXT) | instid1(VALU_DEP_1)
	v_mul_f32_e64 v105, |v102|, v105
	v_fma_f32 v184, v104, v105, |v102|
; %bb.401:                              ;   in Loop: Header=BB25_10 Depth=1
	s_or_b32 exec_lo, exec_lo, s3
	v_cmp_ngt_f32_e64 s3, 0x3f200000, |v103|
                                        ; implicit-def: $vgpr185
	s_delay_alu instid0(VALU_DEP_1) | instskip(NEXT) | instid1(SALU_CYCLE_1)
	s_and_saveexec_b32 s4, s3
	s_xor_b32 s3, exec_lo, s4
	s_cbranch_execz .LBB25_403
; %bb.402:                              ;   in Loop: Header=BB25_10 Depth=1
	v_add_f32_e64 v104, |v103|, |v103|
	s_delay_alu instid0(VALU_DEP_1) | instskip(SKIP_1) | instid1(VALU_DEP_2)
	v_mul_f32_e32 v105, 0x3fb8aa3b, v104
	v_cmp_ngt_f32_e32 vcc_lo, 0xc2ce8ed0, v104
	v_rndne_f32_e32 v106, v105
	v_fma_f32 v107, 0x3fb8aa3b, v104, -v105
	s_delay_alu instid0(VALU_DEP_2) | instskip(NEXT) | instid1(VALU_DEP_2)
	v_sub_f32_e32 v105, v105, v106
	v_fmac_f32_e32 v107, 0x32a5705f, v104
	v_cvt_i32_f32_e32 v106, v106
	s_delay_alu instid0(VALU_DEP_2) | instskip(NEXT) | instid1(VALU_DEP_1)
	v_add_f32_e32 v105, v105, v107
	v_exp_f32_e32 v105, v105
	s_waitcnt_depctr 0xfff
	v_ldexp_f32 v105, v105, v106
	s_delay_alu instid0(VALU_DEP_1) | instskip(SKIP_1) | instid1(VALU_DEP_2)
	v_cndmask_b32_e32 v105, 0, v105, vcc_lo
	v_cmp_nlt_f32_e32 vcc_lo, 0x42b17218, v104
	v_cndmask_b32_e32 v104, 0x7f800000, v105, vcc_lo
	s_delay_alu instid0(VALU_DEP_1) | instskip(NEXT) | instid1(VALU_DEP_1)
	v_add_f32_e32 v104, 1.0, v104
	v_rcp_f32_e32 v104, v104
	s_waitcnt_depctr 0xfff
	v_fma_f32 v185, v104, -2.0, 1.0
.LBB25_403:                             ;   in Loop: Header=BB25_10 Depth=1
	s_and_not1_saveexec_b32 s3, s3
; %bb.404:                              ;   in Loop: Header=BB25_10 Depth=1
	v_mul_f32_e32 v104, v103, v103
	s_delay_alu instid0(VALU_DEP_1) | instskip(NEXT) | instid1(VALU_DEP_1)
	v_fmaak_f32 v105, s49, v104, 0x3ca908c9
	v_fmaak_f32 v105, v104, v105, 0xbd5c1c4e
	s_delay_alu instid0(VALU_DEP_1) | instskip(NEXT) | instid1(VALU_DEP_1)
	v_fmaak_f32 v105, v104, v105, 0x3e088382
	v_fmaak_f32 v105, v104, v105, 0xbeaaaa99
	s_delay_alu instid0(VALU_DEP_1) | instskip(NEXT) | instid1(VALU_DEP_1)
	v_mul_f32_e64 v105, |v103|, v105
	v_fma_f32 v185, v104, v105, |v103|
; %bb.405:                              ;   in Loop: Header=BB25_10 Depth=1
	s_or_b32 exec_lo, exec_lo, s3
	v_dual_mov_b32 v199, s43 :: v_dual_mov_b32 v198, s42
	v_dual_mov_b32 v197, s41 :: v_dual_mov_b32 v196, s40
	;; [unrolled: 1-line block ×4, first 2 shown]
	s_delay_alu instid0(VALU_DEP_1) | instskip(NEXT) | instid1(VALU_DEP_1)
	v_wmma_f32_16x16x16_f16 v[104:111], v[168:175], v[40:47], v[192:199]
	v_wmma_f32_16x16x16_f16 v[104:111], v[160:167], v[32:39], v[104:111]
                                        ; implicit-def: $vgpr32
	s_delay_alu instid0(VALU_DEP_1) | instskip(NEXT) | instid1(VALU_DEP_1)
	v_wmma_f32_16x16x16_f16 v[104:111], v[152:159], v[48:55], v[104:111]
	v_wmma_f32_16x16x16_f16 v[104:111], v[144:151], v[56:63], v[104:111]
	s_delay_alu instid0(VALU_DEP_1) | instskip(NEXT) | instid1(VALU_DEP_1)
	v_wmma_f32_16x16x16_f16 v[104:111], v[136:143], v[64:71], v[104:111]
	v_wmma_f32_16x16x16_f16 v[104:111], v[128:135], v[72:79], v[104:111]
	;; [unrolled: 3-line block ×3, first 2 shown]
	s_delay_alu instid0(VALU_DEP_1) | instskip(NEXT) | instid1(VALU_DEP_1)
	v_cmp_ngt_f32_e64 s3, 0x3f200000, |v104|
	s_and_saveexec_b32 s4, s3
	s_delay_alu instid0(SALU_CYCLE_1)
	s_xor_b32 s3, exec_lo, s4
	s_cbranch_execz .LBB25_407
; %bb.406:                              ;   in Loop: Header=BB25_10 Depth=1
	v_add_f32_e64 v32, |v104|, |v104|
	s_delay_alu instid0(VALU_DEP_1) | instskip(SKIP_1) | instid1(VALU_DEP_2)
	v_mul_f32_e32 v33, 0x3fb8aa3b, v32
	v_cmp_ngt_f32_e32 vcc_lo, 0xc2ce8ed0, v32
	v_rndne_f32_e32 v34, v33
	v_fma_f32 v35, 0x3fb8aa3b, v32, -v33
	s_delay_alu instid0(VALU_DEP_2) | instskip(NEXT) | instid1(VALU_DEP_2)
	v_sub_f32_e32 v33, v33, v34
	v_fmac_f32_e32 v35, 0x32a5705f, v32
	v_cvt_i32_f32_e32 v34, v34
	s_delay_alu instid0(VALU_DEP_2) | instskip(NEXT) | instid1(VALU_DEP_1)
	v_add_f32_e32 v33, v33, v35
	v_exp_f32_e32 v33, v33
	s_waitcnt_depctr 0xfff
	v_ldexp_f32 v33, v33, v34
	s_delay_alu instid0(VALU_DEP_1) | instskip(SKIP_1) | instid1(VALU_DEP_2)
	v_cndmask_b32_e32 v33, 0, v33, vcc_lo
	v_cmp_nlt_f32_e32 vcc_lo, 0x42b17218, v32
	v_cndmask_b32_e32 v32, 0x7f800000, v33, vcc_lo
	s_delay_alu instid0(VALU_DEP_1) | instskip(NEXT) | instid1(VALU_DEP_1)
	v_add_f32_e32 v32, 1.0, v32
	v_rcp_f32_e32 v32, v32
	s_waitcnt_depctr 0xfff
	v_fma_f32 v32, v32, -2.0, 1.0
.LBB25_407:                             ;   in Loop: Header=BB25_10 Depth=1
	s_and_not1_saveexec_b32 s3, s3
; %bb.408:                              ;   in Loop: Header=BB25_10 Depth=1
	v_mul_f32_e32 v32, v104, v104
	s_delay_alu instid0(VALU_DEP_1) | instskip(NEXT) | instid1(VALU_DEP_1)
	v_fmaak_f32 v33, s49, v32, 0x3ca908c9
	v_fmaak_f32 v33, v32, v33, 0xbd5c1c4e
	s_delay_alu instid0(VALU_DEP_1) | instskip(NEXT) | instid1(VALU_DEP_1)
	v_fmaak_f32 v33, v32, v33, 0x3e088382
	v_fmaak_f32 v33, v32, v33, 0xbeaaaa99
	s_delay_alu instid0(VALU_DEP_1) | instskip(NEXT) | instid1(VALU_DEP_1)
	v_mul_f32_e64 v33, |v104|, v33
	v_fma_f32 v32, v32, v33, |v104|
; %bb.409:                              ;   in Loop: Header=BB25_10 Depth=1
	s_or_b32 exec_lo, exec_lo, s3
	v_cmp_ngt_f32_e64 s3, 0x3f200000, |v105|
                                        ; implicit-def: $vgpr33
	s_delay_alu instid0(VALU_DEP_1) | instskip(NEXT) | instid1(SALU_CYCLE_1)
	s_and_saveexec_b32 s4, s3
	s_xor_b32 s3, exec_lo, s4
	s_cbranch_execz .LBB25_411
; %bb.410:                              ;   in Loop: Header=BB25_10 Depth=1
	v_add_f32_e64 v33, |v105|, |v105|
	s_delay_alu instid0(VALU_DEP_1) | instskip(SKIP_1) | instid1(VALU_DEP_2)
	v_mul_f32_e32 v34, 0x3fb8aa3b, v33
	v_cmp_ngt_f32_e32 vcc_lo, 0xc2ce8ed0, v33
	v_rndne_f32_e32 v35, v34
	v_fma_f32 v36, 0x3fb8aa3b, v33, -v34
	s_delay_alu instid0(VALU_DEP_2) | instskip(NEXT) | instid1(VALU_DEP_2)
	v_sub_f32_e32 v34, v34, v35
	v_fmac_f32_e32 v36, 0x32a5705f, v33
	v_cvt_i32_f32_e32 v35, v35
	s_delay_alu instid0(VALU_DEP_2) | instskip(NEXT) | instid1(VALU_DEP_1)
	v_add_f32_e32 v34, v34, v36
	v_exp_f32_e32 v34, v34
	s_waitcnt_depctr 0xfff
	v_ldexp_f32 v34, v34, v35
	s_delay_alu instid0(VALU_DEP_1) | instskip(SKIP_1) | instid1(VALU_DEP_2)
	v_cndmask_b32_e32 v34, 0, v34, vcc_lo
	v_cmp_nlt_f32_e32 vcc_lo, 0x42b17218, v33
	v_cndmask_b32_e32 v33, 0x7f800000, v34, vcc_lo
	s_delay_alu instid0(VALU_DEP_1) | instskip(NEXT) | instid1(VALU_DEP_1)
	v_add_f32_e32 v33, 1.0, v33
	v_rcp_f32_e32 v33, v33
	s_waitcnt_depctr 0xfff
	v_fma_f32 v33, v33, -2.0, 1.0
.LBB25_411:                             ;   in Loop: Header=BB25_10 Depth=1
	s_and_not1_saveexec_b32 s3, s3
; %bb.412:                              ;   in Loop: Header=BB25_10 Depth=1
	v_mul_f32_e32 v33, v105, v105
	s_delay_alu instid0(VALU_DEP_1) | instskip(NEXT) | instid1(VALU_DEP_1)
	v_fmaak_f32 v34, s49, v33, 0x3ca908c9
	v_fmaak_f32 v34, v33, v34, 0xbd5c1c4e
	s_delay_alu instid0(VALU_DEP_1) | instskip(NEXT) | instid1(VALU_DEP_1)
	v_fmaak_f32 v34, v33, v34, 0x3e088382
	v_fmaak_f32 v34, v33, v34, 0xbeaaaa99
	s_delay_alu instid0(VALU_DEP_1) | instskip(NEXT) | instid1(VALU_DEP_1)
	v_mul_f32_e64 v34, |v105|, v34
	v_fma_f32 v33, v33, v34, |v105|
; %bb.413:                              ;   in Loop: Header=BB25_10 Depth=1
	s_or_b32 exec_lo, exec_lo, s3
	v_cmp_ngt_f32_e64 s3, 0x3f200000, |v106|
                                        ; implicit-def: $vgpr34
	s_delay_alu instid0(VALU_DEP_1) | instskip(NEXT) | instid1(SALU_CYCLE_1)
	s_and_saveexec_b32 s4, s3
	s_xor_b32 s3, exec_lo, s4
	s_cbranch_execz .LBB25_415
; %bb.414:                              ;   in Loop: Header=BB25_10 Depth=1
	v_add_f32_e64 v34, |v106|, |v106|
	s_delay_alu instid0(VALU_DEP_1) | instskip(SKIP_1) | instid1(VALU_DEP_2)
	v_mul_f32_e32 v35, 0x3fb8aa3b, v34
	v_cmp_ngt_f32_e32 vcc_lo, 0xc2ce8ed0, v34
	v_rndne_f32_e32 v36, v35
	v_fma_f32 v37, 0x3fb8aa3b, v34, -v35
	s_delay_alu instid0(VALU_DEP_2) | instskip(NEXT) | instid1(VALU_DEP_2)
	v_sub_f32_e32 v35, v35, v36
	v_fmac_f32_e32 v37, 0x32a5705f, v34
	v_cvt_i32_f32_e32 v36, v36
	s_delay_alu instid0(VALU_DEP_2) | instskip(NEXT) | instid1(VALU_DEP_1)
	v_add_f32_e32 v35, v35, v37
	v_exp_f32_e32 v35, v35
	s_waitcnt_depctr 0xfff
	v_ldexp_f32 v35, v35, v36
	s_delay_alu instid0(VALU_DEP_1) | instskip(SKIP_1) | instid1(VALU_DEP_2)
	v_cndmask_b32_e32 v35, 0, v35, vcc_lo
	v_cmp_nlt_f32_e32 vcc_lo, 0x42b17218, v34
	v_cndmask_b32_e32 v34, 0x7f800000, v35, vcc_lo
	s_delay_alu instid0(VALU_DEP_1) | instskip(NEXT) | instid1(VALU_DEP_1)
	v_add_f32_e32 v34, 1.0, v34
	v_rcp_f32_e32 v34, v34
	s_waitcnt_depctr 0xfff
	v_fma_f32 v34, v34, -2.0, 1.0
.LBB25_415:                             ;   in Loop: Header=BB25_10 Depth=1
	s_and_not1_saveexec_b32 s3, s3
; %bb.416:                              ;   in Loop: Header=BB25_10 Depth=1
	v_mul_f32_e32 v34, v106, v106
	s_delay_alu instid0(VALU_DEP_1) | instskip(NEXT) | instid1(VALU_DEP_1)
	v_fmaak_f32 v35, s49, v34, 0x3ca908c9
	v_fmaak_f32 v35, v34, v35, 0xbd5c1c4e
	s_delay_alu instid0(VALU_DEP_1) | instskip(NEXT) | instid1(VALU_DEP_1)
	v_fmaak_f32 v35, v34, v35, 0x3e088382
	v_fmaak_f32 v35, v34, v35, 0xbeaaaa99
	s_delay_alu instid0(VALU_DEP_1) | instskip(NEXT) | instid1(VALU_DEP_1)
	v_mul_f32_e64 v35, |v106|, v35
	v_fma_f32 v34, v34, v35, |v106|
; %bb.417:                              ;   in Loop: Header=BB25_10 Depth=1
	s_or_b32 exec_lo, exec_lo, s3
	v_cmp_ngt_f32_e64 s3, 0x3f200000, |v107|
                                        ; implicit-def: $vgpr35
	s_delay_alu instid0(VALU_DEP_1) | instskip(NEXT) | instid1(SALU_CYCLE_1)
	s_and_saveexec_b32 s4, s3
	s_xor_b32 s3, exec_lo, s4
	s_cbranch_execz .LBB25_419
; %bb.418:                              ;   in Loop: Header=BB25_10 Depth=1
	v_add_f32_e64 v35, |v107|, |v107|
	s_delay_alu instid0(VALU_DEP_1) | instskip(SKIP_1) | instid1(VALU_DEP_2)
	v_mul_f32_e32 v36, 0x3fb8aa3b, v35
	v_cmp_ngt_f32_e32 vcc_lo, 0xc2ce8ed0, v35
	v_rndne_f32_e32 v37, v36
	v_fma_f32 v38, 0x3fb8aa3b, v35, -v36
	s_delay_alu instid0(VALU_DEP_2) | instskip(NEXT) | instid1(VALU_DEP_2)
	v_sub_f32_e32 v36, v36, v37
	v_fmac_f32_e32 v38, 0x32a5705f, v35
	v_cvt_i32_f32_e32 v37, v37
	s_delay_alu instid0(VALU_DEP_2) | instskip(NEXT) | instid1(VALU_DEP_1)
	v_add_f32_e32 v36, v36, v38
	v_exp_f32_e32 v36, v36
	s_waitcnt_depctr 0xfff
	v_ldexp_f32 v36, v36, v37
	s_delay_alu instid0(VALU_DEP_1) | instskip(SKIP_1) | instid1(VALU_DEP_2)
	v_cndmask_b32_e32 v36, 0, v36, vcc_lo
	v_cmp_nlt_f32_e32 vcc_lo, 0x42b17218, v35
	v_cndmask_b32_e32 v35, 0x7f800000, v36, vcc_lo
	s_delay_alu instid0(VALU_DEP_1) | instskip(NEXT) | instid1(VALU_DEP_1)
	v_add_f32_e32 v35, 1.0, v35
	v_rcp_f32_e32 v35, v35
	s_waitcnt_depctr 0xfff
	v_fma_f32 v35, v35, -2.0, 1.0
.LBB25_419:                             ;   in Loop: Header=BB25_10 Depth=1
	s_and_not1_saveexec_b32 s3, s3
; %bb.420:                              ;   in Loop: Header=BB25_10 Depth=1
	v_mul_f32_e32 v35, v107, v107
	s_delay_alu instid0(VALU_DEP_1) | instskip(NEXT) | instid1(VALU_DEP_1)
	v_fmaak_f32 v36, s49, v35, 0x3ca908c9
	v_fmaak_f32 v36, v35, v36, 0xbd5c1c4e
	s_delay_alu instid0(VALU_DEP_1) | instskip(NEXT) | instid1(VALU_DEP_1)
	v_fmaak_f32 v36, v35, v36, 0x3e088382
	v_fmaak_f32 v36, v35, v36, 0xbeaaaa99
	s_delay_alu instid0(VALU_DEP_1) | instskip(NEXT) | instid1(VALU_DEP_1)
	v_mul_f32_e64 v36, |v107|, v36
	v_fma_f32 v35, v35, v36, |v107|
; %bb.421:                              ;   in Loop: Header=BB25_10 Depth=1
	s_or_b32 exec_lo, exec_lo, s3
	v_cmp_ngt_f32_e64 s3, 0x3f200000, |v108|
                                        ; implicit-def: $vgpr36
	s_delay_alu instid0(VALU_DEP_1) | instskip(NEXT) | instid1(SALU_CYCLE_1)
	s_and_saveexec_b32 s4, s3
	s_xor_b32 s3, exec_lo, s4
	s_cbranch_execz .LBB25_423
; %bb.422:                              ;   in Loop: Header=BB25_10 Depth=1
	v_add_f32_e64 v36, |v108|, |v108|
	s_delay_alu instid0(VALU_DEP_1) | instskip(SKIP_1) | instid1(VALU_DEP_2)
	v_mul_f32_e32 v37, 0x3fb8aa3b, v36
	v_cmp_ngt_f32_e32 vcc_lo, 0xc2ce8ed0, v36
	v_rndne_f32_e32 v38, v37
	v_fma_f32 v39, 0x3fb8aa3b, v36, -v37
	s_delay_alu instid0(VALU_DEP_2) | instskip(NEXT) | instid1(VALU_DEP_2)
	v_sub_f32_e32 v37, v37, v38
	v_fmac_f32_e32 v39, 0x32a5705f, v36
	v_cvt_i32_f32_e32 v38, v38
	s_delay_alu instid0(VALU_DEP_2) | instskip(NEXT) | instid1(VALU_DEP_1)
	v_add_f32_e32 v37, v37, v39
	v_exp_f32_e32 v37, v37
	s_waitcnt_depctr 0xfff
	v_ldexp_f32 v37, v37, v38
	s_delay_alu instid0(VALU_DEP_1) | instskip(SKIP_1) | instid1(VALU_DEP_2)
	v_cndmask_b32_e32 v37, 0, v37, vcc_lo
	v_cmp_nlt_f32_e32 vcc_lo, 0x42b17218, v36
	v_cndmask_b32_e32 v36, 0x7f800000, v37, vcc_lo
	s_delay_alu instid0(VALU_DEP_1) | instskip(NEXT) | instid1(VALU_DEP_1)
	v_add_f32_e32 v36, 1.0, v36
	v_rcp_f32_e32 v36, v36
	s_waitcnt_depctr 0xfff
	v_fma_f32 v36, v36, -2.0, 1.0
.LBB25_423:                             ;   in Loop: Header=BB25_10 Depth=1
	s_and_not1_saveexec_b32 s3, s3
; %bb.424:                              ;   in Loop: Header=BB25_10 Depth=1
	v_mul_f32_e32 v36, v108, v108
	s_delay_alu instid0(VALU_DEP_1) | instskip(NEXT) | instid1(VALU_DEP_1)
	v_fmaak_f32 v37, s49, v36, 0x3ca908c9
	v_fmaak_f32 v37, v36, v37, 0xbd5c1c4e
	s_delay_alu instid0(VALU_DEP_1) | instskip(NEXT) | instid1(VALU_DEP_1)
	v_fmaak_f32 v37, v36, v37, 0x3e088382
	v_fmaak_f32 v37, v36, v37, 0xbeaaaa99
	s_delay_alu instid0(VALU_DEP_1) | instskip(NEXT) | instid1(VALU_DEP_1)
	v_mul_f32_e64 v37, |v108|, v37
	v_fma_f32 v36, v36, v37, |v108|
; %bb.425:                              ;   in Loop: Header=BB25_10 Depth=1
	s_or_b32 exec_lo, exec_lo, s3
	v_cmp_ngt_f32_e64 s3, 0x3f200000, |v109|
                                        ; implicit-def: $vgpr37
	s_delay_alu instid0(VALU_DEP_1) | instskip(NEXT) | instid1(SALU_CYCLE_1)
	s_and_saveexec_b32 s4, s3
	s_xor_b32 s3, exec_lo, s4
	s_cbranch_execz .LBB25_427
; %bb.426:                              ;   in Loop: Header=BB25_10 Depth=1
	v_add_f32_e64 v37, |v109|, |v109|
	s_delay_alu instid0(VALU_DEP_1) | instskip(SKIP_1) | instid1(VALU_DEP_2)
	v_mul_f32_e32 v38, 0x3fb8aa3b, v37
	v_cmp_ngt_f32_e32 vcc_lo, 0xc2ce8ed0, v37
	v_rndne_f32_e32 v39, v38
	v_fma_f32 v40, 0x3fb8aa3b, v37, -v38
	s_delay_alu instid0(VALU_DEP_2) | instskip(NEXT) | instid1(VALU_DEP_2)
	v_sub_f32_e32 v38, v38, v39
	v_fmac_f32_e32 v40, 0x32a5705f, v37
	v_cvt_i32_f32_e32 v39, v39
	s_delay_alu instid0(VALU_DEP_2) | instskip(NEXT) | instid1(VALU_DEP_1)
	v_add_f32_e32 v38, v38, v40
	v_exp_f32_e32 v38, v38
	s_waitcnt_depctr 0xfff
	v_ldexp_f32 v38, v38, v39
	s_delay_alu instid0(VALU_DEP_1) | instskip(SKIP_1) | instid1(VALU_DEP_2)
	v_cndmask_b32_e32 v38, 0, v38, vcc_lo
	v_cmp_nlt_f32_e32 vcc_lo, 0x42b17218, v37
	v_cndmask_b32_e32 v37, 0x7f800000, v38, vcc_lo
	s_delay_alu instid0(VALU_DEP_1) | instskip(NEXT) | instid1(VALU_DEP_1)
	v_add_f32_e32 v37, 1.0, v37
	v_rcp_f32_e32 v37, v37
	s_waitcnt_depctr 0xfff
	v_fma_f32 v37, v37, -2.0, 1.0
.LBB25_427:                             ;   in Loop: Header=BB25_10 Depth=1
	s_and_not1_saveexec_b32 s3, s3
; %bb.428:                              ;   in Loop: Header=BB25_10 Depth=1
	v_mul_f32_e32 v37, v109, v109
	s_delay_alu instid0(VALU_DEP_1) | instskip(NEXT) | instid1(VALU_DEP_1)
	v_fmaak_f32 v38, s49, v37, 0x3ca908c9
	v_fmaak_f32 v38, v37, v38, 0xbd5c1c4e
	s_delay_alu instid0(VALU_DEP_1) | instskip(NEXT) | instid1(VALU_DEP_1)
	v_fmaak_f32 v38, v37, v38, 0x3e088382
	v_fmaak_f32 v38, v37, v38, 0xbeaaaa99
	s_delay_alu instid0(VALU_DEP_1) | instskip(NEXT) | instid1(VALU_DEP_1)
	v_mul_f32_e64 v38, |v109|, v38
	v_fma_f32 v37, v37, v38, |v109|
; %bb.429:                              ;   in Loop: Header=BB25_10 Depth=1
	s_or_b32 exec_lo, exec_lo, s3
	v_cmp_ngt_f32_e64 s3, 0x3f200000, |v110|
                                        ; implicit-def: $vgpr38
	s_delay_alu instid0(VALU_DEP_1) | instskip(NEXT) | instid1(SALU_CYCLE_1)
	s_and_saveexec_b32 s4, s3
	s_xor_b32 s3, exec_lo, s4
	s_cbranch_execz .LBB25_431
; %bb.430:                              ;   in Loop: Header=BB25_10 Depth=1
	v_add_f32_e64 v38, |v110|, |v110|
	s_delay_alu instid0(VALU_DEP_1) | instskip(SKIP_1) | instid1(VALU_DEP_2)
	v_mul_f32_e32 v39, 0x3fb8aa3b, v38
	v_cmp_ngt_f32_e32 vcc_lo, 0xc2ce8ed0, v38
	v_rndne_f32_e32 v40, v39
	v_fma_f32 v41, 0x3fb8aa3b, v38, -v39
	s_delay_alu instid0(VALU_DEP_2) | instskip(NEXT) | instid1(VALU_DEP_2)
	v_sub_f32_e32 v39, v39, v40
	v_fmac_f32_e32 v41, 0x32a5705f, v38
	v_cvt_i32_f32_e32 v40, v40
	s_delay_alu instid0(VALU_DEP_2) | instskip(NEXT) | instid1(VALU_DEP_1)
	v_add_f32_e32 v39, v39, v41
	v_exp_f32_e32 v39, v39
	s_waitcnt_depctr 0xfff
	v_ldexp_f32 v39, v39, v40
	s_delay_alu instid0(VALU_DEP_1) | instskip(SKIP_1) | instid1(VALU_DEP_2)
	v_cndmask_b32_e32 v39, 0, v39, vcc_lo
	v_cmp_nlt_f32_e32 vcc_lo, 0x42b17218, v38
	v_cndmask_b32_e32 v38, 0x7f800000, v39, vcc_lo
	s_delay_alu instid0(VALU_DEP_1) | instskip(NEXT) | instid1(VALU_DEP_1)
	v_add_f32_e32 v38, 1.0, v38
	v_rcp_f32_e32 v38, v38
	s_waitcnt_depctr 0xfff
	v_fma_f32 v38, v38, -2.0, 1.0
.LBB25_431:                             ;   in Loop: Header=BB25_10 Depth=1
	s_and_not1_saveexec_b32 s3, s3
; %bb.432:                              ;   in Loop: Header=BB25_10 Depth=1
	v_mul_f32_e32 v38, v110, v110
	s_delay_alu instid0(VALU_DEP_1) | instskip(NEXT) | instid1(VALU_DEP_1)
	v_fmaak_f32 v39, s49, v38, 0x3ca908c9
	v_fmaak_f32 v39, v38, v39, 0xbd5c1c4e
	s_delay_alu instid0(VALU_DEP_1) | instskip(NEXT) | instid1(VALU_DEP_1)
	v_fmaak_f32 v39, v38, v39, 0x3e088382
	v_fmaak_f32 v39, v38, v39, 0xbeaaaa99
	s_delay_alu instid0(VALU_DEP_1) | instskip(NEXT) | instid1(VALU_DEP_1)
	v_mul_f32_e64 v39, |v110|, v39
	v_fma_f32 v38, v38, v39, |v110|
; %bb.433:                              ;   in Loop: Header=BB25_10 Depth=1
	s_or_b32 exec_lo, exec_lo, s3
	v_cmp_ngt_f32_e64 s3, 0x3f200000, |v111|
                                        ; implicit-def: $vgpr39
	s_delay_alu instid0(VALU_DEP_1) | instskip(NEXT) | instid1(SALU_CYCLE_1)
	s_and_saveexec_b32 s4, s3
	s_xor_b32 s3, exec_lo, s4
	s_cbranch_execz .LBB25_435
; %bb.434:                              ;   in Loop: Header=BB25_10 Depth=1
	v_add_f32_e64 v39, |v111|, |v111|
	s_delay_alu instid0(VALU_DEP_1) | instskip(SKIP_1) | instid1(VALU_DEP_2)
	v_mul_f32_e32 v40, 0x3fb8aa3b, v39
	v_cmp_ngt_f32_e32 vcc_lo, 0xc2ce8ed0, v39
	v_rndne_f32_e32 v41, v40
	v_fma_f32 v42, 0x3fb8aa3b, v39, -v40
	s_delay_alu instid0(VALU_DEP_2) | instskip(NEXT) | instid1(VALU_DEP_2)
	v_sub_f32_e32 v40, v40, v41
	v_fmac_f32_e32 v42, 0x32a5705f, v39
	v_cvt_i32_f32_e32 v41, v41
	s_delay_alu instid0(VALU_DEP_2) | instskip(NEXT) | instid1(VALU_DEP_1)
	v_add_f32_e32 v40, v40, v42
	v_exp_f32_e32 v40, v40
	s_waitcnt_depctr 0xfff
	v_ldexp_f32 v40, v40, v41
	s_delay_alu instid0(VALU_DEP_1) | instskip(SKIP_1) | instid1(VALU_DEP_2)
	v_cndmask_b32_e32 v40, 0, v40, vcc_lo
	v_cmp_nlt_f32_e32 vcc_lo, 0x42b17218, v39
	v_cndmask_b32_e32 v39, 0x7f800000, v40, vcc_lo
	s_delay_alu instid0(VALU_DEP_1) | instskip(NEXT) | instid1(VALU_DEP_1)
	v_add_f32_e32 v39, 1.0, v39
	v_rcp_f32_e32 v39, v39
	s_waitcnt_depctr 0xfff
	v_fma_f32 v39, v39, -2.0, 1.0
.LBB25_435:                             ;   in Loop: Header=BB25_10 Depth=1
	s_and_not1_saveexec_b32 s3, s3
; %bb.436:                              ;   in Loop: Header=BB25_10 Depth=1
	v_mul_f32_e32 v39, v111, v111
	s_delay_alu instid0(VALU_DEP_1) | instskip(NEXT) | instid1(VALU_DEP_1)
	v_fmaak_f32 v40, s49, v39, 0x3ca908c9
	v_fmaak_f32 v40, v39, v40, 0xbd5c1c4e
	s_delay_alu instid0(VALU_DEP_1) | instskip(NEXT) | instid1(VALU_DEP_1)
	v_fmaak_f32 v40, v39, v40, 0x3e088382
	v_fmaak_f32 v40, v39, v40, 0xbeaaaa99
	s_delay_alu instid0(VALU_DEP_1) | instskip(NEXT) | instid1(VALU_DEP_1)
	v_mul_f32_e64 v40, |v111|, v40
	v_fma_f32 v39, v39, v40, |v111|
; %bb.437:                              ;   in Loop: Header=BB25_10 Depth=1
	s_or_b32 exec_lo, exec_lo, s3
	v_bfi_b32 v48, 0x7fffffff, v32, v104
	v_bfi_b32 v49, 0x7fffffff, v33, v105
	;; [unrolled: 1-line block ×8, first 2 shown]
	ds_load_u16 v32, v246 offset:17408
	ds_load_u16 v33, v246 offset:17412
	;; [unrolled: 1-line block ×8, first 2 shown]
	v_bfi_b32 v41, 0x7fffffff, v178, v96
	v_bfi_b32 v42, 0x7fffffff, v179, v97
	;; [unrolled: 1-line block ×8, first 2 shown]
	s_mul_i32 s3, s64, s11
	s_mul_hi_u32 s5, s64, s10
	s_mul_i32 s4, s64, s10
	s_add_i32 s5, s5, s3
	s_waitcnt lgkmcnt(7)
	v_fma_mix_f32 v32, v41, s33, v32 op_sel_hi:[0,0,1]
	s_waitcnt lgkmcnt(6)
	v_fma_mix_f32 v33, v42, s33, v33 op_sel_hi:[0,0,1]
	;; [unrolled: 2-line block ×5, first 2 shown]
	v_dual_add_f32 v41, 0x40051340, v32 :: v_dual_add_f32 v42, 0x40051340, v33
	s_waitcnt lgkmcnt(2)
	v_fma_mix_f32 v37, v46, s33, v37 op_sel_hi:[0,0,1]
	v_add_f32_e32 v43, 0x40051340, v35
	s_waitcnt lgkmcnt(1)
	v_fma_mix_f32 v38, v47, s33, v38 op_sel_hi:[0,0,1]
	s_waitcnt lgkmcnt(0)
	v_fma_mix_f32 v39, v40, s33, v39 op_sel_hi:[0,0,1]
	v_max3_f32 v41, v191, v41, v42
	v_add_f32_e32 v42, 0x40051340, v34
	s_lshl_b64 s[4:5], s[4:5], 2
	v_add_f32_e32 v40, 0x40051340, v38
	s_add_u32 s3, s97, s4
	s_addc_u32 s4, s98, s5
	v_max3_f32 v41, v41, v42, v43
	v_dual_add_f32 v42, 0x40051340, v36 :: v_dual_add_f32 v43, 0x40051340, v37
	v_cmp_eq_u32_e64 s5, 1, v241
	v_add_nc_u32_e32 v85, 0x400, v247
	s_cmp_lg_u64 s[72:73], 0
	v_add_nc_u32_e32 v84, 0xc00, v247
	v_max3_f32 v41, v41, v42, v43
	v_add_f32_e32 v42, 0x40051340, v39
	s_delay_alu instid0(VALU_DEP_1)
	v_max3_f32 v40, v41, v40, v42
	ds_load_u16 v41, v176 offset:64
	ds_load_u16 v42, v176 offset:68
	ds_load_u16 v43, v176 offset:72
	ds_load_u16 v44, v176 offset:76
	ds_load_u16 v45, v176 offset:80
	ds_load_u16 v46, v176 offset:84
	ds_load_u16 v47, v176 offset:88
	ds_load_u16 v56, v176 offset:92
	s_waitcnt lgkmcnt(7)
	v_fma_mix_f32 v72, v48, s33, v41 op_sel_hi:[0,0,1]
	s_waitcnt lgkmcnt(6)
	v_fma_mix_f32 v73, v49, s33, v42 op_sel_hi:[0,0,1]
	;; [unrolled: 2-line block ×5, first 2 shown]
	v_dual_add_f32 v41, 0x40051340, v72 :: v_dual_add_f32 v42, 0x40051340, v73
	s_waitcnt lgkmcnt(2)
	v_fma_mix_f32 v68, v53, s33, v46 op_sel_hi:[0,0,1]
	s_waitcnt lgkmcnt(1)
	v_fma_mix_f32 v67, v54, s33, v47 op_sel_hi:[0,0,1]
	;; [unrolled: 2-line block ×3, first 2 shown]
	v_max3_f32 v40, v40, v41, v42
	v_dual_add_f32 v41, 0x40051340, v71 :: v_dual_add_f32 v42, 0x40051340, v70
	s_delay_alu instid0(VALU_DEP_1) | instskip(SKIP_1) | instid1(VALU_DEP_1)
	v_max3_f32 v40, v40, v41, v42
	v_dual_add_f32 v41, 0x40051340, v69 :: v_dual_add_f32 v42, 0x40051340, v68
	v_max3_f32 v40, v40, v41, v42
	v_dual_add_f32 v41, 0x40051340, v67 :: v_dual_add_f32 v42, 0x40051340, v66
	s_delay_alu instid0(VALU_DEP_1) | instskip(SKIP_4) | instid1(VALU_DEP_2)
	v_max3_f32 v40, v40, v41, v42
	scratch_load_b32 v42, off, off offset:180 ; 4-byte Folded Reload
	v_mbcnt_lo_u32_b32 v41, -1, 0
	s_waitcnt vmcnt(0)
	v_cmp_gt_i32_e32 vcc_lo, 32, v42
	v_cndmask_b32_e32 v41, v41, v42, vcc_lo
	s_delay_alu instid0(VALU_DEP_1) | instskip(SKIP_3) | instid1(VALU_DEP_1)
	v_lshlrev_b32_e32 v64, 2, v41
	ds_bpermute_b32 v41, v64, v40
	s_waitcnt lgkmcnt(0)
	v_max_f32_e32 v41, v41, v41
	v_max_f32_e32 v65, v40, v41
	s_delay_alu instid0(VALU_DEP_1) | instskip(SKIP_3) | instid1(VALU_DEP_4)
	v_sub_f32_e32 v40, v191, v65
	v_sub_f32_e32 v33, v33, v65
	;; [unrolled: 1-line block ×4, first 2 shown]
	v_dual_sub_f32 v34, v34, v65 :: v_dual_mul_f32 v41, 0x3fb8aa3b, v40
	v_cmp_ngt_f32_e32 vcc_lo, 0xc2ce8ed0, v40
	v_sub_f32_e32 v36, v36, v65
	v_sub_f32_e32 v37, v37, v65
	s_delay_alu instid0(VALU_DEP_4) | instskip(SKIP_4) | instid1(VALU_DEP_3)
	v_cmp_ngt_f32_e64 s6, 0xc2ce8ed0, v34
	v_fma_f32 v42, 0x3fb8aa3b, v40, -v41
	v_rndne_f32_e32 v43, v41
	v_sub_f32_e32 v39, v39, v65
	v_sub_f32_e32 v38, v38, v65
	v_dual_fmac_f32 v42, 0x32a5705f, v40 :: v_dual_sub_f32 v41, v41, v43
	s_delay_alu instid0(VALU_DEP_1) | instskip(SKIP_1) | instid1(VALU_DEP_2)
	v_add_f32_e32 v41, v41, v42
	v_cvt_i32_f32_e32 v42, v43
	v_exp_f32_e32 v41, v41
	s_waitcnt_depctr 0xfff
	v_ldexp_f32 v41, v41, v42
	scratch_load_b64 v[42:43], off, off offset:32 ; 8-byte Folded Reload
	v_cndmask_b32_e32 v41, 0, v41, vcc_lo
	v_cmp_nlt_f32_e32 vcc_lo, 0x42b17218, v40
	s_delay_alu instid0(VALU_DEP_2) | instskip(SKIP_1) | instid1(VALU_DEP_2)
	v_cndmask_b32_e32 v41, 0x7f800000, v41, vcc_lo
	v_cmp_le_f32_e32 vcc_lo, 0xc1a00000, v40
	v_cndmask_b32_e32 v74, 0, v41, vcc_lo
	s_delay_alu instid0(VALU_DEP_1) | instskip(NEXT) | instid1(VALU_DEP_1)
	v_cvt_f16_f32_e32 v40, v74
	v_pk_mul_f16 v24, v40, v24 op_sel_hi:[0,1]
	v_pk_mul_f16 v25, v40, v25 op_sel_hi:[0,1]
	;; [unrolled: 1-line block ×32, first 2 shown]
	scratch_load_b64 v[40:41], off, off offset:24 ; 8-byte Folded Reload
	s_waitcnt vmcnt(0)
	v_add_co_u32 v40, vcc_lo, s3, v40
	v_add_co_ci_u32_e32 v41, vcc_lo, s4, v41, vcc_lo
	s_delay_alu instid0(VALU_DEP_2) | instskip(NEXT) | instid1(VALU_DEP_2)
	v_add_co_u32 v40, vcc_lo, v40, v234
	v_add_co_ci_u32_e32 v41, vcc_lo, 0, v41, vcc_lo
	v_add_co_u32 v42, vcc_lo, s3, v42
	v_add_co_ci_u32_e32 v43, vcc_lo, s4, v43, vcc_lo
	s_delay_alu instid0(VALU_DEP_2) | instskip(NEXT) | instid1(VALU_DEP_2)
	v_add_co_u32 v44, vcc_lo, v42, v234
	v_add_co_ci_u32_e32 v45, vcc_lo, 0, v43, vcc_lo
	s_clause 0x1
	global_load_b128 v[40:43], v[40:41], off
	global_load_b128 v[44:47], v[44:45], off
	s_waitcnt vmcnt(1)
	ds_store_b128 v245, v[40:43]
	s_waitcnt vmcnt(0)
	ds_store_b128 v238, v[44:47]
	s_clause 0x1
	scratch_load_b64 v[40:41], off, off offset:40
	scratch_load_b64 v[42:43], off, off offset:48
	s_waitcnt vmcnt(1)
	v_add_co_u32 v40, vcc_lo, s3, v40
	v_add_co_ci_u32_e32 v41, vcc_lo, s4, v41, vcc_lo
	s_delay_alu instid0(VALU_DEP_2) | instskip(NEXT) | instid1(VALU_DEP_2)
	v_add_co_u32 v40, vcc_lo, v40, v234
	v_add_co_ci_u32_e32 v41, vcc_lo, 0, v41, vcc_lo
	s_waitcnt vmcnt(0)
	v_add_co_u32 v42, vcc_lo, s3, v42
	v_add_co_ci_u32_e32 v43, vcc_lo, s4, v43, vcc_lo
	s_delay_alu instid0(VALU_DEP_2) | instskip(NEXT) | instid1(VALU_DEP_2)
	v_add_co_u32 v44, vcc_lo, v42, v234
	v_add_co_ci_u32_e32 v45, vcc_lo, 0, v43, vcc_lo
	s_clause 0x1
	global_load_b128 v[40:43], v[40:41], off
	global_load_b128 v[44:47], v[44:45], off
	s_waitcnt vmcnt(1)
	ds_store_b128 v239, v[40:43]
	s_waitcnt vmcnt(0)
	ds_store_b128 v216, v[44:47]
	s_clause 0x1
	scratch_load_b64 v[40:41], off, off offset:56
	scratch_load_b64 v[42:43], off, off offset:64
	s_waitcnt vmcnt(1)
	v_add_co_u32 v40, vcc_lo, s3, v40
	v_add_co_ci_u32_e32 v41, vcc_lo, s4, v41, vcc_lo
	s_delay_alu instid0(VALU_DEP_2) | instskip(NEXT) | instid1(VALU_DEP_2)
	v_add_co_u32 v40, vcc_lo, v40, v234
	v_add_co_ci_u32_e32 v41, vcc_lo, 0, v41, vcc_lo
	s_waitcnt vmcnt(0)
	;; [unrolled: 22-line block ×3, first 2 shown]
	v_add_co_u32 v42, vcc_lo, s3, v42
	v_add_co_ci_u32_e32 v43, vcc_lo, s4, v43, vcc_lo
	v_cmp_eq_u32_e64 s4, 0, v241
	s_delay_alu instid0(VALU_DEP_3) | instskip(NEXT) | instid1(VALU_DEP_3)
	v_add_co_u32 v44, vcc_lo, v42, v234
	v_add_co_ci_u32_e32 v45, vcc_lo, 0, v43, vcc_lo
	s_clause 0x1
	global_load_b128 v[40:43], v[40:41], off
	global_load_b128 v[44:47], v[44:45], off
	s_waitcnt vmcnt(1)
	ds_store_b128 v229, v[40:43]
	s_waitcnt vmcnt(0)
	ds_store_b128 v210, v[44:47]
	v_mul_f32_e32 v40, 0x3fb8aa3b, v33
	v_cmp_ngt_f32_e32 vcc_lo, 0xc2ce8ed0, v33
	s_waitcnt lgkmcnt(0)
	s_barrier
	buffer_gl0_inv
	v_fma_f32 v41, 0x3fb8aa3b, v33, -v40
	v_rndne_f32_e32 v42, v40
	ds_load_2addr_b32 v[50:51], v247 offset1:16
	ds_load_2addr_b32 v[52:53], v247 offset0:68 offset1:84
	ds_load_2addr_b32 v[54:55], v247 offset0:136 offset1:152
	ds_load_2addr_b32 v[56:57], v247 offset0:204 offset1:220
	ds_load_2addr_b32 v[94:95], v85 offset0:16 offset1:84
	v_dual_fmac_f32 v41, 0x32a5705f, v33 :: v_dual_sub_f32 v40, v40, v42
	v_cvt_i32_f32_e32 v42, v42
	s_delay_alu instid0(VALU_DEP_2) | instskip(NEXT) | instid1(VALU_DEP_1)
	v_dual_add_f32 v40, v40, v41 :: v_dual_mul_f32 v41, 0x3fb8aa3b, v32
	v_fma_f32 v43, 0x3fb8aa3b, v32, -v41
	v_rndne_f32_e32 v44, v41
	s_waitcnt lgkmcnt(3)
	v_perm_b32 v86, v52, v50, 0x5040100
	s_waitcnt lgkmcnt(1)
	v_perm_b32 v87, v56, v54, 0x5040100
	v_sub_f32_e32 v41, v41, v44
	v_fmac_f32_e32 v43, 0x32a5705f, v32
	v_exp_f32_e32 v40, v40
	v_cmp_ngt_f32_e64 s3, 0xc2ce8ed0, v32
	s_waitcnt lgkmcnt(0)
	v_perm_b32 v88, v95, v94, 0x5040100
	s_waitcnt_depctr 0xfff
	v_ldexp_f32 v40, v40, v42
	v_cvt_i32_f32_e32 v42, v44
	s_delay_alu instid0(VALU_DEP_2) | instskip(SKIP_1) | instid1(VALU_DEP_2)
	v_cndmask_b32_e32 v40, 0, v40, vcc_lo
	v_cmp_nlt_f32_e32 vcc_lo, 0x42b17218, v33
	v_dual_add_f32 v41, v41, v43 :: v_dual_cndmask_b32 v76, 0x7f800000, v40
	s_delay_alu instid0(VALU_DEP_1) | instskip(SKIP_4) | instid1(VALU_DEP_1)
	v_exp_f32_e32 v41, v41
	v_cmp_eq_u32_e32 vcc_lo, 1, v177
	v_add_nc_u32_e32 v83, 0x800, v247
	ds_bpermute_b32 v40, v64, v76
	v_ldexp_f32 v41, v41, v42
	v_cndmask_b32_e64 v33, 0, v41, s3
	v_cmp_nlt_f32_e64 s3, 0x42b17218, v32
	s_delay_alu instid0(VALU_DEP_1)
	v_cndmask_b32_e64 v75, 0x7f800000, v33, s3
	v_cmp_eq_u32_e64 s3, 0, v177
	ds_bpermute_b32 v32, v64, v75
	s_waitcnt lgkmcnt(0)
	v_cndmask_b32_e64 v33, v75, v32, s3
	v_cndmask_b32_e32 v32, v75, v32, vcc_lo
	s_delay_alu instid0(VALU_DEP_2) | instskip(NEXT) | instid1(VALU_DEP_2)
	v_cndmask_b32_e64 v41, v33, v76, s4
	v_cndmask_b32_e64 v42, v32, v76, s5
	v_cvt_f16_f32_e32 v33, v33
	v_cvt_f16_f32_e32 v32, v32
	s_delay_alu instid0(VALU_DEP_4) | instskip(NEXT) | instid1(VALU_DEP_4)
	v_cndmask_b32_e64 v41, v41, v40, s3
	v_cndmask_b32_e32 v40, v42, v40, vcc_lo
	s_delay_alu instid0(VALU_DEP_3) | instskip(NEXT) | instid1(VALU_DEP_3)
	v_pack_b32_f16 v32, v33, v32
	v_cvt_f16_f32_e32 v42, v41
	s_delay_alu instid0(VALU_DEP_3) | instskip(NEXT) | instid1(VALU_DEP_1)
	v_cvt_f16_f32_e32 v43, v40
	v_pack_b32_f16 v33, v42, v43
	v_mul_f32_e32 v42, 0x3fb8aa3b, v34
	s_delay_alu instid0(VALU_DEP_1) | instskip(SKIP_1) | instid1(VALU_DEP_1)
	v_fma_f32 v43, 0x3fb8aa3b, v34, -v42
	v_rndne_f32_e32 v44, v42
	v_dual_fmac_f32 v43, 0x32a5705f, v34 :: v_dual_sub_f32 v42, v42, v44
	s_delay_alu instid0(VALU_DEP_1) | instskip(SKIP_1) | instid1(VALU_DEP_2)
	v_add_f32_e32 v42, v42, v43
	v_cvt_i32_f32_e32 v43, v44
	v_exp_f32_e32 v42, v42
	s_waitcnt_depctr 0xfff
	v_ldexp_f32 v42, v42, v43
	s_delay_alu instid0(VALU_DEP_1) | instskip(SKIP_1) | instid1(VALU_DEP_1)
	v_cndmask_b32_e64 v42, 0, v42, s6
	v_cmp_nlt_f32_e64 s6, 0x42b17218, v34
	v_cndmask_b32_e64 v77, 0x7f800000, v42, s6
	v_cmp_ngt_f32_e64 s6, 0xc2ce8ed0, v35
	s_delay_alu instid0(VALU_DEP_2) | instskip(SKIP_4) | instid1(VALU_DEP_2)
	v_cndmask_b32_e64 v34, v41, v77, s4
	ds_bpermute_b32 v41, v64, v77
	v_cndmask_b32_e64 v40, v40, v77, s5
	s_waitcnt lgkmcnt(0)
	v_cndmask_b32_e64 v42, v34, v41, s3
	v_cndmask_b32_e32 v40, v40, v41, vcc_lo
	s_delay_alu instid0(VALU_DEP_2) | instskip(NEXT) | instid1(VALU_DEP_2)
	v_cvt_f16_f32_e32 v34, v42
	v_cvt_f16_f32_e32 v41, v40
	s_delay_alu instid0(VALU_DEP_1) | instskip(SKIP_1) | instid1(VALU_DEP_1)
	v_pack_b32_f16 v34, v34, v41
	v_mul_f32_e32 v41, 0x3fb8aa3b, v35
	v_fma_f32 v43, 0x3fb8aa3b, v35, -v41
	v_rndne_f32_e32 v44, v41
	s_delay_alu instid0(VALU_DEP_2) | instskip(NEXT) | instid1(VALU_DEP_2)
	v_fmac_f32_e32 v43, 0x32a5705f, v35
	v_sub_f32_e32 v41, v41, v44
	s_delay_alu instid0(VALU_DEP_1) | instskip(SKIP_1) | instid1(VALU_DEP_2)
	v_add_f32_e32 v41, v41, v43
	v_cvt_i32_f32_e32 v43, v44
	v_exp_f32_e32 v41, v41
	s_waitcnt_depctr 0xfff
	v_ldexp_f32 v41, v41, v43
	s_delay_alu instid0(VALU_DEP_1) | instskip(SKIP_1) | instid1(VALU_DEP_1)
	v_cndmask_b32_e64 v41, 0, v41, s6
	v_cmp_nlt_f32_e64 s6, 0x42b17218, v35
	v_cndmask_b32_e64 v78, 0x7f800000, v41, s6
	ds_bpermute_b32 v41, v64, v78
	v_cndmask_b32_e64 v35, v42, v78, s4
	v_cndmask_b32_e64 v40, v40, v78, s5
	s_waitcnt lgkmcnt(0)
	s_delay_alu instid0(VALU_DEP_2) | instskip(NEXT) | instid1(VALU_DEP_2)
	v_cndmask_b32_e64 v42, v35, v41, s3
	v_cndmask_b32_e32 v40, v40, v41, vcc_lo
	s_delay_alu instid0(VALU_DEP_2) | instskip(NEXT) | instid1(VALU_DEP_2)
	v_cvt_f16_f32_e32 v35, v42
	v_cvt_f16_f32_e32 v41, v40
	s_delay_alu instid0(VALU_DEP_1) | instskip(SKIP_1) | instid1(VALU_DEP_1)
	v_pack_b32_f16 v35, v35, v41
	v_mul_f32_e32 v41, 0x3fb8aa3b, v36
	v_fma_f32 v43, 0x3fb8aa3b, v36, -v41
	v_rndne_f32_e32 v44, v41
	s_delay_alu instid0(VALU_DEP_1) | instskip(NEXT) | instid1(VALU_DEP_3)
	v_sub_f32_e32 v41, v41, v44
	v_fmac_f32_e32 v43, 0x32a5705f, v36
	v_cmp_ngt_f32_e64 s6, 0xc2ce8ed0, v36
	s_delay_alu instid0(VALU_DEP_2) | instskip(SKIP_1) | instid1(VALU_DEP_2)
	v_add_f32_e32 v41, v41, v43
	v_cvt_i32_f32_e32 v43, v44
	v_exp_f32_e32 v41, v41
	s_waitcnt_depctr 0xfff
	v_ldexp_f32 v41, v41, v43
	s_delay_alu instid0(VALU_DEP_1) | instskip(SKIP_1) | instid1(VALU_DEP_1)
	v_cndmask_b32_e64 v41, 0, v41, s6
	v_cmp_nlt_f32_e64 s6, 0x42b17218, v36
	v_cndmask_b32_e64 v79, 0x7f800000, v41, s6
	v_cmp_ngt_f32_e64 s6, 0xc2ce8ed0, v37
	ds_bpermute_b32 v41, v64, v79
	v_cndmask_b32_e64 v36, v42, v79, s4
	v_cndmask_b32_e64 v40, v40, v79, s5
	s_waitcnt lgkmcnt(0)
	s_delay_alu instid0(VALU_DEP_2) | instskip(NEXT) | instid1(VALU_DEP_2)
	v_cndmask_b32_e64 v42, v36, v41, s3
	v_cndmask_b32_e32 v40, v40, v41, vcc_lo
	s_delay_alu instid0(VALU_DEP_2) | instskip(NEXT) | instid1(VALU_DEP_2)
	v_cvt_f16_f32_e32 v36, v42
	v_cvt_f16_f32_e32 v41, v40
	s_delay_alu instid0(VALU_DEP_1) | instskip(SKIP_1) | instid1(VALU_DEP_1)
	v_pack_b32_f16 v36, v36, v41
	v_mul_f32_e32 v41, 0x3fb8aa3b, v37
	v_fma_f32 v43, 0x3fb8aa3b, v37, -v41
	v_rndne_f32_e32 v44, v41
	s_delay_alu instid0(VALU_DEP_2) | instskip(NEXT) | instid1(VALU_DEP_2)
	v_fmac_f32_e32 v43, 0x32a5705f, v37
	v_sub_f32_e32 v41, v41, v44
	s_delay_alu instid0(VALU_DEP_1) | instskip(SKIP_1) | instid1(VALU_DEP_2)
	v_add_f32_e32 v41, v41, v43
	v_cvt_i32_f32_e32 v43, v44
	v_exp_f32_e32 v41, v41
	s_waitcnt_depctr 0xfff
	v_ldexp_f32 v41, v41, v43
	s_delay_alu instid0(VALU_DEP_1) | instskip(SKIP_1) | instid1(VALU_DEP_1)
	v_cndmask_b32_e64 v41, 0, v41, s6
	v_cmp_nlt_f32_e64 s6, 0x42b17218, v37
	v_cndmask_b32_e64 v80, 0x7f800000, v41, s6
	v_cmp_ngt_f32_e64 s6, 0xc2ce8ed0, v38
	ds_bpermute_b32 v41, v64, v80
	v_cndmask_b32_e64 v37, v42, v80, s4
	v_cndmask_b32_e64 v40, v40, v80, s5
	s_waitcnt lgkmcnt(0)
	s_delay_alu instid0(VALU_DEP_2) | instskip(NEXT) | instid1(VALU_DEP_2)
	v_cndmask_b32_e64 v42, v37, v41, s3
	v_cndmask_b32_e32 v40, v40, v41, vcc_lo
	s_delay_alu instid0(VALU_DEP_2) | instskip(NEXT) | instid1(VALU_DEP_2)
	v_cvt_f16_f32_e32 v37, v42
	v_cvt_f16_f32_e32 v41, v40
	s_delay_alu instid0(VALU_DEP_1) | instskip(SKIP_1) | instid1(VALU_DEP_1)
	v_pack_b32_f16 v37, v37, v41
	v_mul_f32_e32 v41, 0x3fb8aa3b, v38
	v_fma_f32 v43, 0x3fb8aa3b, v38, -v41
	v_rndne_f32_e32 v44, v41
	s_delay_alu instid0(VALU_DEP_2) | instskip(NEXT) | instid1(VALU_DEP_2)
	v_fmac_f32_e32 v43, 0x32a5705f, v38
	v_sub_f32_e32 v41, v41, v44
	s_delay_alu instid0(VALU_DEP_1) | instskip(SKIP_1) | instid1(VALU_DEP_2)
	;; [unrolled: 29-line block ×3, first 2 shown]
	v_add_f32_e32 v41, v41, v43
	v_cvt_i32_f32_e32 v43, v44
	v_exp_f32_e32 v41, v41
	s_waitcnt_depctr 0xfff
	v_ldexp_f32 v41, v41, v43
	s_delay_alu instid0(VALU_DEP_1) | instskip(SKIP_1) | instid1(VALU_DEP_1)
	v_cndmask_b32_e64 v41, 0, v41, s6
	v_cmp_nlt_f32_e64 s6, 0x42b17218, v39
	v_cndmask_b32_e64 v82, 0x7f800000, v41, s6
	ds_bpermute_b32 v41, v64, v82
	v_cndmask_b32_e64 v39, v42, v82, s4
	v_cndmask_b32_e64 v40, v40, v82, s5
	s_waitcnt lgkmcnt(0)
	s_delay_alu instid0(VALU_DEP_2) | instskip(NEXT) | instid1(VALU_DEP_2)
	v_cndmask_b32_e64 v39, v39, v41, s3
	v_cndmask_b32_e32 v40, v40, v41, vcc_lo
	s_delay_alu instid0(VALU_DEP_2) | instskip(NEXT) | instid1(VALU_DEP_2)
	v_cvt_f16_f32_e32 v39, v39
	v_cvt_f16_f32_e32 v40, v40
	s_delay_alu instid0(VALU_DEP_1)
	v_pack_b32_f16 v39, v39, v40
	ds_load_2addr_b32 v[40:41], v85 offset0:132 offset1:152
	ds_load_2addr_b32 v[42:43], v85 offset0:200 offset1:220
	;; [unrolled: 1-line block ×9, first 2 shown]
	s_waitcnt lgkmcnt(7)
	v_perm_b32 v89, v43, v41, 0x5040100
	s_waitcnt lgkmcnt(5)
	v_perm_b32 v90, v58, v45, 0x5040100
	;; [unrolled: 2-line block ×5, first 2 shown]
	s_delay_alu instid0(VALU_DEP_1)
	v_wmma_f16_16x16x16_f16 v[24:31], v[86:93], v[32:39], v[24:31]
	v_perm_b32 v93, v49, v47, 0x7060302
	v_add_nc_u32_e32 v47, 0x1000, v247
	v_perm_b32 v88, v95, v94, 0x7060302
	v_perm_b32 v92, v97, v96, 0x7060302
	;; [unrolled: 1-line block ×4, first 2 shown]
	ds_load_b32 v41, v254 offset:2176
	ds_load_b32 v43, v254 offset:3264
	;; [unrolled: 1-line block ×4, first 2 shown]
	ds_load_2addr_b32 v[94:95], v85 offset0:100 offset1:116
	ds_load_2addr_b32 v[96:97], v85 offset0:168 offset1:184
	;; [unrolled: 1-line block ×6, first 2 shown]
	v_perm_b32 v86, v52, v50, 0x7060302
	v_perm_b32 v87, v56, v54, 0x7060302
	;; [unrolled: 1-line block ×6, first 2 shown]
	s_delay_alu instid0(VALU_DEP_4)
	v_wmma_f16_16x16x16_f16 v[24:31], v[86:93], v[32:39], v[24:31] op_sel:[0,0,1]
	v_perm_b32 v86, v53, v51, 0x5040100
	v_perm_b32 v87, v57, v55, 0x5040100
	;; [unrolled: 1-line block ×3, first 2 shown]
	s_waitcnt lgkmcnt(9)
	v_perm_b32 v90, v59, v41, 0x5040100
	v_perm_b32 v53, v59, v41, 0x7060302
	s_waitcnt lgkmcnt(5)
	v_perm_b32 v88, v94, v45, 0x5040100
	s_waitcnt lgkmcnt(3)
	;; [unrolled: 2-line block ×4, first 2 shown]
	v_perm_b32 v93, v102, v104, 0x5040100
	v_perm_b32 v51, v94, v45, 0x7060302
	;; [unrolled: 1-line block ×5, first 2 shown]
	v_wmma_f16_16x16x16_f16 v[16:23], v[86:93], v[32:39], v[16:23]
	ds_load_2addr_b32 v[57:58], v247 offset0:32 offset1:48
	ds_load_2addr_b32 v[59:60], v247 offset0:100 offset1:116
	;; [unrolled: 1-line block ×4, first 2 shown]
	ds_load_b32 v41, v215 offset:1088
	ds_load_b32 v43, v215 offset:2176
	ds_load_b32 v45, v215 offset:3264
	ds_load_b32 v108, v215 offset:12784
	ds_load_b32 v109, v248 offset:3264
	ds_load_2addr_b32 v[87:88], v83 offset0:132 offset1:148
	ds_load_2addr_b32 v[89:90], v83 offset0:200 offset1:216
	;; [unrolled: 1-line block ×3, first 2 shown]
	v_wmma_f16_16x16x16_f16 v[16:23], v[49:56], v[32:39], v[16:23] op_sel:[0,0,1]
	v_perm_b32 v52, v99, v97, 0x5040100
	v_perm_b32 v56, v103, v105, 0x5040100
	s_waitcnt lgkmcnt(7)
	v_perm_b32 v51, v95, v41, 0x5040100
	v_perm_b32 v49, v59, v57, 0x5040100
	s_waitcnt lgkmcnt(5)
	;; [unrolled: 3-line block ×3, first 2 shown]
	v_perm_b32 v53, v87, v43, 0x5040100
	s_waitcnt lgkmcnt(0)
	v_perm_b32 v54, v83, v89, 0x5040100
	s_delay_alu instid0(VALU_DEP_1)
	v_wmma_f16_16x16x16_f16 v[8:15], v[49:56], v[32:39], v[8:15]
	v_perm_b32 v51, v95, v41, 0x7060302
	v_perm_b32 v55, v101, v45, 0x7060302
	;; [unrolled: 1-line block ×3, first 2 shown]
	ds_load_b32 v41, v218 offset:1088
	ds_load_b32 v43, v218 offset:2176
	;; [unrolled: 1-line block ×8, first 2 shown]
	v_perm_b32 v52, v99, v97, 0x7060302
	v_perm_b32 v56, v103, v105, 0x7060302
	;; [unrolled: 1-line block ×5, first 2 shown]
	s_delay_alu instid0(VALU_DEP_1)
	v_wmma_f16_16x16x16_f16 v[8:15], v[49:56], v[32:39], v[8:15] op_sel:[0,0,1]
	v_perm_b32 v49, v60, v58, 0x5040100
	v_perm_b32 v50, v86, v62, 0x5040100
	;; [unrolled: 1-line block ×4, first 2 shown]
	s_waitcnt lgkmcnt(7)
	v_perm_b32 v51, v40, v41, 0x5040100
	s_waitcnt lgkmcnt(6)
	v_perm_b32 v53, v88, v43, 0x5040100
	;; [unrolled: 2-line block ×4, first 2 shown]
	s_delay_alu instid0(VALU_DEP_1)
	v_wmma_f16_16x16x16_f16 v[0:7], v[49:56], v[32:39], v[0:7]
	v_perm_b32 v49, v60, v58, 0x7060302
	v_perm_b32 v50, v86, v62, 0x7060302
	;; [unrolled: 1-line block ×8, first 2 shown]
	v_add_nc_u32_e32 v45, 0x2c00, v247
	v_add_nc_u32_e32 v46, 0x2e00, v247
	s_delay_alu instid0(VALU_DEP_3) | instskip(SKIP_1) | instid1(VALU_DEP_1)
	v_wmma_f16_16x16x16_f16 v[0:7], v[49:56], v[32:39], v[0:7] op_sel:[0,0,1]
	v_sub_f32_e32 v32, v73, v65
	v_mul_f32_e32 v33, 0x3fb8aa3b, v32
	v_cmp_ngt_f32_e64 s6, 0xc2ce8ed0, v32
	s_delay_alu instid0(VALU_DEP_2) | instskip(SKIP_1) | instid1(VALU_DEP_1)
	v_fma_f32 v34, 0x3fb8aa3b, v32, -v33
	v_rndne_f32_e32 v35, v33
	v_dual_fmac_f32 v34, 0x32a5705f, v32 :: v_dual_sub_f32 v33, v33, v35
	v_cvt_i32_f32_e32 v35, v35
	s_delay_alu instid0(VALU_DEP_2) | instskip(NEXT) | instid1(VALU_DEP_1)
	v_dual_add_f32 v33, v33, v34 :: v_dual_sub_f32 v34, v72, v65
	v_exp_f32_e32 v33, v33
	s_delay_alu instid0(VALU_DEP_1) | instskip(SKIP_1) | instid1(VALU_DEP_2)
	v_mul_f32_e32 v36, 0x3fb8aa3b, v34
	v_cmp_ngt_f32_e64 s7, 0xc2ce8ed0, v34
	v_fma_f32 v37, 0x3fb8aa3b, v34, -v36
	v_rndne_f32_e32 v38, v36
	s_waitcnt_depctr 0xfff
	v_ldexp_f32 v33, v33, v35
	v_fmac_f32_e32 v37, 0x32a5705f, v34
	v_sub_f32_e32 v36, v36, v38
	s_delay_alu instid0(VALU_DEP_3) | instskip(SKIP_1) | instid1(VALU_DEP_3)
	v_cndmask_b32_e64 v33, 0, v33, s6
	v_cmp_nlt_f32_e64 s6, 0x42b17218, v32
	v_add_f32_e32 v36, v36, v37
	s_delay_alu instid0(VALU_DEP_2) | instskip(NEXT) | instid1(VALU_DEP_2)
	v_cndmask_b32_e64 v115, 0x7f800000, v33, s6
	v_exp_f32_e32 v35, v36
	v_cvt_i32_f32_e32 v36, v38
	s_waitcnt_depctr 0xfff
	v_ldexp_f32 v35, v35, v36
	s_delay_alu instid0(VALU_DEP_1)
	v_cndmask_b32_e64 v32, 0, v35, s7
	v_cmp_nlt_f32_e64 s7, 0x42b17218, v34
	ds_bpermute_b32 v34, v64, v115
	v_cndmask_b32_e64 v114, 0x7f800000, v32, s7
	ds_bpermute_b32 v32, v64, v114
	s_waitcnt lgkmcnt(0)
	v_cndmask_b32_e64 v33, v114, v32, s3
	v_cndmask_b32_e32 v32, v114, v32, vcc_lo
	s_delay_alu instid0(VALU_DEP_2) | instskip(NEXT) | instid1(VALU_DEP_2)
	v_cndmask_b32_e64 v35, v33, v115, s4
	v_cndmask_b32_e64 v36, v32, v115, s5
	v_cvt_f16_f32_e32 v33, v33
	v_cvt_f16_f32_e32 v32, v32
	s_delay_alu instid0(VALU_DEP_4) | instskip(NEXT) | instid1(VALU_DEP_4)
	v_cndmask_b32_e64 v35, v35, v34, s3
	v_cndmask_b32_e32 v34, v36, v34, vcc_lo
	s_delay_alu instid0(VALU_DEP_3) | instskip(NEXT) | instid1(VALU_DEP_3)
	v_pack_b32_f16 v32, v33, v32
	v_cvt_f16_f32_e32 v36, v35
	s_delay_alu instid0(VALU_DEP_3) | instskip(NEXT) | instid1(VALU_DEP_1)
	v_cvt_f16_f32_e32 v37, v34
	v_pack_b32_f16 v33, v36, v37
	v_sub_f32_e32 v36, v71, v65
	s_delay_alu instid0(VALU_DEP_1) | instskip(SKIP_1) | instid1(VALU_DEP_2)
	v_mul_f32_e32 v37, 0x3fb8aa3b, v36
	v_cmp_ngt_f32_e64 s6, 0xc2ce8ed0, v36
	v_fma_f32 v38, 0x3fb8aa3b, v36, -v37
	v_rndne_f32_e32 v39, v37
	s_delay_alu instid0(VALU_DEP_1) | instskip(NEXT) | instid1(VALU_DEP_1)
	v_dual_fmac_f32 v38, 0x32a5705f, v36 :: v_dual_sub_f32 v37, v37, v39
	v_add_f32_e32 v37, v37, v38
	v_cvt_i32_f32_e32 v38, v39
	s_delay_alu instid0(VALU_DEP_2) | instskip(SKIP_2) | instid1(VALU_DEP_1)
	v_exp_f32_e32 v37, v37
	s_waitcnt_depctr 0xfff
	v_ldexp_f32 v37, v37, v38
	v_cndmask_b32_e64 v37, 0, v37, s6
	v_cmp_nlt_f32_e64 s6, 0x42b17218, v36
	s_delay_alu instid0(VALU_DEP_1) | instskip(SKIP_4) | instid1(VALU_DEP_2)
	v_cndmask_b32_e64 v116, 0x7f800000, v37, s6
	ds_bpermute_b32 v36, v64, v116
	v_cndmask_b32_e64 v35, v35, v116, s4
	v_cndmask_b32_e64 v34, v34, v116, s5
	s_waitcnt lgkmcnt(0)
	v_cndmask_b32_e64 v35, v35, v36, s3
	s_delay_alu instid0(VALU_DEP_2) | instskip(NEXT) | instid1(VALU_DEP_2)
	v_cndmask_b32_e32 v36, v34, v36, vcc_lo
	v_cvt_f16_f32_e32 v34, v35
	s_delay_alu instid0(VALU_DEP_2) | instskip(NEXT) | instid1(VALU_DEP_1)
	v_cvt_f16_f32_e32 v37, v36
	v_pack_b32_f16 v34, v34, v37
	v_sub_f32_e32 v37, v70, v65
	s_delay_alu instid0(VALU_DEP_1) | instskip(SKIP_1) | instid1(VALU_DEP_2)
	v_mul_f32_e32 v38, 0x3fb8aa3b, v37
	v_cmp_ngt_f32_e64 s6, 0xc2ce8ed0, v37
	v_fma_f32 v39, 0x3fb8aa3b, v37, -v38
	v_rndne_f32_e32 v40, v38
	s_delay_alu instid0(VALU_DEP_1) | instskip(NEXT) | instid1(VALU_DEP_1)
	v_dual_fmac_f32 v39, 0x32a5705f, v37 :: v_dual_sub_f32 v38, v38, v40
	v_add_f32_e32 v38, v38, v39
	v_cvt_i32_f32_e32 v39, v40
	s_delay_alu instid0(VALU_DEP_2) | instskip(SKIP_2) | instid1(VALU_DEP_1)
	v_exp_f32_e32 v38, v38
	s_waitcnt_depctr 0xfff
	v_ldexp_f32 v38, v38, v39
	v_cndmask_b32_e64 v38, 0, v38, s6
	v_cmp_nlt_f32_e64 s6, 0x42b17218, v37
	s_delay_alu instid0(VALU_DEP_1) | instskip(SKIP_4) | instid1(VALU_DEP_2)
	v_cndmask_b32_e64 v117, 0x7f800000, v38, s6
	ds_bpermute_b32 v37, v64, v117
	v_cndmask_b32_e64 v35, v35, v117, s4
	v_cndmask_b32_e64 v36, v36, v117, s5
	s_waitcnt lgkmcnt(0)
	v_cndmask_b32_e64 v38, v35, v37, s3
	s_delay_alu instid0(VALU_DEP_2) | instskip(NEXT) | instid1(VALU_DEP_2)
	v_cndmask_b32_e32 v36, v36, v37, vcc_lo
	v_cvt_f16_f32_e32 v35, v38
	s_delay_alu instid0(VALU_DEP_2) | instskip(NEXT) | instid1(VALU_DEP_1)
	v_cvt_f16_f32_e32 v37, v36
	v_pack_b32_f16 v35, v35, v37
	v_sub_f32_e32 v37, v69, v65
	s_delay_alu instid0(VALU_DEP_1) | instskip(SKIP_1) | instid1(VALU_DEP_2)
	v_mul_f32_e32 v39, 0x3fb8aa3b, v37
	v_cmp_ngt_f32_e64 s6, 0xc2ce8ed0, v37
	v_fma_f32 v40, 0x3fb8aa3b, v37, -v39
	v_rndne_f32_e32 v41, v39
	s_delay_alu instid0(VALU_DEP_2) | instskip(NEXT) | instid1(VALU_DEP_2)
	v_fmac_f32_e32 v40, 0x32a5705f, v37
	v_sub_f32_e32 v39, v39, v41
	s_delay_alu instid0(VALU_DEP_1) | instskip(SKIP_1) | instid1(VALU_DEP_2)
	v_add_f32_e32 v39, v39, v40
	v_cvt_i32_f32_e32 v40, v41
	v_exp_f32_e32 v39, v39
	s_waitcnt_depctr 0xfff
	v_ldexp_f32 v39, v39, v40
	s_delay_alu instid0(VALU_DEP_1) | instskip(SKIP_1) | instid1(VALU_DEP_1)
	v_cndmask_b32_e64 v39, 0, v39, s6
	v_cmp_nlt_f32_e64 s6, 0x42b17218, v37
	v_cndmask_b32_e64 v118, 0x7f800000, v39, s6
	s_delay_alu instid0(VALU_DEP_1) | instskip(SKIP_4) | instid1(VALU_DEP_2)
	v_cndmask_b32_e64 v37, v38, v118, s4
	ds_bpermute_b32 v38, v64, v118
	v_cndmask_b32_e64 v36, v36, v118, s5
	s_waitcnt lgkmcnt(0)
	v_cndmask_b32_e64 v37, v37, v38, s3
	v_cndmask_b32_e32 v38, v36, v38, vcc_lo
	s_delay_alu instid0(VALU_DEP_2) | instskip(NEXT) | instid1(VALU_DEP_2)
	v_cvt_f16_f32_e32 v36, v37
	v_cvt_f16_f32_e32 v39, v38
	s_delay_alu instid0(VALU_DEP_1) | instskip(SKIP_1) | instid1(VALU_DEP_1)
	v_pack_b32_f16 v36, v36, v39
	v_sub_f32_e32 v39, v68, v65
	v_mul_f32_e32 v40, 0x3fb8aa3b, v39
	v_cmp_ngt_f32_e64 s6, 0xc2ce8ed0, v39
	s_delay_alu instid0(VALU_DEP_2) | instskip(SKIP_1) | instid1(VALU_DEP_1)
	v_fma_f32 v41, 0x3fb8aa3b, v39, -v40
	v_rndne_f32_e32 v42, v40
	v_dual_fmac_f32 v41, 0x32a5705f, v39 :: v_dual_sub_f32 v40, v40, v42
	s_delay_alu instid0(VALU_DEP_1) | instskip(SKIP_1) | instid1(VALU_DEP_2)
	v_add_f32_e32 v40, v40, v41
	v_cvt_i32_f32_e32 v41, v42
	v_exp_f32_e32 v40, v40
	s_waitcnt_depctr 0xfff
	v_ldexp_f32 v40, v40, v41
	s_delay_alu instid0(VALU_DEP_1) | instskip(SKIP_1) | instid1(VALU_DEP_1)
	v_cndmask_b32_e64 v40, 0, v40, s6
	v_cmp_nlt_f32_e64 s6, 0x42b17218, v39
	v_cndmask_b32_e64 v119, 0x7f800000, v40, s6
	ds_bpermute_b32 v39, v64, v119
	v_cndmask_b32_e64 v37, v37, v119, s4
	v_cndmask_b32_e64 v38, v38, v119, s5
	s_waitcnt lgkmcnt(0)
	s_delay_alu instid0(VALU_DEP_2) | instskip(NEXT) | instid1(VALU_DEP_2)
	v_cndmask_b32_e64 v40, v37, v39, s3
	v_cndmask_b32_e32 v38, v38, v39, vcc_lo
	s_delay_alu instid0(VALU_DEP_2) | instskip(NEXT) | instid1(VALU_DEP_2)
	v_cvt_f16_f32_e32 v37, v40
	v_cvt_f16_f32_e32 v39, v38
	s_delay_alu instid0(VALU_DEP_1) | instskip(SKIP_1) | instid1(VALU_DEP_1)
	v_pack_b32_f16 v37, v37, v39
	v_sub_f32_e32 v39, v67, v65
	v_mul_f32_e32 v41, 0x3fb8aa3b, v39
	v_cmp_ngt_f32_e64 s6, 0xc2ce8ed0, v39
	s_delay_alu instid0(VALU_DEP_2) | instskip(SKIP_1) | instid1(VALU_DEP_2)
	v_fma_f32 v42, 0x3fb8aa3b, v39, -v41
	v_rndne_f32_e32 v43, v41
	v_fmac_f32_e32 v42, 0x32a5705f, v39
	s_delay_alu instid0(VALU_DEP_2) | instskip(NEXT) | instid1(VALU_DEP_1)
	v_sub_f32_e32 v41, v41, v43
	v_add_f32_e32 v41, v41, v42
	v_cvt_i32_f32_e32 v42, v43
	s_delay_alu instid0(VALU_DEP_2) | instskip(SKIP_2) | instid1(VALU_DEP_1)
	v_exp_f32_e32 v41, v41
	s_waitcnt_depctr 0xfff
	v_ldexp_f32 v41, v41, v42
	v_cndmask_b32_e64 v41, 0, v41, s6
	v_cmp_nlt_f32_e64 s6, 0x42b17218, v39
	s_delay_alu instid0(VALU_DEP_1) | instskip(NEXT) | instid1(VALU_DEP_1)
	v_cndmask_b32_e64 v120, 0x7f800000, v41, s6
	v_cndmask_b32_e64 v39, v40, v120, s4
	ds_bpermute_b32 v40, v64, v120
	v_cndmask_b32_e64 v38, v38, v120, s5
	s_waitcnt lgkmcnt(0)
	v_cndmask_b32_e64 v39, v39, v40, s3
	s_delay_alu instid0(VALU_DEP_2) | instskip(NEXT) | instid1(VALU_DEP_2)
	v_cndmask_b32_e32 v40, v38, v40, vcc_lo
	v_cvt_f16_f32_e32 v38, v39
	s_delay_alu instid0(VALU_DEP_2) | instskip(NEXT) | instid1(VALU_DEP_1)
	v_cvt_f16_f32_e32 v41, v40
	v_pack_b32_f16 v38, v38, v41
	v_sub_f32_e32 v41, v66, v65
	s_delay_alu instid0(VALU_DEP_1) | instskip(SKIP_1) | instid1(VALU_DEP_2)
	v_mul_f32_e32 v42, 0x3fb8aa3b, v41
	v_cmp_ngt_f32_e64 s6, 0xc2ce8ed0, v41
	v_fma_f32 v43, 0x3fb8aa3b, v41, -v42
	v_rndne_f32_e32 v44, v42
	s_delay_alu instid0(VALU_DEP_1) | instskip(NEXT) | instid1(VALU_DEP_1)
	v_dual_fmac_f32 v43, 0x32a5705f, v41 :: v_dual_sub_f32 v42, v42, v44
	v_add_f32_e32 v42, v42, v43
	v_cvt_i32_f32_e32 v43, v44
	s_delay_alu instid0(VALU_DEP_2) | instskip(SKIP_3) | instid1(VALU_DEP_2)
	v_exp_f32_e32 v42, v42
	s_waitcnt_depctr 0xfff
	v_ldexp_f32 v42, v42, v43
	v_add_nc_u32_e32 v43, 0x2800, v247
	v_cndmask_b32_e64 v42, 0, v42, s6
	v_cmp_nlt_f32_e64 s6, 0x42b17218, v41
	s_delay_alu instid0(VALU_DEP_1)
	v_cndmask_b32_e64 v121, 0x7f800000, v42, s6
	v_add_nc_u32_e32 v42, 0x2600, v247
	ds_bpermute_b32 v41, v64, v121
	v_cndmask_b32_e64 v39, v39, v121, s4
	v_cndmask_b32_e64 v40, v40, v121, s5
	s_waitcnt lgkmcnt(0)
	s_delay_alu instid0(VALU_DEP_2) | instskip(NEXT) | instid1(VALU_DEP_2)
	v_cndmask_b32_e64 v39, v39, v41, s3
	v_dual_cndmask_b32 v40, v40, v41 :: v_dual_add_nc_u32 v41, 0x2400, v247
	s_cselect_b32 s3, -1, 0
	s_delay_alu instid0(VALU_DEP_2) | instskip(NEXT) | instid1(VALU_DEP_2)
	v_cvt_f16_f32_e32 v39, v39
	v_cvt_f16_f32_e32 v40, v40
	s_and_b32 s4, s0, s3
	s_delay_alu instid0(VALU_DEP_1)
	v_pack_b32_f16 v39, v39, v40
	v_add_nc_u32_e32 v40, 0x2000, v247
	ds_load_2addr_b32 v[48:49], v40 offset0:128 offset1:196
	ds_load_2addr_b32 v[50:51], v41 offset0:8 offset1:76
	ds_load_b32 v122, v253 offset:1088
	ds_load_2addr_b32 v[52:53], v42 offset0:84 offset1:152
	ds_load_2addr_b32 v[54:55], v43 offset0:92 offset1:228
	;; [unrolled: 1-line block ×4, first 2 shown]
	s_waitcnt lgkmcnt(6)
	v_perm_b32 v40, v49, v48, 0x5040100
	s_waitcnt lgkmcnt(5)
	v_perm_b32 v41, v51, v50, 0x5040100
	;; [unrolled: 2-line block ×4, first 2 shown]
	v_perm_b32 v44, v55, v112, 0x5040100
	s_waitcnt lgkmcnt(1)
	v_perm_b32 v45, v57, v56, 0x5040100
	s_waitcnt lgkmcnt(0)
	v_perm_b32 v46, v58, v107, 0x5040100
	v_perm_b32 v47, v113, v59, 0x5040100
	s_delay_alu instid0(VALU_DEP_1)
	v_wmma_f16_16x16x16_f16 v[24:31], v[40:47], v[32:39], v[24:31]
	v_add_nc_u32_e32 v40, 0x2000, v254
	v_add_nc_u32_e32 v42, 0x2600, v254
	;; [unrolled: 1-line block ×6, first 2 shown]
	ds_load_2addr_b32 v[60:61], v40 offset0:128 offset1:196
	ds_load_2addr_b32 v[62:63], v41 offset0:8 offset1:76
	;; [unrolled: 1-line block ×3, first 2 shown]
	ds_load_b32 v123, v248 offset:1088
	ds_load_b32 v124, v248 offset:2176
	;; [unrolled: 1-line block ×3, first 2 shown]
	ds_load_2addr_b32 v[68:69], v43 offset0:92 offset1:228
	ds_load_2addr_b32 v[70:71], v45 offset0:40 offset1:108
	;; [unrolled: 1-line block ×3, first 2 shown]
	s_waitcnt lgkmcnt(8)
	v_perm_b32 v40, v61, v60, 0x5040100
	s_waitcnt lgkmcnt(7)
	v_perm_b32 v41, v63, v62, 0x5040100
	;; [unrolled: 2-line block ×4, first 2 shown]
	v_perm_b32 v44, v69, v124, 0x5040100
	s_waitcnt lgkmcnt(1)
	v_perm_b32 v45, v71, v70, 0x5040100
	s_waitcnt lgkmcnt(0)
	v_perm_b32 v46, v72, v109, 0x5040100
	v_perm_b32 v47, v125, v73, 0x5040100
	s_delay_alu instid0(VALU_DEP_1)
	v_wmma_f16_16x16x16_f16 v[16:23], v[40:47], v[32:39], v[16:23]
	v_add_nc_u32_e32 v40, 0x2000, v215
	v_add_nc_u32_e32 v42, 0x2600, v215
	;; [unrolled: 1-line block ×6, first 2 shown]
	ds_load_2addr_b32 v[83:84], v40 offset0:128 offset1:196
	ds_load_2addr_b32 v[85:86], v41 offset0:8 offset1:76
	;; [unrolled: 1-line block ×3, first 2 shown]
	ds_load_b32 v126, v249 offset:1088
	ds_load_b32 v127, v249 offset:2176
	ds_load_2addr_b32 v[89:90], v43 offset0:92 offset1:228
	ds_load_2addr_b32 v[91:92], v45 offset0:40 offset1:108
	;; [unrolled: 1-line block ×3, first 2 shown]
	s_waitcnt lgkmcnt(7)
	v_perm_b32 v40, v84, v83, 0x5040100
	s_waitcnt lgkmcnt(6)
	v_perm_b32 v41, v86, v85, 0x5040100
	;; [unrolled: 2-line block ×4, first 2 shown]
	v_perm_b32 v44, v90, v127, 0x5040100
	s_waitcnt lgkmcnt(1)
	v_perm_b32 v45, v92, v91, 0x5040100
	s_waitcnt lgkmcnt(0)
	v_perm_b32 v46, v93, v111, 0x5040100
	v_perm_b32 v47, v108, v94, 0x5040100
	s_delay_alu instid0(VALU_DEP_1)
	v_wmma_f16_16x16x16_f16 v[8:15], v[40:47], v[32:39], v[8:15]
	v_add_nc_u32_e32 v40, 0x2000, v218
	v_add_nc_u32_e32 v43, 0x2800, v218
	;; [unrolled: 1-line block ×6, first 2 shown]
	ds_load_2addr_b32 v[95:96], v40 offset0:128 offset1:196
	ds_load_2addr_b32 v[97:98], v41 offset0:8 offset1:76
	ds_load_b32 v128, v250 offset:1088
	ds_load_2addr_b32 v[99:100], v42 offset0:84 offset1:152
	ds_load_2addr_b32 v[101:102], v43 offset0:92 offset1:228
	ds_load_b32 v129, v250 offset:2176
	ds_load_b32 v130, v250 offset:3264
	ds_load_2addr_b32 v[103:104], v45 offset0:40 offset1:108
	ds_load_2addr_b32 v[105:106], v46 offset0:116 offset1:184
	s_waitcnt lgkmcnt(0)
	s_barrier
	buffer_gl0_inv
	v_perm_b32 v40, v96, v95, 0x5040100
	v_perm_b32 v41, v98, v97, 0x5040100
	;; [unrolled: 1-line block ×8, first 2 shown]
	s_delay_alu instid0(VALU_DEP_1)
	v_wmma_f16_16x16x16_f16 v[0:7], v[40:47], v[32:39], v[0:7]
	v_perm_b32 v42, v52, v122, 0x7060302
	v_perm_b32 v43, v54, v53, 0x7060302
	v_perm_b32 v44, v55, v112, 0x7060302
	v_perm_b32 v46, v58, v107, 0x7060302
	v_perm_b32 v47, v113, v59, 0x7060302
	v_perm_b32 v40, v49, v48, 0x7060302
	v_perm_b32 v41, v51, v50, 0x7060302
	v_perm_b32 v45, v57, v56, 0x7060302
	s_delay_alu instid0(VALU_DEP_1)
	v_wmma_f16_16x16x16_f16 v[24:31], v[40:47], v[32:39], v[24:31] op_sel:[0,0,1]
	v_perm_b32 v42, v66, v123, 0x7060302
	v_perm_b32 v43, v68, v67, 0x7060302
	v_perm_b32 v44, v69, v124, 0x7060302
	v_perm_b32 v46, v72, v109, 0x7060302
	v_perm_b32 v47, v125, v73, 0x7060302
	v_perm_b32 v40, v61, v60, 0x7060302
	v_perm_b32 v41, v63, v62, 0x7060302
	v_perm_b32 v45, v71, v70, 0x7060302
	s_delay_alu instid0(VALU_DEP_1)
	v_wmma_f16_16x16x16_f16 v[16:23], v[40:47], v[32:39], v[16:23] op_sel:[0,0,1]
	;; [unrolled: 10-line block ×3, first 2 shown]
	v_perm_b32 v42, v99, v128, 0x7060302
	v_perm_b32 v43, v101, v100, 0x7060302
	;; [unrolled: 1-line block ×8, first 2 shown]
	s_delay_alu instid0(VALU_DEP_1) | instskip(SKIP_1) | instid1(VALU_DEP_1)
	v_wmma_f16_16x16x16_f16 v[0:7], v[40:47], v[32:39], v[0:7] op_sel:[0,0,1]
	v_add_f32_e32 v32, v75, v76
	v_add_f32_e32 v32, v77, v32
	s_delay_alu instid0(VALU_DEP_1) | instskip(NEXT) | instid1(VALU_DEP_1)
	v_add_f32_e32 v32, v78, v32
	v_add_f32_e32 v32, v79, v32
	s_delay_alu instid0(VALU_DEP_1) | instskip(NEXT) | instid1(VALU_DEP_1)
	;; [unrolled: 3-line block ×7, first 2 shown]
	v_add_f32_e32 v32, v121, v32
	v_fmac_f32_e32 v32, v235, v74
	ds_bpermute_b32 v33, v64, v32
	s_waitcnt lgkmcnt(0)
	v_add_f32_e32 v32, v32, v33
	s_and_saveexec_b32 s3, s4
	s_cbranch_execz .LBB25_439
; %bb.438:                              ;   in Loop: Header=BB25_10 Depth=1
	scratch_load_b32 v33, off, off offset:276 ; 4-byte Folded Reload
	v_max_f32_e32 v34, v65, v65
	s_waitcnt vmcnt(0)
	v_lshlrev_b32_e32 v33, 2, v33
	global_load_b32 v33, v33, s[72:73]
	s_waitcnt vmcnt(0)
	v_max_f32_e32 v35, v33, v33
	s_delay_alu instid0(VALU_DEP_1) | instskip(NEXT) | instid1(VALU_DEP_1)
	v_max_f32_e32 v34, v34, v35
	v_sub_f32_e32 v35, v65, v34
	v_mov_b32_e32 v65, v34
	s_delay_alu instid0(VALU_DEP_2) | instskip(NEXT) | instid1(VALU_DEP_1)
	v_dual_sub_f32 v33, v33, v34 :: v_dual_mul_f32 v36, 0x3fb8aa3b, v35
	v_fma_f32 v37, 0x3fb8aa3b, v35, -v36
	v_rndne_f32_e32 v38, v36
	s_delay_alu instid0(VALU_DEP_1) | instskip(SKIP_1) | instid1(VALU_DEP_2)
	v_dual_fmac_f32 v37, 0x32a5705f, v35 :: v_dual_sub_f32 v36, v36, v38
	v_cvt_i32_f32_e32 v38, v38
	v_add_f32_e32 v36, v36, v37
	v_cmp_ngt_f32_e32 vcc_lo, 0xc2ce8ed0, v35
	s_delay_alu instid0(VALU_DEP_2) | instskip(SKIP_2) | instid1(VALU_DEP_1)
	v_exp_f32_e32 v36, v36
	s_waitcnt_depctr 0xfff
	v_ldexp_f32 v36, v36, v38
	v_dual_mul_f32 v39, 0x3fb8aa3b, v33 :: v_dual_cndmask_b32 v36, 0, v36
	s_delay_alu instid0(VALU_DEP_1) | instskip(SKIP_2) | instid1(VALU_DEP_2)
	v_fma_f32 v40, 0x3fb8aa3b, v33, -v39
	v_rndne_f32_e32 v41, v39
	v_cmp_nlt_f32_e32 vcc_lo, 0x42b17218, v35
	v_dual_sub_f32 v37, v39, v41 :: v_dual_cndmask_b32 v36, 0x7f800000, v36
	s_delay_alu instid0(VALU_DEP_4) | instskip(SKIP_2) | instid1(VALU_DEP_3)
	v_fmac_f32_e32 v40, 0x32a5705f, v33
	v_cvt_i32_f32_e32 v38, v41
	v_cmp_ngt_f32_e32 vcc_lo, 0xc2ce8ed0, v33
	v_add_f32_e32 v37, v37, v40
	s_delay_alu instid0(VALU_DEP_1) | instskip(SKIP_2) | instid1(VALU_DEP_1)
	v_exp_f32_e32 v37, v37
	s_waitcnt_depctr 0xfff
	v_ldexp_f32 v37, v37, v38
	v_cndmask_b32_e32 v37, 0, v37, vcc_lo
	v_cmp_le_f32_e32 vcc_lo, 0xc1a00000, v35
	v_cndmask_b32_e32 v35, 0, v36, vcc_lo
	v_cmp_nlt_f32_e32 vcc_lo, 0x42b17218, v33
	s_delay_alu instid0(VALU_DEP_2) | instskip(SKIP_1) | instid1(VALU_DEP_2)
	v_cvt_f16_f32_e32 v36, v35
	v_cndmask_b32_e32 v33, 0x7f800000, v37, vcc_lo
	v_pk_mul_f16 v24, v36, v24 op_sel_hi:[0,1]
	s_delay_alu instid0(VALU_DEP_2)
	v_fmac_f32_e32 v33, v32, v35
	v_pk_mul_f16 v25, v36, v25 op_sel_hi:[0,1]
	v_pk_mul_f16 v26, v36, v26 op_sel_hi:[0,1]
	;; [unrolled: 1-line block ×4, first 2 shown]
	v_mov_b32_e32 v32, v33
	v_pk_mul_f16 v29, v36, v29 op_sel_hi:[0,1]
	v_pk_mul_f16 v30, v36, v30 op_sel_hi:[0,1]
	v_pk_mul_f16 v31, v36, v31 op_sel_hi:[0,1]
	v_pk_mul_f16 v16, v36, v16 op_sel_hi:[0,1]
	v_pk_mul_f16 v17, v36, v17 op_sel_hi:[0,1]
	v_pk_mul_f16 v18, v36, v18 op_sel_hi:[0,1]
	v_pk_mul_f16 v19, v36, v19 op_sel_hi:[0,1]
	v_pk_mul_f16 v20, v36, v20 op_sel_hi:[0,1]
	v_pk_mul_f16 v21, v36, v21 op_sel_hi:[0,1]
	v_pk_mul_f16 v22, v36, v22 op_sel_hi:[0,1]
	v_pk_mul_f16 v23, v36, v23 op_sel_hi:[0,1]
	v_pk_mul_f16 v8, v36, v8 op_sel_hi:[0,1]
	v_pk_mul_f16 v9, v36, v9 op_sel_hi:[0,1]
	v_pk_mul_f16 v10, v36, v10 op_sel_hi:[0,1]
	v_pk_mul_f16 v11, v36, v11 op_sel_hi:[0,1]
	v_pk_mul_f16 v12, v36, v12 op_sel_hi:[0,1]
	v_pk_mul_f16 v13, v36, v13 op_sel_hi:[0,1]
	v_pk_mul_f16 v14, v36, v14 op_sel_hi:[0,1]
	v_pk_mul_f16 v15, v36, v15 op_sel_hi:[0,1]
	v_pk_mul_f16 v0, v36, v0 op_sel_hi:[0,1]
	v_pk_mul_f16 v1, v36, v1 op_sel_hi:[0,1]
	v_pk_mul_f16 v2, v36, v2 op_sel_hi:[0,1]
	v_pk_mul_f16 v3, v36, v3 op_sel_hi:[0,1]
	v_pk_mul_f16 v4, v36, v4 op_sel_hi:[0,1]
	v_pk_mul_f16 v5, v36, v5 op_sel_hi:[0,1]
	v_pk_mul_f16 v6, v36, v6 op_sel_hi:[0,1]
	v_pk_mul_f16 v7, v36, v7 op_sel_hi:[0,1]
.LBB25_439:                             ;   in Loop: Header=BB25_10 Depth=1
	s_or_b32 exec_lo, exec_lo, s3
	s_and_saveexec_b32 s3, s2
	s_cbranch_execz .LBB25_441
; %bb.440:                              ;   in Loop: Header=BB25_10 Depth=1
	scratch_load_b32 v33, off, off offset:268 ; 4-byte Folded Reload
	s_waitcnt vmcnt(0)
	v_add_nc_u32_e32 v33, 0, v33
	ds_store_2addr_b32 v33, v65, v32 offset0:64 offset1:65
.LBB25_441:                             ;   in Loop: Header=BB25_10 Depth=1
	s_or_b32 exec_lo, exec_lo, s3
	s_waitcnt lgkmcnt(0)
	s_barrier
	buffer_gl0_inv
	s_and_saveexec_b32 s3, s1
	s_delay_alu instid0(SALU_CYCLE_1)
	s_xor_b32 s3, exec_lo, s3
	s_cbranch_execz .LBB25_443
; %bb.442:                              ;   in Loop: Header=BB25_10 Depth=1
	s_barrier
	buffer_gl0_inv
                                        ; implicit-def: $vgpr64
.LBB25_443:                             ;   in Loop: Header=BB25_10 Depth=1
	s_and_not1_saveexec_b32 s3, s3
	s_cbranch_execz .LBB25_445
; %bb.444:                              ;   in Loop: Header=BB25_10 Depth=1
	scratch_load_b32 v32, off, off offset:272 ; 4-byte Folded Reload
	s_waitcnt vmcnt(0)
	v_add_nc_u32_e32 v36, 0, v32
	ds_load_b64 v[32:33], v36 offset:256
	s_waitcnt lgkmcnt(0)
	s_barrier
	buffer_gl0_inv
	ds_bpermute_b32 v34, v64, v32
	s_waitcnt lgkmcnt(0)
	v_dual_max_f32 v35, v32, v32 :: v_dual_max_f32 v34, v34, v34
	s_delay_alu instid0(VALU_DEP_1) | instskip(NEXT) | instid1(VALU_DEP_1)
	v_max_f32_e32 v34, v35, v34
	v_sub_f32_e32 v32, v32, v34
	s_delay_alu instid0(VALU_DEP_1) | instskip(SKIP_1) | instid1(VALU_DEP_2)
	v_mul_f32_e32 v34, 0x3fb8aa3b, v32
	v_cmp_ngt_f32_e32 vcc_lo, 0xc2ce8ed0, v32
	v_fma_f32 v35, 0x3fb8aa3b, v32, -v34
	v_rndne_f32_e32 v37, v34
	s_delay_alu instid0(VALU_DEP_1) | instskip(NEXT) | instid1(VALU_DEP_1)
	v_dual_fmac_f32 v35, 0x32a5705f, v32 :: v_dual_sub_f32 v34, v34, v37
	v_add_f32_e32 v34, v34, v35
	v_cvt_i32_f32_e32 v35, v37
	s_delay_alu instid0(VALU_DEP_2) | instskip(SKIP_2) | instid1(VALU_DEP_1)
	v_exp_f32_e32 v34, v34
	s_waitcnt_depctr 0xfff
	v_ldexp_f32 v34, v34, v35
	v_cndmask_b32_e32 v34, 0, v34, vcc_lo
	v_cmp_nlt_f32_e32 vcc_lo, 0x42b17218, v32
	s_delay_alu instid0(VALU_DEP_2) | instskip(NEXT) | instid1(VALU_DEP_1)
	v_cndmask_b32_e32 v34, 0x7f800000, v34, vcc_lo
	v_mul_f32_e32 v32, v33, v34
	ds_bpermute_b32 v35, v64, v32
	s_waitcnt lgkmcnt(0)
	v_fmac_f32_e32 v35, v33, v34
	ds_store_b64 v36, v[34:35] offset:256
.LBB25_445:                             ;   in Loop: Header=BB25_10 Depth=1
	s_or_b32 exec_lo, exec_lo, s3
	scratch_load_b32 v32, off, off offset:200 ; 4-byte Folded Reload
	s_waitcnt vmcnt(0)
	ds_store_2addr_b32 v32, v24, v25 offset1:2
	ds_store_2addr_b32 v32, v26, v27 offset0:4 offset1:6
	ds_store_2addr_b32 v32, v28, v29 offset0:8 offset1:10
	;; [unrolled: 1-line block ×15, first 2 shown]
	s_waitcnt lgkmcnt(0)
	s_barrier
	buffer_gl0_inv
	s_and_saveexec_b32 s7, s0
	s_cbranch_execz .LBB25_523
; %bb.446:                              ;   in Loop: Header=BB25_10 Depth=1
	s_clause 0x1
	scratch_load_b32 v0, off, off offset:280
	scratch_load_b64 v[1:2], off, off offset:260
	s_waitcnt vmcnt(1)
	v_add_nc_u32_e32 v0, s74, v0
	s_waitcnt vmcnt(0)
	v_or_b32_e32 v1, s96, v1
	s_delay_alu instid0(VALU_DEP_1) | instskip(SKIP_2) | instid1(VALU_DEP_3)
	v_cmp_gt_i32_e64 s3, s76, v1
	v_mov_b32_e32 v1, 0x47
	v_cmp_gt_i32_e32 vcc_lo, s8, v0
	s_and_b32 s4, vcc_lo, s3
	s_delay_alu instid0(SALU_CYCLE_1)
	s_and_saveexec_b32 s14, s4
	s_cbranch_execz .LBB25_448
; %bb.447:                              ;   in Loop: Header=BB25_10 Depth=1
	s_clause 0x1
	scratch_load_b32 v1, off, off offset:292
	scratch_load_b32 v6, off, off offset:296
	s_waitcnt vmcnt(1)
	v_add_nc_u32_e32 v5, 0, v1
	s_waitcnt vmcnt(0)
	ds_load_2addr_b32 v[1:2], v6 offset1:32
	ds_load_2addr_b32 v[3:4], v5 offset0:64 offset1:65
	ds_load_b32 v6, v6 offset:4352
	ds_load_b32 v5, v5 offset:4608
	s_clause 0x1
	scratch_load_b32 v7, off, off offset:300
	scratch_load_b64 v[12:13], off, off offset:260
	s_waitcnt lgkmcnt(2)
	v_fma_mix_f32 v8, v3, v1, 0 op_sel_hi:[0,1,0]
	v_fma_mix_f32 v1, v3, v1, 0 op_sel:[0,1,0] op_sel_hi:[0,1,0]
	v_fma_mix_f32 v9, v3, v2, 0 op_sel_hi:[0,1,0]
	v_fma_mix_f32 v2, v3, v2, 0 op_sel:[0,1,0] op_sel_hi:[0,1,0]
	s_waitcnt lgkmcnt(0)
	v_fma_mix_f32 v3, v5, v6, v8 op_sel_hi:[0,1,0]
	v_fma_mix_f32 v6, v5, v6, v1 op_sel:[0,1,0] op_sel_hi:[0,1,0]
	s_delay_alu instid0(VALU_DEP_2) | instskip(NEXT) | instid1(VALU_DEP_2)
	v_div_scale_f32 v15, vcc_lo, v3, v4, v3
	v_div_scale_f32 v16, s4, v6, v4, v6
	s_waitcnt vmcnt(1)
	ds_load_b32 v7, v7 offset:4352
	s_waitcnt lgkmcnt(0)
	v_fma_mix_f32 v8, v5, v7, v9 op_sel_hi:[0,1,0]
	v_fma_mix_f32 v9, v5, v7, v2 op_sel:[0,1,0] op_sel_hi:[0,1,0]
	v_div_scale_f32 v5, null, v4, v4, v3
	v_div_scale_f32 v7, null, v4, v4, v6
	s_waitcnt vmcnt(0)
	v_mad_u64_u32 v[1:2], null, v0, s9, v[12:13]
	v_div_scale_f32 v10, null, v4, v4, v8
	v_rcp_f32_e32 v2, v5
	v_rcp_f32_e32 v12, v7
	v_div_scale_f32 v11, null, v4, v4, v9
	s_delay_alu instid0(VALU_DEP_2) | instskip(SKIP_1) | instid1(VALU_DEP_2)
	v_rcp_f32_e32 v13, v10
	v_div_scale_f32 v17, s5, v8, v4, v8
	v_rcp_f32_e32 v14, v11
	v_div_scale_f32 v21, s6, v9, v4, v9
	v_fma_f32 v0, -v5, v2, 1.0
	s_delay_alu instid0(TRANS32_DEP_3)
	v_fma_f32 v18, -v7, v12, 1.0
	s_waitcnt_depctr 0xfff
	v_fma_f32 v19, -v10, v13, 1.0
	v_fmac_f32_e32 v2, v0, v2
	v_fmac_f32_e32 v12, v18, v12
	v_fma_f32 v20, -v11, v14, 1.0
	v_lshl_add_u32 v0, v1, 6, v209
	v_fmac_f32_e32 v13, v19, v13
	s_delay_alu instid0(VALU_DEP_4) | instskip(NEXT) | instid1(VALU_DEP_4)
	v_dual_mul_f32 v18, v15, v2 :: v_dual_mul_f32 v19, v16, v12
	v_fmac_f32_e32 v14, v20, v14
	s_delay_alu instid0(VALU_DEP_4) | instskip(NEXT) | instid1(VALU_DEP_3)
	v_ashrrev_i32_e32 v1, 31, v0
	v_fma_f32 v23, -v5, v18, v15
	s_delay_alu instid0(VALU_DEP_4) | instskip(SKIP_3) | instid1(VALU_DEP_4)
	v_fma_f32 v24, -v7, v19, v16
	v_mul_f32_e32 v20, v17, v13
	v_mul_f32_e32 v22, v21, v14
	v_lshlrev_b64 v[0:1], 3, v[0:1]
	v_dual_fmac_f32 v18, v23, v2 :: v_dual_fmac_f32 v19, v24, v12
	s_delay_alu instid0(VALU_DEP_4) | instskip(NEXT) | instid1(VALU_DEP_4)
	v_fma_f32 v25, -v10, v20, v17
	v_fma_f32 v26, -v11, v22, v21
	s_delay_alu instid0(VALU_DEP_3) | instskip(NEXT) | instid1(VALU_DEP_4)
	v_fma_f32 v5, -v5, v18, v15
	v_fma_f32 v7, -v7, v19, v16
	s_delay_alu instid0(VALU_DEP_4) | instskip(NEXT) | instid1(VALU_DEP_4)
	v_fmac_f32_e32 v20, v25, v13
	v_fmac_f32_e32 v22, v26, v14
	s_delay_alu instid0(VALU_DEP_4) | instskip(SKIP_1) | instid1(VALU_DEP_3)
	v_div_fmas_f32 v2, v5, v2, v18
	s_mov_b32 vcc_lo, s4
	v_fma_f32 v10, -v10, v20, v17
	s_delay_alu instid0(VALU_DEP_3)
	v_fma_f32 v11, -v11, v22, v21
	v_div_fmas_f32 v5, v7, v12, v19
	s_mov_b32 vcc_lo, s5
	v_div_fixup_f32 v2, v2, v4, v3
	v_div_fmas_f32 v7, v10, v13, v20
	s_mov_b32 vcc_lo, s6
	v_div_fixup_f32 v3, v5, v4, v6
	v_div_fmas_f32 v10, v11, v14, v22
	v_add_co_u32 v5, vcc_lo, s67, v0
	v_add_co_ci_u32_e32 v6, vcc_lo, s95, v1, vcc_lo
	v_mov_b32_e32 v1, 0
	v_div_fixup_f32 v7, v7, v4, v8
	v_div_fixup_f32 v8, v10, v4, v9
	s_clause 0x1
	global_store_b64 v[5:6], v[2:3], off
	global_store_b64 v[5:6], v[7:8], off offset:256
.LBB25_448:                             ;   in Loop: Header=BB25_10 Depth=1
	s_or_b32 exec_lo, exec_lo, s14
	s_mov_b32 s4, -1
	s_mov_b32 s5, exec_lo
	v_cmpx_gt_i32_e32 0x47, v1
; %bb.449:                              ;   in Loop: Header=BB25_10 Depth=1
	v_cmp_eq_u32_e32 vcc_lo, 0, v1
	s_or_not1_b32 s4, vcc_lo, exec_lo
; %bb.450:                              ;   in Loop: Header=BB25_10 Depth=1
	s_or_b32 exec_lo, exec_lo, s5
	s_delay_alu instid0(SALU_CYCLE_1)
	s_and_b32 exec_lo, exec_lo, s4
	s_cbranch_execz .LBB25_523
; %bb.451:                              ;   in Loop: Header=BB25_10 Depth=1
	s_clause 0x1
	scratch_load_b32 v0, off, off offset:304
	scratch_load_b64 v[1:2], off, off offset:284
	s_waitcnt vmcnt(1)
	v_add_nc_u32_e32 v0, s74, v0
	s_waitcnt vmcnt(0)
	v_or_b32_e32 v1, s96, v1
	s_delay_alu instid0(VALU_DEP_1) | instskip(SKIP_2) | instid1(VALU_DEP_3)
	v_cmp_gt_i32_e64 s4, s76, v1
	v_mov_b32_e32 v1, 0x47
	v_cmp_gt_i32_e32 vcc_lo, s8, v0
	s_and_b32 s4, vcc_lo, s4
	s_delay_alu instid0(SALU_CYCLE_1)
	s_and_saveexec_b32 s14, s4
	s_cbranch_execz .LBB25_453
; %bb.452:                              ;   in Loop: Header=BB25_10 Depth=1
	s_clause 0x1
	scratch_load_b32 v1, off, off offset:452
	scratch_load_b32 v6, off, off offset:456
	s_waitcnt vmcnt(1)
	v_add_nc_u32_e32 v5, 0, v1
	s_waitcnt vmcnt(0)
	ds_load_2addr_b32 v[1:2], v6 offset1:32
	ds_load_2addr_b32 v[3:4], v5 offset0:64 offset1:65
	ds_load_b32 v6, v6 offset:4352
	ds_load_b32 v5, v5 offset:4608
	s_clause 0x1
	scratch_load_b32 v7, off, off offset:460
	scratch_load_b64 v[12:13], off, off offset:284
	s_waitcnt lgkmcnt(2)
	v_fma_mix_f32 v8, v3, v1, 0 op_sel_hi:[0,1,0]
	v_fma_mix_f32 v1, v3, v1, 0 op_sel:[0,1,0] op_sel_hi:[0,1,0]
	v_fma_mix_f32 v9, v3, v2, 0 op_sel_hi:[0,1,0]
	v_fma_mix_f32 v2, v3, v2, 0 op_sel:[0,1,0] op_sel_hi:[0,1,0]
	s_waitcnt lgkmcnt(0)
	v_fma_mix_f32 v3, v5, v6, v8 op_sel_hi:[0,1,0]
	v_fma_mix_f32 v6, v5, v6, v1 op_sel:[0,1,0] op_sel_hi:[0,1,0]
	s_delay_alu instid0(VALU_DEP_2) | instskip(NEXT) | instid1(VALU_DEP_2)
	v_div_scale_f32 v15, vcc_lo, v3, v4, v3
	v_div_scale_f32 v16, s4, v6, v4, v6
	s_waitcnt vmcnt(1)
	ds_load_b32 v7, v7 offset:4352
	s_waitcnt lgkmcnt(0)
	v_fma_mix_f32 v8, v5, v7, v9 op_sel_hi:[0,1,0]
	v_fma_mix_f32 v9, v5, v7, v2 op_sel:[0,1,0] op_sel_hi:[0,1,0]
	v_div_scale_f32 v5, null, v4, v4, v3
	v_div_scale_f32 v7, null, v4, v4, v6
	s_waitcnt vmcnt(0)
	v_mad_u64_u32 v[1:2], null, v0, s9, v[12:13]
	v_div_scale_f32 v10, null, v4, v4, v8
	v_rcp_f32_e32 v2, v5
	v_rcp_f32_e32 v12, v7
	v_div_scale_f32 v11, null, v4, v4, v9
	s_delay_alu instid0(VALU_DEP_2) | instskip(SKIP_1) | instid1(VALU_DEP_2)
	v_rcp_f32_e32 v13, v10
	v_div_scale_f32 v17, s5, v8, v4, v8
	v_rcp_f32_e32 v14, v11
	v_div_scale_f32 v21, s6, v9, v4, v9
	v_fma_f32 v0, -v5, v2, 1.0
	s_delay_alu instid0(TRANS32_DEP_3)
	v_fma_f32 v18, -v7, v12, 1.0
	s_waitcnt_depctr 0xfff
	v_fma_f32 v19, -v10, v13, 1.0
	v_fmac_f32_e32 v2, v0, v2
	v_fmac_f32_e32 v12, v18, v12
	v_fma_f32 v20, -v11, v14, 1.0
	v_lshl_add_u32 v0, v1, 6, v209
	v_fmac_f32_e32 v13, v19, v13
	s_delay_alu instid0(VALU_DEP_4) | instskip(NEXT) | instid1(VALU_DEP_4)
	v_dual_mul_f32 v18, v15, v2 :: v_dual_mul_f32 v19, v16, v12
	v_fmac_f32_e32 v14, v20, v14
	s_delay_alu instid0(VALU_DEP_4) | instskip(NEXT) | instid1(VALU_DEP_3)
	v_ashrrev_i32_e32 v1, 31, v0
	v_fma_f32 v23, -v5, v18, v15
	s_delay_alu instid0(VALU_DEP_4) | instskip(SKIP_3) | instid1(VALU_DEP_4)
	v_fma_f32 v24, -v7, v19, v16
	v_mul_f32_e32 v20, v17, v13
	v_mul_f32_e32 v22, v21, v14
	v_lshlrev_b64 v[0:1], 3, v[0:1]
	v_dual_fmac_f32 v18, v23, v2 :: v_dual_fmac_f32 v19, v24, v12
	s_delay_alu instid0(VALU_DEP_4) | instskip(NEXT) | instid1(VALU_DEP_4)
	v_fma_f32 v25, -v10, v20, v17
	v_fma_f32 v26, -v11, v22, v21
	s_delay_alu instid0(VALU_DEP_3) | instskip(NEXT) | instid1(VALU_DEP_4)
	v_fma_f32 v5, -v5, v18, v15
	v_fma_f32 v7, -v7, v19, v16
	s_delay_alu instid0(VALU_DEP_4) | instskip(NEXT) | instid1(VALU_DEP_4)
	v_fmac_f32_e32 v20, v25, v13
	v_fmac_f32_e32 v22, v26, v14
	s_delay_alu instid0(VALU_DEP_4) | instskip(SKIP_1) | instid1(VALU_DEP_3)
	v_div_fmas_f32 v2, v5, v2, v18
	s_mov_b32 vcc_lo, s4
	v_fma_f32 v10, -v10, v20, v17
	s_delay_alu instid0(VALU_DEP_3)
	v_fma_f32 v11, -v11, v22, v21
	v_div_fmas_f32 v5, v7, v12, v19
	s_mov_b32 vcc_lo, s5
	v_div_fixup_f32 v2, v2, v4, v3
	v_div_fmas_f32 v7, v10, v13, v20
	s_mov_b32 vcc_lo, s6
	v_div_fixup_f32 v3, v5, v4, v6
	v_div_fmas_f32 v10, v11, v14, v22
	v_add_co_u32 v5, vcc_lo, s67, v0
	v_add_co_ci_u32_e32 v6, vcc_lo, s95, v1, vcc_lo
	v_mov_b32_e32 v1, 0
	v_div_fixup_f32 v7, v7, v4, v8
	v_div_fixup_f32 v8, v10, v4, v9
	s_clause 0x1
	global_store_b64 v[5:6], v[2:3], off
	global_store_b64 v[5:6], v[7:8], off offset:256
.LBB25_453:                             ;   in Loop: Header=BB25_10 Depth=1
	s_or_b32 exec_lo, exec_lo, s14
	s_mov_b32 s4, -1
	s_mov_b32 s5, exec_lo
	v_cmpx_gt_i32_e32 0x47, v1
; %bb.454:                              ;   in Loop: Header=BB25_10 Depth=1
	v_cmp_eq_u32_e32 vcc_lo, 0, v1
	s_or_not1_b32 s4, vcc_lo, exec_lo
; %bb.455:                              ;   in Loop: Header=BB25_10 Depth=1
	s_or_b32 exec_lo, exec_lo, s5
	s_delay_alu instid0(SALU_CYCLE_1)
	s_and_b32 exec_lo, exec_lo, s4
	s_cbranch_execz .LBB25_523
; %bb.456:                              ;   in Loop: Header=BB25_10 Depth=1
	scratch_load_b32 v0, off, off offset:464 ; 4-byte Folded Reload
	s_waitcnt vmcnt(0)
	v_dual_mov_b32 v1, 0x47 :: v_dual_add_nc_u32 v0, s74, v0
	s_delay_alu instid0(VALU_DEP_1) | instskip(SKIP_1) | instid1(SALU_CYCLE_1)
	v_cmp_gt_i32_e32 vcc_lo, s8, v0
	s_and_b32 s4, vcc_lo, s3
	s_and_saveexec_b32 s14, s4
	s_cbranch_execz .LBB25_458
; %bb.457:                              ;   in Loop: Header=BB25_10 Depth=1
	s_clause 0x1
	scratch_load_b32 v1, off, off offset:484
	scratch_load_b32 v6, off, off offset:488
	s_waitcnt vmcnt(1)
	v_add_nc_u32_e32 v5, 0, v1
	s_waitcnt vmcnt(0)
	ds_load_2addr_b32 v[1:2], v6 offset1:32
	ds_load_2addr_b32 v[3:4], v5 offset0:64 offset1:65
	ds_load_b32 v6, v6 offset:4352
	ds_load_b32 v5, v5 offset:4608
	s_clause 0x1
	scratch_load_b32 v7, off, off offset:492
	scratch_load_b64 v[12:13], off, off offset:260
	s_waitcnt lgkmcnt(2)
	v_fma_mix_f32 v8, v3, v1, 0 op_sel_hi:[0,1,0]
	v_fma_mix_f32 v1, v3, v1, 0 op_sel:[0,1,0] op_sel_hi:[0,1,0]
	v_fma_mix_f32 v9, v3, v2, 0 op_sel_hi:[0,1,0]
	v_fma_mix_f32 v2, v3, v2, 0 op_sel:[0,1,0] op_sel_hi:[0,1,0]
	s_waitcnt lgkmcnt(0)
	v_fma_mix_f32 v3, v5, v6, v8 op_sel_hi:[0,1,0]
	v_fma_mix_f32 v6, v5, v6, v1 op_sel:[0,1,0] op_sel_hi:[0,1,0]
	s_delay_alu instid0(VALU_DEP_2) | instskip(NEXT) | instid1(VALU_DEP_2)
	v_div_scale_f32 v15, vcc_lo, v3, v4, v3
	v_div_scale_f32 v16, s4, v6, v4, v6
	s_waitcnt vmcnt(1)
	ds_load_b32 v7, v7 offset:4352
	s_waitcnt lgkmcnt(0)
	v_fma_mix_f32 v8, v5, v7, v9 op_sel_hi:[0,1,0]
	v_fma_mix_f32 v9, v5, v7, v2 op_sel:[0,1,0] op_sel_hi:[0,1,0]
	v_div_scale_f32 v5, null, v4, v4, v3
	v_div_scale_f32 v7, null, v4, v4, v6
	s_waitcnt vmcnt(0)
	v_mad_u64_u32 v[1:2], null, v0, s9, v[12:13]
	v_div_scale_f32 v10, null, v4, v4, v8
	v_rcp_f32_e32 v2, v5
	v_rcp_f32_e32 v12, v7
	v_div_scale_f32 v11, null, v4, v4, v9
	s_delay_alu instid0(VALU_DEP_2) | instskip(SKIP_1) | instid1(VALU_DEP_2)
	v_rcp_f32_e32 v13, v10
	v_div_scale_f32 v17, s5, v8, v4, v8
	v_rcp_f32_e32 v14, v11
	v_div_scale_f32 v21, s6, v9, v4, v9
	v_fma_f32 v0, -v5, v2, 1.0
	s_delay_alu instid0(TRANS32_DEP_3)
	v_fma_f32 v18, -v7, v12, 1.0
	s_waitcnt_depctr 0xfff
	v_fma_f32 v19, -v10, v13, 1.0
	v_fmac_f32_e32 v2, v0, v2
	v_fmac_f32_e32 v12, v18, v12
	v_fma_f32 v20, -v11, v14, 1.0
	v_lshl_add_u32 v0, v1, 6, v209
	v_fmac_f32_e32 v13, v19, v13
	s_delay_alu instid0(VALU_DEP_4) | instskip(NEXT) | instid1(VALU_DEP_4)
	v_dual_mul_f32 v18, v15, v2 :: v_dual_mul_f32 v19, v16, v12
	v_fmac_f32_e32 v14, v20, v14
	s_delay_alu instid0(VALU_DEP_4) | instskip(NEXT) | instid1(VALU_DEP_3)
	v_ashrrev_i32_e32 v1, 31, v0
	v_fma_f32 v23, -v5, v18, v15
	s_delay_alu instid0(VALU_DEP_4) | instskip(SKIP_3) | instid1(VALU_DEP_4)
	v_fma_f32 v24, -v7, v19, v16
	v_mul_f32_e32 v20, v17, v13
	v_mul_f32_e32 v22, v21, v14
	v_lshlrev_b64 v[0:1], 3, v[0:1]
	v_dual_fmac_f32 v18, v23, v2 :: v_dual_fmac_f32 v19, v24, v12
	s_delay_alu instid0(VALU_DEP_4) | instskip(NEXT) | instid1(VALU_DEP_4)
	v_fma_f32 v25, -v10, v20, v17
	v_fma_f32 v26, -v11, v22, v21
	s_delay_alu instid0(VALU_DEP_3) | instskip(NEXT) | instid1(VALU_DEP_4)
	v_fma_f32 v5, -v5, v18, v15
	v_fma_f32 v7, -v7, v19, v16
	s_delay_alu instid0(VALU_DEP_4) | instskip(NEXT) | instid1(VALU_DEP_4)
	v_fmac_f32_e32 v20, v25, v13
	v_fmac_f32_e32 v22, v26, v14
	s_delay_alu instid0(VALU_DEP_4) | instskip(SKIP_1) | instid1(VALU_DEP_3)
	v_div_fmas_f32 v2, v5, v2, v18
	s_mov_b32 vcc_lo, s4
	v_fma_f32 v10, -v10, v20, v17
	s_delay_alu instid0(VALU_DEP_3)
	v_fma_f32 v11, -v11, v22, v21
	v_div_fmas_f32 v5, v7, v12, v19
	s_mov_b32 vcc_lo, s5
	v_div_fixup_f32 v2, v2, v4, v3
	v_div_fmas_f32 v7, v10, v13, v20
	s_mov_b32 vcc_lo, s6
	v_div_fixup_f32 v3, v5, v4, v6
	v_div_fmas_f32 v10, v11, v14, v22
	v_add_co_u32 v5, vcc_lo, s67, v0
	v_add_co_ci_u32_e32 v6, vcc_lo, s95, v1, vcc_lo
	v_mov_b32_e32 v1, 0
	v_div_fixup_f32 v7, v7, v4, v8
	v_div_fixup_f32 v8, v10, v4, v9
	s_clause 0x1
	global_store_b64 v[5:6], v[2:3], off
	global_store_b64 v[5:6], v[7:8], off offset:256
.LBB25_458:                             ;   in Loop: Header=BB25_10 Depth=1
	s_or_b32 exec_lo, exec_lo, s14
	s_mov_b32 s4, -1
	s_mov_b32 s5, exec_lo
	v_cmpx_gt_i32_e32 0x47, v1
; %bb.459:                              ;   in Loop: Header=BB25_10 Depth=1
	v_cmp_eq_u32_e32 vcc_lo, 0, v1
	s_or_not1_b32 s4, vcc_lo, exec_lo
; %bb.460:                              ;   in Loop: Header=BB25_10 Depth=1
	s_or_b32 exec_lo, exec_lo, s5
	s_delay_alu instid0(SALU_CYCLE_1)
	s_and_b32 exec_lo, exec_lo, s4
	s_cbranch_execz .LBB25_523
; %bb.461:                              ;   in Loop: Header=BB25_10 Depth=1
	s_clause 0x1
	scratch_load_b32 v0, off, off offset:496
	scratch_load_b64 v[1:2], off, off offset:468
	s_waitcnt vmcnt(1)
	v_add_nc_u32_e32 v0, s74, v0
	s_waitcnt vmcnt(0)
	v_or_b32_e32 v1, s96, v1
	s_delay_alu instid0(VALU_DEP_1) | instskip(SKIP_2) | instid1(VALU_DEP_3)
	v_cmp_gt_i32_e64 s4, s76, v1
	v_mov_b32_e32 v1, 0x47
	v_cmp_gt_i32_e32 vcc_lo, s8, v0
	s_and_b32 s4, vcc_lo, s4
	s_delay_alu instid0(SALU_CYCLE_1)
	s_and_saveexec_b32 s14, s4
	s_cbranch_execz .LBB25_463
; %bb.462:                              ;   in Loop: Header=BB25_10 Depth=1
	s_clause 0x1
	scratch_load_b32 v1, off, off offset:500
	scratch_load_b32 v6, off, off offset:504
	s_waitcnt vmcnt(1)
	v_add_nc_u32_e32 v5, 0, v1
	s_waitcnt vmcnt(0)
	ds_load_2addr_b32 v[1:2], v6 offset1:32
	ds_load_2addr_b32 v[3:4], v5 offset0:64 offset1:65
	ds_load_b32 v6, v6 offset:4352
	ds_load_b32 v5, v5 offset:4608
	s_clause 0x1
	scratch_load_b32 v7, off, off offset:508
	scratch_load_b64 v[12:13], off, off offset:468
	s_waitcnt lgkmcnt(2)
	v_fma_mix_f32 v8, v3, v1, 0 op_sel_hi:[0,1,0]
	v_fma_mix_f32 v1, v3, v1, 0 op_sel:[0,1,0] op_sel_hi:[0,1,0]
	v_fma_mix_f32 v9, v3, v2, 0 op_sel_hi:[0,1,0]
	v_fma_mix_f32 v2, v3, v2, 0 op_sel:[0,1,0] op_sel_hi:[0,1,0]
	s_waitcnt lgkmcnt(0)
	v_fma_mix_f32 v3, v5, v6, v8 op_sel_hi:[0,1,0]
	v_fma_mix_f32 v6, v5, v6, v1 op_sel:[0,1,0] op_sel_hi:[0,1,0]
	s_delay_alu instid0(VALU_DEP_2) | instskip(NEXT) | instid1(VALU_DEP_2)
	v_div_scale_f32 v15, vcc_lo, v3, v4, v3
	v_div_scale_f32 v16, s4, v6, v4, v6
	s_waitcnt vmcnt(1)
	ds_load_b32 v7, v7 offset:4352
	s_waitcnt lgkmcnt(0)
	v_fma_mix_f32 v8, v5, v7, v9 op_sel_hi:[0,1,0]
	v_fma_mix_f32 v9, v5, v7, v2 op_sel:[0,1,0] op_sel_hi:[0,1,0]
	v_div_scale_f32 v5, null, v4, v4, v3
	v_div_scale_f32 v7, null, v4, v4, v6
	s_waitcnt vmcnt(0)
	v_mad_u64_u32 v[1:2], null, v0, s9, v[12:13]
	v_div_scale_f32 v10, null, v4, v4, v8
	v_rcp_f32_e32 v2, v5
	v_rcp_f32_e32 v12, v7
	v_div_scale_f32 v11, null, v4, v4, v9
	s_delay_alu instid0(VALU_DEP_2) | instskip(SKIP_1) | instid1(VALU_DEP_2)
	v_rcp_f32_e32 v13, v10
	v_div_scale_f32 v17, s5, v8, v4, v8
	v_rcp_f32_e32 v14, v11
	v_div_scale_f32 v21, s6, v9, v4, v9
	v_fma_f32 v0, -v5, v2, 1.0
	s_delay_alu instid0(TRANS32_DEP_3)
	v_fma_f32 v18, -v7, v12, 1.0
	s_waitcnt_depctr 0xfff
	v_fma_f32 v19, -v10, v13, 1.0
	v_fmac_f32_e32 v2, v0, v2
	v_fmac_f32_e32 v12, v18, v12
	v_fma_f32 v20, -v11, v14, 1.0
	v_lshl_add_u32 v0, v1, 6, v209
	v_fmac_f32_e32 v13, v19, v13
	s_delay_alu instid0(VALU_DEP_4) | instskip(NEXT) | instid1(VALU_DEP_4)
	v_dual_mul_f32 v18, v15, v2 :: v_dual_mul_f32 v19, v16, v12
	v_fmac_f32_e32 v14, v20, v14
	s_delay_alu instid0(VALU_DEP_4) | instskip(NEXT) | instid1(VALU_DEP_3)
	v_ashrrev_i32_e32 v1, 31, v0
	v_fma_f32 v23, -v5, v18, v15
	s_delay_alu instid0(VALU_DEP_4) | instskip(SKIP_3) | instid1(VALU_DEP_4)
	v_fma_f32 v24, -v7, v19, v16
	v_mul_f32_e32 v20, v17, v13
	v_mul_f32_e32 v22, v21, v14
	v_lshlrev_b64 v[0:1], 3, v[0:1]
	v_dual_fmac_f32 v18, v23, v2 :: v_dual_fmac_f32 v19, v24, v12
	s_delay_alu instid0(VALU_DEP_4) | instskip(NEXT) | instid1(VALU_DEP_4)
	v_fma_f32 v25, -v10, v20, v17
	v_fma_f32 v26, -v11, v22, v21
	s_delay_alu instid0(VALU_DEP_3) | instskip(NEXT) | instid1(VALU_DEP_4)
	v_fma_f32 v5, -v5, v18, v15
	v_fma_f32 v7, -v7, v19, v16
	s_delay_alu instid0(VALU_DEP_4) | instskip(NEXT) | instid1(VALU_DEP_4)
	v_fmac_f32_e32 v20, v25, v13
	v_fmac_f32_e32 v22, v26, v14
	s_delay_alu instid0(VALU_DEP_4) | instskip(SKIP_1) | instid1(VALU_DEP_3)
	v_div_fmas_f32 v2, v5, v2, v18
	s_mov_b32 vcc_lo, s4
	v_fma_f32 v10, -v10, v20, v17
	s_delay_alu instid0(VALU_DEP_3)
	v_fma_f32 v11, -v11, v22, v21
	v_div_fmas_f32 v5, v7, v12, v19
	s_mov_b32 vcc_lo, s5
	v_div_fixup_f32 v2, v2, v4, v3
	v_div_fmas_f32 v7, v10, v13, v20
	s_mov_b32 vcc_lo, s6
	v_div_fixup_f32 v3, v5, v4, v6
	v_div_fmas_f32 v10, v11, v14, v22
	v_add_co_u32 v5, vcc_lo, s67, v0
	v_add_co_ci_u32_e32 v6, vcc_lo, s95, v1, vcc_lo
	v_mov_b32_e32 v1, 0
	v_div_fixup_f32 v7, v7, v4, v8
	v_div_fixup_f32 v8, v10, v4, v9
	s_clause 0x1
	global_store_b64 v[5:6], v[2:3], off
	global_store_b64 v[5:6], v[7:8], off offset:256
.LBB25_463:                             ;   in Loop: Header=BB25_10 Depth=1
	s_or_b32 exec_lo, exec_lo, s14
	s_mov_b32 s4, -1
	s_mov_b32 s5, exec_lo
	v_cmpx_gt_i32_e32 0x47, v1
; %bb.464:                              ;   in Loop: Header=BB25_10 Depth=1
	v_cmp_eq_u32_e32 vcc_lo, 0, v1
	s_or_not1_b32 s4, vcc_lo, exec_lo
; %bb.465:                              ;   in Loop: Header=BB25_10 Depth=1
	s_or_b32 exec_lo, exec_lo, s5
	s_delay_alu instid0(SALU_CYCLE_1)
	s_and_b32 exec_lo, exec_lo, s4
	s_cbranch_execz .LBB25_523
; %bb.466:                              ;   in Loop: Header=BB25_10 Depth=1
	scratch_load_b32 v0, off, off offset:512 ; 4-byte Folded Reload
	s_waitcnt vmcnt(0)
	v_dual_mov_b32 v1, 0x47 :: v_dual_add_nc_u32 v0, s74, v0
	s_delay_alu instid0(VALU_DEP_1) | instskip(SKIP_1) | instid1(SALU_CYCLE_1)
	v_cmp_gt_i32_e32 vcc_lo, s8, v0
	s_and_b32 s4, vcc_lo, s3
	s_and_saveexec_b32 s14, s4
	s_cbranch_execz .LBB25_468
; %bb.467:                              ;   in Loop: Header=BB25_10 Depth=1
	s_clause 0x1
	scratch_load_b32 v1, off, off offset:548
	scratch_load_b32 v6, off, off offset:552
	s_waitcnt vmcnt(1)
	v_add_nc_u32_e32 v5, 0, v1
	s_waitcnt vmcnt(0)
	ds_load_2addr_b32 v[1:2], v6 offset1:32
	ds_load_2addr_b32 v[3:4], v5 offset0:64 offset1:65
	ds_load_b32 v6, v6 offset:4352
	ds_load_b32 v5, v5 offset:4608
	s_clause 0x1
	scratch_load_b32 v7, off, off offset:556
	scratch_load_b64 v[12:13], off, off offset:260
	s_waitcnt lgkmcnt(2)
	v_fma_mix_f32 v8, v3, v1, 0 op_sel_hi:[0,1,0]
	v_fma_mix_f32 v1, v3, v1, 0 op_sel:[0,1,0] op_sel_hi:[0,1,0]
	v_fma_mix_f32 v9, v3, v2, 0 op_sel_hi:[0,1,0]
	v_fma_mix_f32 v2, v3, v2, 0 op_sel:[0,1,0] op_sel_hi:[0,1,0]
	s_waitcnt lgkmcnt(0)
	v_fma_mix_f32 v3, v5, v6, v8 op_sel_hi:[0,1,0]
	v_fma_mix_f32 v6, v5, v6, v1 op_sel:[0,1,0] op_sel_hi:[0,1,0]
	s_delay_alu instid0(VALU_DEP_2) | instskip(NEXT) | instid1(VALU_DEP_2)
	v_div_scale_f32 v15, vcc_lo, v3, v4, v3
	v_div_scale_f32 v16, s4, v6, v4, v6
	s_waitcnt vmcnt(1)
	ds_load_b32 v7, v7 offset:4352
	s_waitcnt lgkmcnt(0)
	v_fma_mix_f32 v8, v5, v7, v9 op_sel_hi:[0,1,0]
	v_fma_mix_f32 v9, v5, v7, v2 op_sel:[0,1,0] op_sel_hi:[0,1,0]
	v_div_scale_f32 v5, null, v4, v4, v3
	v_div_scale_f32 v7, null, v4, v4, v6
	s_waitcnt vmcnt(0)
	v_mad_u64_u32 v[1:2], null, v0, s9, v[12:13]
	v_div_scale_f32 v10, null, v4, v4, v8
	v_rcp_f32_e32 v2, v5
	v_rcp_f32_e32 v12, v7
	v_div_scale_f32 v11, null, v4, v4, v9
	s_delay_alu instid0(VALU_DEP_2) | instskip(SKIP_1) | instid1(VALU_DEP_2)
	v_rcp_f32_e32 v13, v10
	v_div_scale_f32 v17, s5, v8, v4, v8
	v_rcp_f32_e32 v14, v11
	v_div_scale_f32 v21, s6, v9, v4, v9
	v_fma_f32 v0, -v5, v2, 1.0
	s_delay_alu instid0(TRANS32_DEP_3)
	v_fma_f32 v18, -v7, v12, 1.0
	s_waitcnt_depctr 0xfff
	v_fma_f32 v19, -v10, v13, 1.0
	v_fmac_f32_e32 v2, v0, v2
	v_fmac_f32_e32 v12, v18, v12
	v_fma_f32 v20, -v11, v14, 1.0
	v_lshl_add_u32 v0, v1, 6, v209
	v_fmac_f32_e32 v13, v19, v13
	s_delay_alu instid0(VALU_DEP_4) | instskip(NEXT) | instid1(VALU_DEP_4)
	v_dual_mul_f32 v18, v15, v2 :: v_dual_mul_f32 v19, v16, v12
	v_fmac_f32_e32 v14, v20, v14
	s_delay_alu instid0(VALU_DEP_4) | instskip(NEXT) | instid1(VALU_DEP_3)
	v_ashrrev_i32_e32 v1, 31, v0
	v_fma_f32 v23, -v5, v18, v15
	s_delay_alu instid0(VALU_DEP_4) | instskip(SKIP_3) | instid1(VALU_DEP_4)
	v_fma_f32 v24, -v7, v19, v16
	v_mul_f32_e32 v20, v17, v13
	v_mul_f32_e32 v22, v21, v14
	v_lshlrev_b64 v[0:1], 3, v[0:1]
	v_dual_fmac_f32 v18, v23, v2 :: v_dual_fmac_f32 v19, v24, v12
	s_delay_alu instid0(VALU_DEP_4) | instskip(NEXT) | instid1(VALU_DEP_4)
	v_fma_f32 v25, -v10, v20, v17
	v_fma_f32 v26, -v11, v22, v21
	s_delay_alu instid0(VALU_DEP_3) | instskip(NEXT) | instid1(VALU_DEP_4)
	v_fma_f32 v5, -v5, v18, v15
	v_fma_f32 v7, -v7, v19, v16
	s_delay_alu instid0(VALU_DEP_4) | instskip(NEXT) | instid1(VALU_DEP_4)
	v_fmac_f32_e32 v20, v25, v13
	v_fmac_f32_e32 v22, v26, v14
	s_delay_alu instid0(VALU_DEP_4) | instskip(SKIP_1) | instid1(VALU_DEP_3)
	v_div_fmas_f32 v2, v5, v2, v18
	s_mov_b32 vcc_lo, s4
	v_fma_f32 v10, -v10, v20, v17
	s_delay_alu instid0(VALU_DEP_3)
	v_fma_f32 v11, -v11, v22, v21
	v_div_fmas_f32 v5, v7, v12, v19
	s_mov_b32 vcc_lo, s5
	v_div_fixup_f32 v2, v2, v4, v3
	v_div_fmas_f32 v7, v10, v13, v20
	s_mov_b32 vcc_lo, s6
	v_div_fixup_f32 v3, v5, v4, v6
	v_div_fmas_f32 v10, v11, v14, v22
	v_add_co_u32 v5, vcc_lo, s67, v0
	v_add_co_ci_u32_e32 v6, vcc_lo, s95, v1, vcc_lo
	v_mov_b32_e32 v1, 0
	v_div_fixup_f32 v7, v7, v4, v8
	v_div_fixup_f32 v8, v10, v4, v9
	s_clause 0x1
	global_store_b64 v[5:6], v[2:3], off
	global_store_b64 v[5:6], v[7:8], off offset:256
.LBB25_468:                             ;   in Loop: Header=BB25_10 Depth=1
	s_or_b32 exec_lo, exec_lo, s14
	s_mov_b32 s4, -1
	s_mov_b32 s5, exec_lo
	v_cmpx_gt_i32_e32 0x47, v1
; %bb.469:                              ;   in Loop: Header=BB25_10 Depth=1
	v_cmp_eq_u32_e32 vcc_lo, 0, v1
	s_or_not1_b32 s4, vcc_lo, exec_lo
; %bb.470:                              ;   in Loop: Header=BB25_10 Depth=1
	s_or_b32 exec_lo, exec_lo, s5
	s_delay_alu instid0(SALU_CYCLE_1)
	s_and_b32 exec_lo, exec_lo, s4
	s_cbranch_execz .LBB25_523
; %bb.471:                              ;   in Loop: Header=BB25_10 Depth=1
	s_clause 0x1
	scratch_load_b32 v0, off, off offset:560
	scratch_load_b64 v[1:2], off, off offset:540
	s_waitcnt vmcnt(1)
	v_add_nc_u32_e32 v0, s74, v0
	s_waitcnt vmcnt(0)
	v_or_b32_e32 v1, s96, v1
	s_delay_alu instid0(VALU_DEP_1) | instskip(SKIP_2) | instid1(VALU_DEP_3)
	v_cmp_gt_i32_e64 s4, s76, v1
	v_mov_b32_e32 v1, 0x47
	v_cmp_gt_i32_e32 vcc_lo, s8, v0
	s_and_b32 s4, vcc_lo, s4
	s_delay_alu instid0(SALU_CYCLE_1)
	s_and_saveexec_b32 s14, s4
	s_cbranch_execz .LBB25_473
; %bb.472:                              ;   in Loop: Header=BB25_10 Depth=1
	s_clause 0x1
	scratch_load_b32 v1, off, off offset:564
	scratch_load_b32 v6, off, off offset:568
	s_waitcnt vmcnt(1)
	v_add_nc_u32_e32 v5, 0, v1
	s_waitcnt vmcnt(0)
	ds_load_2addr_b32 v[1:2], v6 offset1:32
	ds_load_2addr_b32 v[3:4], v5 offset0:64 offset1:65
	ds_load_b32 v6, v6 offset:4352
	ds_load_b32 v5, v5 offset:4608
	s_clause 0x1
	scratch_load_b32 v7, off, off offset:572
	scratch_load_b64 v[12:13], off, off offset:540
	s_waitcnt lgkmcnt(2)
	v_fma_mix_f32 v8, v3, v1, 0 op_sel_hi:[0,1,0]
	v_fma_mix_f32 v1, v3, v1, 0 op_sel:[0,1,0] op_sel_hi:[0,1,0]
	v_fma_mix_f32 v9, v3, v2, 0 op_sel_hi:[0,1,0]
	v_fma_mix_f32 v2, v3, v2, 0 op_sel:[0,1,0] op_sel_hi:[0,1,0]
	s_waitcnt lgkmcnt(0)
	v_fma_mix_f32 v3, v5, v6, v8 op_sel_hi:[0,1,0]
	v_fma_mix_f32 v6, v5, v6, v1 op_sel:[0,1,0] op_sel_hi:[0,1,0]
	s_delay_alu instid0(VALU_DEP_2) | instskip(NEXT) | instid1(VALU_DEP_2)
	v_div_scale_f32 v15, vcc_lo, v3, v4, v3
	v_div_scale_f32 v16, s4, v6, v4, v6
	s_waitcnt vmcnt(1)
	ds_load_b32 v7, v7 offset:4352
	s_waitcnt lgkmcnt(0)
	v_fma_mix_f32 v8, v5, v7, v9 op_sel_hi:[0,1,0]
	v_fma_mix_f32 v9, v5, v7, v2 op_sel:[0,1,0] op_sel_hi:[0,1,0]
	v_div_scale_f32 v5, null, v4, v4, v3
	v_div_scale_f32 v7, null, v4, v4, v6
	s_waitcnt vmcnt(0)
	v_mad_u64_u32 v[1:2], null, v0, s9, v[12:13]
	v_div_scale_f32 v10, null, v4, v4, v8
	v_rcp_f32_e32 v2, v5
	v_rcp_f32_e32 v12, v7
	v_div_scale_f32 v11, null, v4, v4, v9
	s_delay_alu instid0(VALU_DEP_2) | instskip(SKIP_1) | instid1(VALU_DEP_2)
	v_rcp_f32_e32 v13, v10
	v_div_scale_f32 v17, s5, v8, v4, v8
	v_rcp_f32_e32 v14, v11
	v_div_scale_f32 v21, s6, v9, v4, v9
	v_fma_f32 v0, -v5, v2, 1.0
	s_delay_alu instid0(TRANS32_DEP_3)
	v_fma_f32 v18, -v7, v12, 1.0
	s_waitcnt_depctr 0xfff
	v_fma_f32 v19, -v10, v13, 1.0
	v_fmac_f32_e32 v2, v0, v2
	v_fmac_f32_e32 v12, v18, v12
	v_fma_f32 v20, -v11, v14, 1.0
	v_lshl_add_u32 v0, v1, 6, v209
	v_fmac_f32_e32 v13, v19, v13
	s_delay_alu instid0(VALU_DEP_4) | instskip(NEXT) | instid1(VALU_DEP_4)
	v_dual_mul_f32 v18, v15, v2 :: v_dual_mul_f32 v19, v16, v12
	v_fmac_f32_e32 v14, v20, v14
	s_delay_alu instid0(VALU_DEP_4) | instskip(NEXT) | instid1(VALU_DEP_3)
	v_ashrrev_i32_e32 v1, 31, v0
	v_fma_f32 v23, -v5, v18, v15
	s_delay_alu instid0(VALU_DEP_4) | instskip(SKIP_3) | instid1(VALU_DEP_4)
	v_fma_f32 v24, -v7, v19, v16
	v_mul_f32_e32 v20, v17, v13
	v_mul_f32_e32 v22, v21, v14
	v_lshlrev_b64 v[0:1], 3, v[0:1]
	v_dual_fmac_f32 v18, v23, v2 :: v_dual_fmac_f32 v19, v24, v12
	s_delay_alu instid0(VALU_DEP_4) | instskip(NEXT) | instid1(VALU_DEP_4)
	v_fma_f32 v25, -v10, v20, v17
	v_fma_f32 v26, -v11, v22, v21
	s_delay_alu instid0(VALU_DEP_3) | instskip(NEXT) | instid1(VALU_DEP_4)
	v_fma_f32 v5, -v5, v18, v15
	v_fma_f32 v7, -v7, v19, v16
	s_delay_alu instid0(VALU_DEP_4) | instskip(NEXT) | instid1(VALU_DEP_4)
	v_fmac_f32_e32 v20, v25, v13
	v_fmac_f32_e32 v22, v26, v14
	s_delay_alu instid0(VALU_DEP_4) | instskip(SKIP_1) | instid1(VALU_DEP_3)
	v_div_fmas_f32 v2, v5, v2, v18
	s_mov_b32 vcc_lo, s4
	v_fma_f32 v10, -v10, v20, v17
	s_delay_alu instid0(VALU_DEP_3)
	v_fma_f32 v11, -v11, v22, v21
	v_div_fmas_f32 v5, v7, v12, v19
	s_mov_b32 vcc_lo, s5
	v_div_fixup_f32 v2, v2, v4, v3
	v_div_fmas_f32 v7, v10, v13, v20
	s_mov_b32 vcc_lo, s6
	v_div_fixup_f32 v3, v5, v4, v6
	v_div_fmas_f32 v10, v11, v14, v22
	v_add_co_u32 v5, vcc_lo, s67, v0
	v_add_co_ci_u32_e32 v6, vcc_lo, s95, v1, vcc_lo
	v_mov_b32_e32 v1, 0
	v_div_fixup_f32 v7, v7, v4, v8
	v_div_fixup_f32 v8, v10, v4, v9
	s_clause 0x1
	global_store_b64 v[5:6], v[2:3], off
	global_store_b64 v[5:6], v[7:8], off offset:256
.LBB25_473:                             ;   in Loop: Header=BB25_10 Depth=1
	s_or_b32 exec_lo, exec_lo, s14
	s_mov_b32 s4, -1
	s_mov_b32 s5, exec_lo
	v_cmpx_gt_i32_e32 0x47, v1
; %bb.474:                              ;   in Loop: Header=BB25_10 Depth=1
	v_cmp_eq_u32_e32 vcc_lo, 0, v1
	s_or_not1_b32 s4, vcc_lo, exec_lo
; %bb.475:                              ;   in Loop: Header=BB25_10 Depth=1
	s_or_b32 exec_lo, exec_lo, s5
	s_delay_alu instid0(SALU_CYCLE_1)
	s_and_b32 exec_lo, exec_lo, s4
	s_cbranch_execz .LBB25_523
; %bb.476:                              ;   in Loop: Header=BB25_10 Depth=1
	scratch_load_b32 v0, off, off offset:576 ; 4-byte Folded Reload
	s_waitcnt vmcnt(0)
	v_dual_mov_b32 v1, 0x47 :: v_dual_add_nc_u32 v0, s74, v0
	s_delay_alu instid0(VALU_DEP_1) | instskip(SKIP_1) | instid1(SALU_CYCLE_1)
	v_cmp_gt_i32_e32 vcc_lo, s8, v0
	s_and_b32 s4, vcc_lo, s3
	s_and_saveexec_b32 s14, s4
	s_cbranch_execz .LBB25_478
; %bb.477:                              ;   in Loop: Header=BB25_10 Depth=1
	s_clause 0x1
	scratch_load_b32 v1, off, off offset:588
	scratch_load_b32 v6, off, off offset:592
	s_waitcnt vmcnt(1)
	v_add_nc_u32_e32 v5, 0, v1
	s_waitcnt vmcnt(0)
	ds_load_2addr_b32 v[1:2], v6 offset1:32
	ds_load_2addr_b32 v[3:4], v5 offset0:64 offset1:65
	ds_load_b32 v6, v6 offset:4352
	ds_load_b32 v5, v5 offset:4608
	s_clause 0x1
	scratch_load_b32 v7, off, off offset:596
	scratch_load_b64 v[12:13], off, off offset:260
	s_waitcnt lgkmcnt(2)
	v_fma_mix_f32 v8, v3, v1, 0 op_sel_hi:[0,1,0]
	v_fma_mix_f32 v1, v3, v1, 0 op_sel:[0,1,0] op_sel_hi:[0,1,0]
	v_fma_mix_f32 v9, v3, v2, 0 op_sel_hi:[0,1,0]
	v_fma_mix_f32 v2, v3, v2, 0 op_sel:[0,1,0] op_sel_hi:[0,1,0]
	s_waitcnt lgkmcnt(0)
	v_fma_mix_f32 v3, v5, v6, v8 op_sel_hi:[0,1,0]
	v_fma_mix_f32 v6, v5, v6, v1 op_sel:[0,1,0] op_sel_hi:[0,1,0]
	s_delay_alu instid0(VALU_DEP_2) | instskip(NEXT) | instid1(VALU_DEP_2)
	v_div_scale_f32 v15, vcc_lo, v3, v4, v3
	v_div_scale_f32 v16, s4, v6, v4, v6
	s_waitcnt vmcnt(1)
	ds_load_b32 v7, v7 offset:4352
	s_waitcnt lgkmcnt(0)
	v_fma_mix_f32 v8, v5, v7, v9 op_sel_hi:[0,1,0]
	v_fma_mix_f32 v9, v5, v7, v2 op_sel:[0,1,0] op_sel_hi:[0,1,0]
	v_div_scale_f32 v5, null, v4, v4, v3
	v_div_scale_f32 v7, null, v4, v4, v6
	s_waitcnt vmcnt(0)
	v_mad_u64_u32 v[1:2], null, v0, s9, v[12:13]
	v_div_scale_f32 v10, null, v4, v4, v8
	v_rcp_f32_e32 v2, v5
	v_rcp_f32_e32 v12, v7
	v_div_scale_f32 v11, null, v4, v4, v9
	s_delay_alu instid0(VALU_DEP_2) | instskip(SKIP_1) | instid1(VALU_DEP_2)
	v_rcp_f32_e32 v13, v10
	v_div_scale_f32 v17, s5, v8, v4, v8
	v_rcp_f32_e32 v14, v11
	v_div_scale_f32 v21, s6, v9, v4, v9
	v_fma_f32 v0, -v5, v2, 1.0
	s_delay_alu instid0(TRANS32_DEP_3)
	v_fma_f32 v18, -v7, v12, 1.0
	s_waitcnt_depctr 0xfff
	v_fma_f32 v19, -v10, v13, 1.0
	v_fmac_f32_e32 v2, v0, v2
	v_fmac_f32_e32 v12, v18, v12
	v_fma_f32 v20, -v11, v14, 1.0
	v_lshl_add_u32 v0, v1, 6, v209
	v_fmac_f32_e32 v13, v19, v13
	s_delay_alu instid0(VALU_DEP_4) | instskip(NEXT) | instid1(VALU_DEP_4)
	v_dual_mul_f32 v18, v15, v2 :: v_dual_mul_f32 v19, v16, v12
	v_fmac_f32_e32 v14, v20, v14
	s_delay_alu instid0(VALU_DEP_4) | instskip(NEXT) | instid1(VALU_DEP_3)
	v_ashrrev_i32_e32 v1, 31, v0
	v_fma_f32 v23, -v5, v18, v15
	s_delay_alu instid0(VALU_DEP_4) | instskip(SKIP_3) | instid1(VALU_DEP_4)
	v_fma_f32 v24, -v7, v19, v16
	v_mul_f32_e32 v20, v17, v13
	v_mul_f32_e32 v22, v21, v14
	v_lshlrev_b64 v[0:1], 3, v[0:1]
	v_dual_fmac_f32 v18, v23, v2 :: v_dual_fmac_f32 v19, v24, v12
	s_delay_alu instid0(VALU_DEP_4) | instskip(NEXT) | instid1(VALU_DEP_4)
	v_fma_f32 v25, -v10, v20, v17
	v_fma_f32 v26, -v11, v22, v21
	s_delay_alu instid0(VALU_DEP_3) | instskip(NEXT) | instid1(VALU_DEP_4)
	v_fma_f32 v5, -v5, v18, v15
	v_fma_f32 v7, -v7, v19, v16
	s_delay_alu instid0(VALU_DEP_4) | instskip(NEXT) | instid1(VALU_DEP_4)
	v_fmac_f32_e32 v20, v25, v13
	v_fmac_f32_e32 v22, v26, v14
	s_delay_alu instid0(VALU_DEP_4) | instskip(SKIP_1) | instid1(VALU_DEP_3)
	v_div_fmas_f32 v2, v5, v2, v18
	s_mov_b32 vcc_lo, s4
	v_fma_f32 v10, -v10, v20, v17
	s_delay_alu instid0(VALU_DEP_3)
	v_fma_f32 v11, -v11, v22, v21
	v_div_fmas_f32 v5, v7, v12, v19
	s_mov_b32 vcc_lo, s5
	v_div_fixup_f32 v2, v2, v4, v3
	v_div_fmas_f32 v7, v10, v13, v20
	s_mov_b32 vcc_lo, s6
	v_div_fixup_f32 v3, v5, v4, v6
	v_div_fmas_f32 v10, v11, v14, v22
	v_add_co_u32 v5, vcc_lo, s67, v0
	v_add_co_ci_u32_e32 v6, vcc_lo, s95, v1, vcc_lo
	v_mov_b32_e32 v1, 0
	v_div_fixup_f32 v7, v7, v4, v8
	v_div_fixup_f32 v8, v10, v4, v9
	s_clause 0x1
	global_store_b64 v[5:6], v[2:3], off
	global_store_b64 v[5:6], v[7:8], off offset:256
.LBB25_478:                             ;   in Loop: Header=BB25_10 Depth=1
	s_or_b32 exec_lo, exec_lo, s14
	s_mov_b32 s4, -1
	s_mov_b32 s5, exec_lo
	v_cmpx_gt_i32_e32 0x47, v1
; %bb.479:                              ;   in Loop: Header=BB25_10 Depth=1
	v_cmp_eq_u32_e32 vcc_lo, 0, v1
	s_or_not1_b32 s4, vcc_lo, exec_lo
; %bb.480:                              ;   in Loop: Header=BB25_10 Depth=1
	s_or_b32 exec_lo, exec_lo, s5
	s_delay_alu instid0(SALU_CYCLE_1)
	s_and_b32 exec_lo, exec_lo, s4
	s_cbranch_execz .LBB25_523
; %bb.481:                              ;   in Loop: Header=BB25_10 Depth=1
	s_clause 0x1
	scratch_load_b32 v0, off, off offset:600
	scratch_load_b64 v[1:2], off, off offset:580
	s_waitcnt vmcnt(1)
	v_add_nc_u32_e32 v0, s74, v0
	s_waitcnt vmcnt(0)
	v_or_b32_e32 v1, s96, v1
	s_delay_alu instid0(VALU_DEP_1) | instskip(SKIP_2) | instid1(VALU_DEP_3)
	v_cmp_gt_i32_e64 s4, s76, v1
	v_mov_b32_e32 v1, 0x47
	v_cmp_gt_i32_e32 vcc_lo, s8, v0
	s_and_b32 s4, vcc_lo, s4
	s_delay_alu instid0(SALU_CYCLE_1)
	s_and_saveexec_b32 s14, s4
	s_cbranch_execz .LBB25_483
; %bb.482:                              ;   in Loop: Header=BB25_10 Depth=1
	s_clause 0x1
	scratch_load_b32 v1, off, off offset:604
	scratch_load_b32 v6, off, off offset:608
	s_waitcnt vmcnt(1)
	v_add_nc_u32_e32 v5, 0, v1
	s_waitcnt vmcnt(0)
	ds_load_2addr_b32 v[1:2], v6 offset1:32
	ds_load_2addr_b32 v[3:4], v5 offset0:64 offset1:65
	ds_load_b32 v6, v6 offset:4352
	ds_load_b32 v5, v5 offset:4608
	s_clause 0x1
	scratch_load_b32 v7, off, off offset:612
	scratch_load_b64 v[12:13], off, off offset:580
	s_waitcnt lgkmcnt(2)
	v_fma_mix_f32 v8, v3, v1, 0 op_sel_hi:[0,1,0]
	v_fma_mix_f32 v1, v3, v1, 0 op_sel:[0,1,0] op_sel_hi:[0,1,0]
	v_fma_mix_f32 v9, v3, v2, 0 op_sel_hi:[0,1,0]
	v_fma_mix_f32 v2, v3, v2, 0 op_sel:[0,1,0] op_sel_hi:[0,1,0]
	s_waitcnt lgkmcnt(0)
	v_fma_mix_f32 v3, v5, v6, v8 op_sel_hi:[0,1,0]
	v_fma_mix_f32 v6, v5, v6, v1 op_sel:[0,1,0] op_sel_hi:[0,1,0]
	s_delay_alu instid0(VALU_DEP_2) | instskip(NEXT) | instid1(VALU_DEP_2)
	v_div_scale_f32 v15, vcc_lo, v3, v4, v3
	v_div_scale_f32 v16, s4, v6, v4, v6
	s_waitcnt vmcnt(1)
	ds_load_b32 v7, v7 offset:4352
	s_waitcnt lgkmcnt(0)
	v_fma_mix_f32 v8, v5, v7, v9 op_sel_hi:[0,1,0]
	v_fma_mix_f32 v9, v5, v7, v2 op_sel:[0,1,0] op_sel_hi:[0,1,0]
	v_div_scale_f32 v5, null, v4, v4, v3
	v_div_scale_f32 v7, null, v4, v4, v6
	s_waitcnt vmcnt(0)
	v_mad_u64_u32 v[1:2], null, v0, s9, v[12:13]
	v_div_scale_f32 v10, null, v4, v4, v8
	v_rcp_f32_e32 v2, v5
	v_rcp_f32_e32 v12, v7
	v_div_scale_f32 v11, null, v4, v4, v9
	s_delay_alu instid0(VALU_DEP_2) | instskip(SKIP_1) | instid1(VALU_DEP_2)
	v_rcp_f32_e32 v13, v10
	v_div_scale_f32 v17, s5, v8, v4, v8
	v_rcp_f32_e32 v14, v11
	v_div_scale_f32 v21, s6, v9, v4, v9
	v_fma_f32 v0, -v5, v2, 1.0
	s_delay_alu instid0(TRANS32_DEP_3)
	v_fma_f32 v18, -v7, v12, 1.0
	s_waitcnt_depctr 0xfff
	v_fma_f32 v19, -v10, v13, 1.0
	v_fmac_f32_e32 v2, v0, v2
	v_fmac_f32_e32 v12, v18, v12
	v_fma_f32 v20, -v11, v14, 1.0
	v_lshl_add_u32 v0, v1, 6, v209
	v_fmac_f32_e32 v13, v19, v13
	s_delay_alu instid0(VALU_DEP_4) | instskip(NEXT) | instid1(VALU_DEP_4)
	v_dual_mul_f32 v18, v15, v2 :: v_dual_mul_f32 v19, v16, v12
	v_fmac_f32_e32 v14, v20, v14
	s_delay_alu instid0(VALU_DEP_4) | instskip(NEXT) | instid1(VALU_DEP_3)
	v_ashrrev_i32_e32 v1, 31, v0
	v_fma_f32 v23, -v5, v18, v15
	s_delay_alu instid0(VALU_DEP_4) | instskip(SKIP_3) | instid1(VALU_DEP_4)
	v_fma_f32 v24, -v7, v19, v16
	v_mul_f32_e32 v20, v17, v13
	v_mul_f32_e32 v22, v21, v14
	v_lshlrev_b64 v[0:1], 3, v[0:1]
	v_dual_fmac_f32 v18, v23, v2 :: v_dual_fmac_f32 v19, v24, v12
	s_delay_alu instid0(VALU_DEP_4) | instskip(NEXT) | instid1(VALU_DEP_4)
	v_fma_f32 v25, -v10, v20, v17
	v_fma_f32 v26, -v11, v22, v21
	s_delay_alu instid0(VALU_DEP_3) | instskip(NEXT) | instid1(VALU_DEP_4)
	v_fma_f32 v5, -v5, v18, v15
	v_fma_f32 v7, -v7, v19, v16
	s_delay_alu instid0(VALU_DEP_4) | instskip(NEXT) | instid1(VALU_DEP_4)
	v_fmac_f32_e32 v20, v25, v13
	v_fmac_f32_e32 v22, v26, v14
	s_delay_alu instid0(VALU_DEP_4) | instskip(SKIP_1) | instid1(VALU_DEP_3)
	v_div_fmas_f32 v2, v5, v2, v18
	s_mov_b32 vcc_lo, s4
	v_fma_f32 v10, -v10, v20, v17
	s_delay_alu instid0(VALU_DEP_3)
	v_fma_f32 v11, -v11, v22, v21
	v_div_fmas_f32 v5, v7, v12, v19
	s_mov_b32 vcc_lo, s5
	v_div_fixup_f32 v2, v2, v4, v3
	v_div_fmas_f32 v7, v10, v13, v20
	s_mov_b32 vcc_lo, s6
	v_div_fixup_f32 v3, v5, v4, v6
	v_div_fmas_f32 v10, v11, v14, v22
	v_add_co_u32 v5, vcc_lo, s67, v0
	v_add_co_ci_u32_e32 v6, vcc_lo, s95, v1, vcc_lo
	v_mov_b32_e32 v1, 0
	v_div_fixup_f32 v7, v7, v4, v8
	v_div_fixup_f32 v8, v10, v4, v9
	s_clause 0x1
	global_store_b64 v[5:6], v[2:3], off
	global_store_b64 v[5:6], v[7:8], off offset:256
.LBB25_483:                             ;   in Loop: Header=BB25_10 Depth=1
	s_or_b32 exec_lo, exec_lo, s14
	s_mov_b32 s4, -1
	s_mov_b32 s5, exec_lo
	v_cmpx_gt_i32_e32 0x47, v1
; %bb.484:                              ;   in Loop: Header=BB25_10 Depth=1
	v_cmp_eq_u32_e32 vcc_lo, 0, v1
	s_or_not1_b32 s4, vcc_lo, exec_lo
; %bb.485:                              ;   in Loop: Header=BB25_10 Depth=1
	s_or_b32 exec_lo, exec_lo, s5
	s_delay_alu instid0(SALU_CYCLE_1)
	s_and_b32 exec_lo, exec_lo, s4
	s_cbranch_execz .LBB25_523
; %bb.486:                              ;   in Loop: Header=BB25_10 Depth=1
	scratch_load_b32 v0, off, off offset:616 ; 4-byte Folded Reload
	s_waitcnt vmcnt(0)
	v_dual_mov_b32 v1, 0x47 :: v_dual_add_nc_u32 v0, s74, v0
	s_delay_alu instid0(VALU_DEP_1) | instskip(SKIP_1) | instid1(SALU_CYCLE_1)
	v_cmp_gt_i32_e32 vcc_lo, s8, v0
	s_and_b32 s4, vcc_lo, s3
	s_and_saveexec_b32 s14, s4
	s_cbranch_execz .LBB25_488
; %bb.487:                              ;   in Loop: Header=BB25_10 Depth=1
	s_clause 0x1
	scratch_load_b32 v1, off, off offset:628
	scratch_load_b32 v6, off, off offset:632
	s_waitcnt vmcnt(1)
	v_add_nc_u32_e32 v5, 0, v1
	s_waitcnt vmcnt(0)
	ds_load_2addr_b32 v[1:2], v6 offset1:32
	ds_load_2addr_b32 v[3:4], v5 offset0:64 offset1:65
	ds_load_b32 v6, v6 offset:4352
	ds_load_b32 v5, v5 offset:4608
	s_clause 0x1
	scratch_load_b32 v7, off, off offset:636
	scratch_load_b64 v[12:13], off, off offset:260
	s_waitcnt lgkmcnt(2)
	v_fma_mix_f32 v8, v3, v1, 0 op_sel_hi:[0,1,0]
	v_fma_mix_f32 v1, v3, v1, 0 op_sel:[0,1,0] op_sel_hi:[0,1,0]
	v_fma_mix_f32 v9, v3, v2, 0 op_sel_hi:[0,1,0]
	v_fma_mix_f32 v2, v3, v2, 0 op_sel:[0,1,0] op_sel_hi:[0,1,0]
	s_waitcnt lgkmcnt(0)
	v_fma_mix_f32 v3, v5, v6, v8 op_sel_hi:[0,1,0]
	v_fma_mix_f32 v6, v5, v6, v1 op_sel:[0,1,0] op_sel_hi:[0,1,0]
	s_delay_alu instid0(VALU_DEP_2) | instskip(NEXT) | instid1(VALU_DEP_2)
	v_div_scale_f32 v15, vcc_lo, v3, v4, v3
	v_div_scale_f32 v16, s4, v6, v4, v6
	s_waitcnt vmcnt(1)
	ds_load_b32 v7, v7 offset:4352
	s_waitcnt lgkmcnt(0)
	v_fma_mix_f32 v8, v5, v7, v9 op_sel_hi:[0,1,0]
	v_fma_mix_f32 v9, v5, v7, v2 op_sel:[0,1,0] op_sel_hi:[0,1,0]
	v_div_scale_f32 v5, null, v4, v4, v3
	v_div_scale_f32 v7, null, v4, v4, v6
	s_waitcnt vmcnt(0)
	v_mad_u64_u32 v[1:2], null, v0, s9, v[12:13]
	v_div_scale_f32 v10, null, v4, v4, v8
	v_rcp_f32_e32 v2, v5
	v_rcp_f32_e32 v12, v7
	v_div_scale_f32 v11, null, v4, v4, v9
	s_delay_alu instid0(VALU_DEP_2) | instskip(SKIP_1) | instid1(VALU_DEP_2)
	v_rcp_f32_e32 v13, v10
	v_div_scale_f32 v17, s5, v8, v4, v8
	v_rcp_f32_e32 v14, v11
	v_div_scale_f32 v21, s6, v9, v4, v9
	v_fma_f32 v0, -v5, v2, 1.0
	s_delay_alu instid0(TRANS32_DEP_3)
	v_fma_f32 v18, -v7, v12, 1.0
	s_waitcnt_depctr 0xfff
	v_fma_f32 v19, -v10, v13, 1.0
	v_fmac_f32_e32 v2, v0, v2
	v_fmac_f32_e32 v12, v18, v12
	v_fma_f32 v20, -v11, v14, 1.0
	v_lshl_add_u32 v0, v1, 6, v209
	v_fmac_f32_e32 v13, v19, v13
	s_delay_alu instid0(VALU_DEP_4) | instskip(NEXT) | instid1(VALU_DEP_4)
	v_dual_mul_f32 v18, v15, v2 :: v_dual_mul_f32 v19, v16, v12
	v_fmac_f32_e32 v14, v20, v14
	s_delay_alu instid0(VALU_DEP_4) | instskip(NEXT) | instid1(VALU_DEP_3)
	v_ashrrev_i32_e32 v1, 31, v0
	v_fma_f32 v23, -v5, v18, v15
	s_delay_alu instid0(VALU_DEP_4) | instskip(SKIP_3) | instid1(VALU_DEP_4)
	v_fma_f32 v24, -v7, v19, v16
	v_mul_f32_e32 v20, v17, v13
	v_mul_f32_e32 v22, v21, v14
	v_lshlrev_b64 v[0:1], 3, v[0:1]
	v_dual_fmac_f32 v18, v23, v2 :: v_dual_fmac_f32 v19, v24, v12
	s_delay_alu instid0(VALU_DEP_4) | instskip(NEXT) | instid1(VALU_DEP_4)
	v_fma_f32 v25, -v10, v20, v17
	v_fma_f32 v26, -v11, v22, v21
	s_delay_alu instid0(VALU_DEP_3) | instskip(NEXT) | instid1(VALU_DEP_4)
	v_fma_f32 v5, -v5, v18, v15
	v_fma_f32 v7, -v7, v19, v16
	s_delay_alu instid0(VALU_DEP_4) | instskip(NEXT) | instid1(VALU_DEP_4)
	v_fmac_f32_e32 v20, v25, v13
	v_fmac_f32_e32 v22, v26, v14
	s_delay_alu instid0(VALU_DEP_4) | instskip(SKIP_1) | instid1(VALU_DEP_3)
	v_div_fmas_f32 v2, v5, v2, v18
	s_mov_b32 vcc_lo, s4
	v_fma_f32 v10, -v10, v20, v17
	s_delay_alu instid0(VALU_DEP_3)
	v_fma_f32 v11, -v11, v22, v21
	v_div_fmas_f32 v5, v7, v12, v19
	s_mov_b32 vcc_lo, s5
	v_div_fixup_f32 v2, v2, v4, v3
	v_div_fmas_f32 v7, v10, v13, v20
	s_mov_b32 vcc_lo, s6
	v_div_fixup_f32 v3, v5, v4, v6
	v_div_fmas_f32 v10, v11, v14, v22
	v_add_co_u32 v5, vcc_lo, s67, v0
	v_add_co_ci_u32_e32 v6, vcc_lo, s95, v1, vcc_lo
	v_mov_b32_e32 v1, 0
	v_div_fixup_f32 v7, v7, v4, v8
	v_div_fixup_f32 v8, v10, v4, v9
	s_clause 0x1
	global_store_b64 v[5:6], v[2:3], off
	global_store_b64 v[5:6], v[7:8], off offset:256
.LBB25_488:                             ;   in Loop: Header=BB25_10 Depth=1
	s_or_b32 exec_lo, exec_lo, s14
	s_mov_b32 s4, -1
	s_mov_b32 s5, exec_lo
	v_cmpx_gt_i32_e32 0x47, v1
; %bb.489:                              ;   in Loop: Header=BB25_10 Depth=1
	v_cmp_eq_u32_e32 vcc_lo, 0, v1
	s_or_not1_b32 s4, vcc_lo, exec_lo
; %bb.490:                              ;   in Loop: Header=BB25_10 Depth=1
	s_or_b32 exec_lo, exec_lo, s5
	s_delay_alu instid0(SALU_CYCLE_1)
	s_and_b32 exec_lo, exec_lo, s4
	s_cbranch_execz .LBB25_523
; %bb.491:                              ;   in Loop: Header=BB25_10 Depth=1
	s_clause 0x1
	scratch_load_b32 v0, off, off offset:640
	scratch_load_b64 v[1:2], off, off offset:620
	s_waitcnt vmcnt(1)
	v_add_nc_u32_e32 v0, s74, v0
	s_waitcnt vmcnt(0)
	v_or_b32_e32 v1, s96, v1
	s_delay_alu instid0(VALU_DEP_1) | instskip(SKIP_2) | instid1(VALU_DEP_3)
	v_cmp_gt_i32_e64 s4, s76, v1
	v_mov_b32_e32 v1, 0x47
	v_cmp_gt_i32_e32 vcc_lo, s8, v0
	s_and_b32 s4, vcc_lo, s4
	s_delay_alu instid0(SALU_CYCLE_1)
	s_and_saveexec_b32 s14, s4
	s_cbranch_execz .LBB25_493
; %bb.492:                              ;   in Loop: Header=BB25_10 Depth=1
	s_clause 0x1
	scratch_load_b32 v1, off, off offset:644
	scratch_load_b32 v6, off, off offset:648
	s_waitcnt vmcnt(1)
	v_add_nc_u32_e32 v5, 0, v1
	s_waitcnt vmcnt(0)
	ds_load_2addr_b32 v[1:2], v6 offset1:32
	ds_load_2addr_b32 v[3:4], v5 offset0:64 offset1:65
	ds_load_b32 v6, v6 offset:4352
	ds_load_b32 v5, v5 offset:4608
	s_clause 0x1
	scratch_load_b32 v7, off, off offset:652
	scratch_load_b64 v[12:13], off, off offset:620
	s_waitcnt lgkmcnt(2)
	v_fma_mix_f32 v8, v3, v1, 0 op_sel_hi:[0,1,0]
	v_fma_mix_f32 v1, v3, v1, 0 op_sel:[0,1,0] op_sel_hi:[0,1,0]
	v_fma_mix_f32 v9, v3, v2, 0 op_sel_hi:[0,1,0]
	v_fma_mix_f32 v2, v3, v2, 0 op_sel:[0,1,0] op_sel_hi:[0,1,0]
	s_waitcnt lgkmcnt(0)
	v_fma_mix_f32 v3, v5, v6, v8 op_sel_hi:[0,1,0]
	v_fma_mix_f32 v6, v5, v6, v1 op_sel:[0,1,0] op_sel_hi:[0,1,0]
	s_delay_alu instid0(VALU_DEP_2) | instskip(NEXT) | instid1(VALU_DEP_2)
	v_div_scale_f32 v15, vcc_lo, v3, v4, v3
	v_div_scale_f32 v16, s4, v6, v4, v6
	s_waitcnt vmcnt(1)
	ds_load_b32 v7, v7 offset:4352
	s_waitcnt lgkmcnt(0)
	v_fma_mix_f32 v8, v5, v7, v9 op_sel_hi:[0,1,0]
	v_fma_mix_f32 v9, v5, v7, v2 op_sel:[0,1,0] op_sel_hi:[0,1,0]
	v_div_scale_f32 v5, null, v4, v4, v3
	v_div_scale_f32 v7, null, v4, v4, v6
	s_waitcnt vmcnt(0)
	v_mad_u64_u32 v[1:2], null, v0, s9, v[12:13]
	v_div_scale_f32 v10, null, v4, v4, v8
	v_rcp_f32_e32 v2, v5
	v_rcp_f32_e32 v12, v7
	v_div_scale_f32 v11, null, v4, v4, v9
	s_delay_alu instid0(VALU_DEP_2) | instskip(SKIP_1) | instid1(VALU_DEP_2)
	v_rcp_f32_e32 v13, v10
	v_div_scale_f32 v17, s5, v8, v4, v8
	v_rcp_f32_e32 v14, v11
	v_div_scale_f32 v21, s6, v9, v4, v9
	v_fma_f32 v0, -v5, v2, 1.0
	s_delay_alu instid0(TRANS32_DEP_3)
	v_fma_f32 v18, -v7, v12, 1.0
	s_waitcnt_depctr 0xfff
	v_fma_f32 v19, -v10, v13, 1.0
	v_fmac_f32_e32 v2, v0, v2
	v_fmac_f32_e32 v12, v18, v12
	v_fma_f32 v20, -v11, v14, 1.0
	v_lshl_add_u32 v0, v1, 6, v209
	v_fmac_f32_e32 v13, v19, v13
	s_delay_alu instid0(VALU_DEP_4) | instskip(NEXT) | instid1(VALU_DEP_4)
	v_dual_mul_f32 v18, v15, v2 :: v_dual_mul_f32 v19, v16, v12
	v_fmac_f32_e32 v14, v20, v14
	s_delay_alu instid0(VALU_DEP_4) | instskip(NEXT) | instid1(VALU_DEP_3)
	v_ashrrev_i32_e32 v1, 31, v0
	v_fma_f32 v23, -v5, v18, v15
	s_delay_alu instid0(VALU_DEP_4) | instskip(SKIP_3) | instid1(VALU_DEP_4)
	v_fma_f32 v24, -v7, v19, v16
	v_mul_f32_e32 v20, v17, v13
	v_mul_f32_e32 v22, v21, v14
	v_lshlrev_b64 v[0:1], 3, v[0:1]
	v_dual_fmac_f32 v18, v23, v2 :: v_dual_fmac_f32 v19, v24, v12
	s_delay_alu instid0(VALU_DEP_4) | instskip(NEXT) | instid1(VALU_DEP_4)
	v_fma_f32 v25, -v10, v20, v17
	v_fma_f32 v26, -v11, v22, v21
	s_delay_alu instid0(VALU_DEP_3) | instskip(NEXT) | instid1(VALU_DEP_4)
	v_fma_f32 v5, -v5, v18, v15
	v_fma_f32 v7, -v7, v19, v16
	s_delay_alu instid0(VALU_DEP_4) | instskip(NEXT) | instid1(VALU_DEP_4)
	v_fmac_f32_e32 v20, v25, v13
	v_fmac_f32_e32 v22, v26, v14
	s_delay_alu instid0(VALU_DEP_4) | instskip(SKIP_1) | instid1(VALU_DEP_3)
	v_div_fmas_f32 v2, v5, v2, v18
	s_mov_b32 vcc_lo, s4
	v_fma_f32 v10, -v10, v20, v17
	s_delay_alu instid0(VALU_DEP_3)
	v_fma_f32 v11, -v11, v22, v21
	v_div_fmas_f32 v5, v7, v12, v19
	s_mov_b32 vcc_lo, s5
	v_div_fixup_f32 v2, v2, v4, v3
	v_div_fmas_f32 v7, v10, v13, v20
	s_mov_b32 vcc_lo, s6
	v_div_fixup_f32 v3, v5, v4, v6
	v_div_fmas_f32 v10, v11, v14, v22
	v_add_co_u32 v5, vcc_lo, s67, v0
	v_add_co_ci_u32_e32 v6, vcc_lo, s95, v1, vcc_lo
	v_mov_b32_e32 v1, 0
	v_div_fixup_f32 v7, v7, v4, v8
	v_div_fixup_f32 v8, v10, v4, v9
	s_clause 0x1
	global_store_b64 v[5:6], v[2:3], off
	global_store_b64 v[5:6], v[7:8], off offset:256
.LBB25_493:                             ;   in Loop: Header=BB25_10 Depth=1
	s_or_b32 exec_lo, exec_lo, s14
	s_mov_b32 s4, -1
	s_mov_b32 s5, exec_lo
	v_cmpx_gt_i32_e32 0x47, v1
; %bb.494:                              ;   in Loop: Header=BB25_10 Depth=1
	v_cmp_eq_u32_e32 vcc_lo, 0, v1
	s_or_not1_b32 s4, vcc_lo, exec_lo
; %bb.495:                              ;   in Loop: Header=BB25_10 Depth=1
	s_or_b32 exec_lo, exec_lo, s5
	s_delay_alu instid0(SALU_CYCLE_1)
	s_and_b32 exec_lo, exec_lo, s4
	s_cbranch_execz .LBB25_523
; %bb.496:                              ;   in Loop: Header=BB25_10 Depth=1
	scratch_load_b32 v0, off, off offset:656 ; 4-byte Folded Reload
	s_waitcnt vmcnt(0)
	v_dual_mov_b32 v1, 0x47 :: v_dual_add_nc_u32 v0, s74, v0
	s_delay_alu instid0(VALU_DEP_1) | instskip(SKIP_1) | instid1(SALU_CYCLE_1)
	v_cmp_gt_i32_e32 vcc_lo, s8, v0
	s_and_b32 s4, vcc_lo, s3
	s_and_saveexec_b32 s14, s4
	s_cbranch_execz .LBB25_498
; %bb.497:                              ;   in Loop: Header=BB25_10 Depth=1
	s_clause 0x1
	scratch_load_b32 v1, off, off offset:668
	scratch_load_b32 v6, off, off offset:672
	s_waitcnt vmcnt(1)
	v_add_nc_u32_e32 v5, 0, v1
	s_waitcnt vmcnt(0)
	ds_load_2addr_b32 v[1:2], v6 offset1:32
	ds_load_2addr_b32 v[3:4], v5 offset0:64 offset1:65
	ds_load_b32 v6, v6 offset:4352
	ds_load_b32 v5, v5 offset:4608
	s_clause 0x1
	scratch_load_b32 v7, off, off offset:676
	scratch_load_b64 v[12:13], off, off offset:260
	s_waitcnt lgkmcnt(2)
	v_fma_mix_f32 v8, v3, v1, 0 op_sel_hi:[0,1,0]
	v_fma_mix_f32 v1, v3, v1, 0 op_sel:[0,1,0] op_sel_hi:[0,1,0]
	v_fma_mix_f32 v9, v3, v2, 0 op_sel_hi:[0,1,0]
	v_fma_mix_f32 v2, v3, v2, 0 op_sel:[0,1,0] op_sel_hi:[0,1,0]
	s_waitcnt lgkmcnt(0)
	v_fma_mix_f32 v3, v5, v6, v8 op_sel_hi:[0,1,0]
	v_fma_mix_f32 v6, v5, v6, v1 op_sel:[0,1,0] op_sel_hi:[0,1,0]
	s_delay_alu instid0(VALU_DEP_2) | instskip(NEXT) | instid1(VALU_DEP_2)
	v_div_scale_f32 v15, vcc_lo, v3, v4, v3
	v_div_scale_f32 v16, s4, v6, v4, v6
	s_waitcnt vmcnt(1)
	ds_load_b32 v7, v7 offset:4352
	s_waitcnt lgkmcnt(0)
	v_fma_mix_f32 v8, v5, v7, v9 op_sel_hi:[0,1,0]
	v_fma_mix_f32 v9, v5, v7, v2 op_sel:[0,1,0] op_sel_hi:[0,1,0]
	v_div_scale_f32 v5, null, v4, v4, v3
	v_div_scale_f32 v7, null, v4, v4, v6
	s_waitcnt vmcnt(0)
	v_mad_u64_u32 v[1:2], null, v0, s9, v[12:13]
	v_div_scale_f32 v10, null, v4, v4, v8
	v_rcp_f32_e32 v2, v5
	v_rcp_f32_e32 v12, v7
	v_div_scale_f32 v11, null, v4, v4, v9
	s_delay_alu instid0(VALU_DEP_2) | instskip(SKIP_1) | instid1(VALU_DEP_2)
	v_rcp_f32_e32 v13, v10
	v_div_scale_f32 v17, s5, v8, v4, v8
	v_rcp_f32_e32 v14, v11
	v_div_scale_f32 v21, s6, v9, v4, v9
	v_fma_f32 v0, -v5, v2, 1.0
	s_delay_alu instid0(TRANS32_DEP_3)
	v_fma_f32 v18, -v7, v12, 1.0
	s_waitcnt_depctr 0xfff
	v_fma_f32 v19, -v10, v13, 1.0
	v_fmac_f32_e32 v2, v0, v2
	v_fmac_f32_e32 v12, v18, v12
	v_fma_f32 v20, -v11, v14, 1.0
	v_lshl_add_u32 v0, v1, 6, v209
	v_fmac_f32_e32 v13, v19, v13
	s_delay_alu instid0(VALU_DEP_4) | instskip(NEXT) | instid1(VALU_DEP_4)
	v_dual_mul_f32 v18, v15, v2 :: v_dual_mul_f32 v19, v16, v12
	v_fmac_f32_e32 v14, v20, v14
	s_delay_alu instid0(VALU_DEP_4) | instskip(NEXT) | instid1(VALU_DEP_3)
	v_ashrrev_i32_e32 v1, 31, v0
	v_fma_f32 v23, -v5, v18, v15
	s_delay_alu instid0(VALU_DEP_4) | instskip(SKIP_3) | instid1(VALU_DEP_4)
	v_fma_f32 v24, -v7, v19, v16
	v_mul_f32_e32 v20, v17, v13
	v_mul_f32_e32 v22, v21, v14
	v_lshlrev_b64 v[0:1], 3, v[0:1]
	v_dual_fmac_f32 v18, v23, v2 :: v_dual_fmac_f32 v19, v24, v12
	s_delay_alu instid0(VALU_DEP_4) | instskip(NEXT) | instid1(VALU_DEP_4)
	v_fma_f32 v25, -v10, v20, v17
	v_fma_f32 v26, -v11, v22, v21
	s_delay_alu instid0(VALU_DEP_3) | instskip(NEXT) | instid1(VALU_DEP_4)
	v_fma_f32 v5, -v5, v18, v15
	v_fma_f32 v7, -v7, v19, v16
	s_delay_alu instid0(VALU_DEP_4) | instskip(NEXT) | instid1(VALU_DEP_4)
	v_fmac_f32_e32 v20, v25, v13
	v_fmac_f32_e32 v22, v26, v14
	s_delay_alu instid0(VALU_DEP_4) | instskip(SKIP_1) | instid1(VALU_DEP_3)
	v_div_fmas_f32 v2, v5, v2, v18
	s_mov_b32 vcc_lo, s4
	v_fma_f32 v10, -v10, v20, v17
	s_delay_alu instid0(VALU_DEP_3)
	v_fma_f32 v11, -v11, v22, v21
	v_div_fmas_f32 v5, v7, v12, v19
	s_mov_b32 vcc_lo, s5
	v_div_fixup_f32 v2, v2, v4, v3
	v_div_fmas_f32 v7, v10, v13, v20
	s_mov_b32 vcc_lo, s6
	v_div_fixup_f32 v3, v5, v4, v6
	v_div_fmas_f32 v10, v11, v14, v22
	v_add_co_u32 v5, vcc_lo, s67, v0
	v_add_co_ci_u32_e32 v6, vcc_lo, s95, v1, vcc_lo
	v_mov_b32_e32 v1, 0
	v_div_fixup_f32 v7, v7, v4, v8
	v_div_fixup_f32 v8, v10, v4, v9
	s_clause 0x1
	global_store_b64 v[5:6], v[2:3], off
	global_store_b64 v[5:6], v[7:8], off offset:256
.LBB25_498:                             ;   in Loop: Header=BB25_10 Depth=1
	s_or_b32 exec_lo, exec_lo, s14
	s_mov_b32 s4, -1
	s_mov_b32 s5, exec_lo
	v_cmpx_gt_i32_e32 0x47, v1
; %bb.499:                              ;   in Loop: Header=BB25_10 Depth=1
	v_cmp_eq_u32_e32 vcc_lo, 0, v1
	s_or_not1_b32 s4, vcc_lo, exec_lo
; %bb.500:                              ;   in Loop: Header=BB25_10 Depth=1
	s_or_b32 exec_lo, exec_lo, s5
	s_delay_alu instid0(SALU_CYCLE_1)
	s_and_b32 exec_lo, exec_lo, s4
	s_cbranch_execz .LBB25_523
; %bb.501:                              ;   in Loop: Header=BB25_10 Depth=1
	s_clause 0x1
	scratch_load_b32 v0, off, off offset:680
	scratch_load_b64 v[1:2], off, off offset:660
	s_waitcnt vmcnt(1)
	v_add_nc_u32_e32 v0, s74, v0
	s_waitcnt vmcnt(0)
	v_or_b32_e32 v1, s96, v1
	s_delay_alu instid0(VALU_DEP_1) | instskip(SKIP_2) | instid1(VALU_DEP_3)
	v_cmp_gt_i32_e64 s4, s76, v1
	v_mov_b32_e32 v1, 0x47
	v_cmp_gt_i32_e32 vcc_lo, s8, v0
	s_and_b32 s4, vcc_lo, s4
	s_delay_alu instid0(SALU_CYCLE_1)
	s_and_saveexec_b32 s14, s4
	s_cbranch_execz .LBB25_503
; %bb.502:                              ;   in Loop: Header=BB25_10 Depth=1
	s_clause 0x1
	scratch_load_b32 v1, off, off offset:684
	scratch_load_b32 v6, off, off offset:688
	s_waitcnt vmcnt(1)
	v_add_nc_u32_e32 v5, 0, v1
	s_waitcnt vmcnt(0)
	ds_load_2addr_b32 v[1:2], v6 offset1:32
	ds_load_2addr_b32 v[3:4], v5 offset0:64 offset1:65
	ds_load_b32 v6, v6 offset:4352
	ds_load_b32 v5, v5 offset:4608
	s_clause 0x1
	scratch_load_b32 v7, off, off offset:692
	scratch_load_b64 v[12:13], off, off offset:660
	s_waitcnt lgkmcnt(2)
	v_fma_mix_f32 v8, v3, v1, 0 op_sel_hi:[0,1,0]
	v_fma_mix_f32 v1, v3, v1, 0 op_sel:[0,1,0] op_sel_hi:[0,1,0]
	v_fma_mix_f32 v9, v3, v2, 0 op_sel_hi:[0,1,0]
	v_fma_mix_f32 v2, v3, v2, 0 op_sel:[0,1,0] op_sel_hi:[0,1,0]
	s_waitcnt lgkmcnt(0)
	v_fma_mix_f32 v3, v5, v6, v8 op_sel_hi:[0,1,0]
	v_fma_mix_f32 v6, v5, v6, v1 op_sel:[0,1,0] op_sel_hi:[0,1,0]
	s_delay_alu instid0(VALU_DEP_2) | instskip(NEXT) | instid1(VALU_DEP_2)
	v_div_scale_f32 v15, vcc_lo, v3, v4, v3
	v_div_scale_f32 v16, s4, v6, v4, v6
	s_waitcnt vmcnt(1)
	ds_load_b32 v7, v7 offset:4352
	s_waitcnt lgkmcnt(0)
	v_fma_mix_f32 v8, v5, v7, v9 op_sel_hi:[0,1,0]
	v_fma_mix_f32 v9, v5, v7, v2 op_sel:[0,1,0] op_sel_hi:[0,1,0]
	v_div_scale_f32 v5, null, v4, v4, v3
	v_div_scale_f32 v7, null, v4, v4, v6
	s_waitcnt vmcnt(0)
	v_mad_u64_u32 v[1:2], null, v0, s9, v[12:13]
	v_div_scale_f32 v10, null, v4, v4, v8
	v_rcp_f32_e32 v2, v5
	v_rcp_f32_e32 v12, v7
	v_div_scale_f32 v11, null, v4, v4, v9
	s_delay_alu instid0(VALU_DEP_2) | instskip(SKIP_1) | instid1(VALU_DEP_2)
	v_rcp_f32_e32 v13, v10
	v_div_scale_f32 v17, s5, v8, v4, v8
	v_rcp_f32_e32 v14, v11
	v_div_scale_f32 v21, s6, v9, v4, v9
	v_fma_f32 v0, -v5, v2, 1.0
	s_delay_alu instid0(TRANS32_DEP_3)
	v_fma_f32 v18, -v7, v12, 1.0
	s_waitcnt_depctr 0xfff
	v_fma_f32 v19, -v10, v13, 1.0
	v_fmac_f32_e32 v2, v0, v2
	v_fmac_f32_e32 v12, v18, v12
	v_fma_f32 v20, -v11, v14, 1.0
	v_lshl_add_u32 v0, v1, 6, v209
	v_fmac_f32_e32 v13, v19, v13
	s_delay_alu instid0(VALU_DEP_4) | instskip(NEXT) | instid1(VALU_DEP_4)
	v_dual_mul_f32 v18, v15, v2 :: v_dual_mul_f32 v19, v16, v12
	v_fmac_f32_e32 v14, v20, v14
	s_delay_alu instid0(VALU_DEP_4) | instskip(NEXT) | instid1(VALU_DEP_3)
	v_ashrrev_i32_e32 v1, 31, v0
	v_fma_f32 v23, -v5, v18, v15
	s_delay_alu instid0(VALU_DEP_4) | instskip(SKIP_3) | instid1(VALU_DEP_4)
	v_fma_f32 v24, -v7, v19, v16
	v_mul_f32_e32 v20, v17, v13
	v_mul_f32_e32 v22, v21, v14
	v_lshlrev_b64 v[0:1], 3, v[0:1]
	v_dual_fmac_f32 v18, v23, v2 :: v_dual_fmac_f32 v19, v24, v12
	s_delay_alu instid0(VALU_DEP_4) | instskip(NEXT) | instid1(VALU_DEP_4)
	v_fma_f32 v25, -v10, v20, v17
	v_fma_f32 v26, -v11, v22, v21
	s_delay_alu instid0(VALU_DEP_3) | instskip(NEXT) | instid1(VALU_DEP_4)
	v_fma_f32 v5, -v5, v18, v15
	v_fma_f32 v7, -v7, v19, v16
	s_delay_alu instid0(VALU_DEP_4) | instskip(NEXT) | instid1(VALU_DEP_4)
	v_fmac_f32_e32 v20, v25, v13
	v_fmac_f32_e32 v22, v26, v14
	s_delay_alu instid0(VALU_DEP_4) | instskip(SKIP_1) | instid1(VALU_DEP_3)
	v_div_fmas_f32 v2, v5, v2, v18
	s_mov_b32 vcc_lo, s4
	v_fma_f32 v10, -v10, v20, v17
	s_delay_alu instid0(VALU_DEP_3)
	v_fma_f32 v11, -v11, v22, v21
	v_div_fmas_f32 v5, v7, v12, v19
	s_mov_b32 vcc_lo, s5
	v_div_fixup_f32 v2, v2, v4, v3
	v_div_fmas_f32 v7, v10, v13, v20
	s_mov_b32 vcc_lo, s6
	v_div_fixup_f32 v3, v5, v4, v6
	v_div_fmas_f32 v10, v11, v14, v22
	v_add_co_u32 v5, vcc_lo, s67, v0
	v_add_co_ci_u32_e32 v6, vcc_lo, s95, v1, vcc_lo
	v_mov_b32_e32 v1, 0
	v_div_fixup_f32 v7, v7, v4, v8
	v_div_fixup_f32 v8, v10, v4, v9
	s_clause 0x1
	global_store_b64 v[5:6], v[2:3], off
	global_store_b64 v[5:6], v[7:8], off offset:256
.LBB25_503:                             ;   in Loop: Header=BB25_10 Depth=1
	s_or_b32 exec_lo, exec_lo, s14
	s_mov_b32 s4, -1
	s_mov_b32 s5, exec_lo
	v_cmpx_gt_i32_e32 0x47, v1
; %bb.504:                              ;   in Loop: Header=BB25_10 Depth=1
	v_cmp_eq_u32_e32 vcc_lo, 0, v1
	s_or_not1_b32 s4, vcc_lo, exec_lo
; %bb.505:                              ;   in Loop: Header=BB25_10 Depth=1
	s_or_b32 exec_lo, exec_lo, s5
	s_delay_alu instid0(SALU_CYCLE_1)
	s_and_b32 exec_lo, exec_lo, s4
	s_cbranch_execz .LBB25_523
; %bb.506:                              ;   in Loop: Header=BB25_10 Depth=1
	scratch_load_b32 v0, off, off offset:696 ; 4-byte Folded Reload
	s_waitcnt vmcnt(0)
	v_dual_mov_b32 v1, 0x47 :: v_dual_add_nc_u32 v0, s74, v0
	s_delay_alu instid0(VALU_DEP_1) | instskip(SKIP_1) | instid1(SALU_CYCLE_1)
	v_cmp_gt_i32_e32 vcc_lo, s8, v0
	s_and_b32 s4, vcc_lo, s3
	s_and_saveexec_b32 s14, s4
	s_cbranch_execz .LBB25_508
; %bb.507:                              ;   in Loop: Header=BB25_10 Depth=1
	s_clause 0x1
	scratch_load_b32 v1, off, off offset:708
	scratch_load_b32 v6, off, off offset:712
	s_waitcnt vmcnt(1)
	v_add_nc_u32_e32 v5, 0, v1
	s_waitcnt vmcnt(0)
	ds_load_2addr_b32 v[1:2], v6 offset1:32
	ds_load_2addr_b32 v[3:4], v5 offset0:64 offset1:65
	ds_load_b32 v6, v6 offset:4352
	ds_load_b32 v5, v5 offset:4608
	s_clause 0x1
	scratch_load_b32 v7, off, off offset:716
	scratch_load_b64 v[12:13], off, off offset:260
	s_waitcnt lgkmcnt(2)
	v_fma_mix_f32 v8, v3, v1, 0 op_sel_hi:[0,1,0]
	v_fma_mix_f32 v1, v3, v1, 0 op_sel:[0,1,0] op_sel_hi:[0,1,0]
	v_fma_mix_f32 v9, v3, v2, 0 op_sel_hi:[0,1,0]
	v_fma_mix_f32 v2, v3, v2, 0 op_sel:[0,1,0] op_sel_hi:[0,1,0]
	s_waitcnt lgkmcnt(0)
	v_fma_mix_f32 v3, v5, v6, v8 op_sel_hi:[0,1,0]
	v_fma_mix_f32 v6, v5, v6, v1 op_sel:[0,1,0] op_sel_hi:[0,1,0]
	s_delay_alu instid0(VALU_DEP_2) | instskip(NEXT) | instid1(VALU_DEP_2)
	v_div_scale_f32 v15, vcc_lo, v3, v4, v3
	v_div_scale_f32 v16, s4, v6, v4, v6
	s_waitcnt vmcnt(1)
	ds_load_b32 v7, v7 offset:4352
	s_waitcnt lgkmcnt(0)
	v_fma_mix_f32 v8, v5, v7, v9 op_sel_hi:[0,1,0]
	v_fma_mix_f32 v9, v5, v7, v2 op_sel:[0,1,0] op_sel_hi:[0,1,0]
	v_div_scale_f32 v5, null, v4, v4, v3
	v_div_scale_f32 v7, null, v4, v4, v6
	s_waitcnt vmcnt(0)
	v_mad_u64_u32 v[1:2], null, v0, s9, v[12:13]
	v_div_scale_f32 v10, null, v4, v4, v8
	v_rcp_f32_e32 v2, v5
	v_rcp_f32_e32 v12, v7
	v_div_scale_f32 v11, null, v4, v4, v9
	s_delay_alu instid0(VALU_DEP_2) | instskip(SKIP_1) | instid1(VALU_DEP_2)
	v_rcp_f32_e32 v13, v10
	v_div_scale_f32 v17, s5, v8, v4, v8
	v_rcp_f32_e32 v14, v11
	v_div_scale_f32 v21, s6, v9, v4, v9
	v_fma_f32 v0, -v5, v2, 1.0
	s_delay_alu instid0(TRANS32_DEP_3)
	v_fma_f32 v18, -v7, v12, 1.0
	s_waitcnt_depctr 0xfff
	v_fma_f32 v19, -v10, v13, 1.0
	v_fmac_f32_e32 v2, v0, v2
	v_fmac_f32_e32 v12, v18, v12
	v_fma_f32 v20, -v11, v14, 1.0
	v_lshl_add_u32 v0, v1, 6, v209
	v_fmac_f32_e32 v13, v19, v13
	s_delay_alu instid0(VALU_DEP_4) | instskip(NEXT) | instid1(VALU_DEP_4)
	v_dual_mul_f32 v18, v15, v2 :: v_dual_mul_f32 v19, v16, v12
	v_fmac_f32_e32 v14, v20, v14
	s_delay_alu instid0(VALU_DEP_4) | instskip(NEXT) | instid1(VALU_DEP_3)
	v_ashrrev_i32_e32 v1, 31, v0
	v_fma_f32 v23, -v5, v18, v15
	s_delay_alu instid0(VALU_DEP_4) | instskip(SKIP_3) | instid1(VALU_DEP_4)
	v_fma_f32 v24, -v7, v19, v16
	v_mul_f32_e32 v20, v17, v13
	v_mul_f32_e32 v22, v21, v14
	v_lshlrev_b64 v[0:1], 3, v[0:1]
	v_dual_fmac_f32 v18, v23, v2 :: v_dual_fmac_f32 v19, v24, v12
	s_delay_alu instid0(VALU_DEP_4) | instskip(NEXT) | instid1(VALU_DEP_4)
	v_fma_f32 v25, -v10, v20, v17
	v_fma_f32 v26, -v11, v22, v21
	s_delay_alu instid0(VALU_DEP_3) | instskip(NEXT) | instid1(VALU_DEP_4)
	v_fma_f32 v5, -v5, v18, v15
	v_fma_f32 v7, -v7, v19, v16
	s_delay_alu instid0(VALU_DEP_4) | instskip(NEXT) | instid1(VALU_DEP_4)
	v_fmac_f32_e32 v20, v25, v13
	v_fmac_f32_e32 v22, v26, v14
	s_delay_alu instid0(VALU_DEP_4) | instskip(SKIP_1) | instid1(VALU_DEP_3)
	v_div_fmas_f32 v2, v5, v2, v18
	s_mov_b32 vcc_lo, s4
	v_fma_f32 v10, -v10, v20, v17
	s_delay_alu instid0(VALU_DEP_3)
	v_fma_f32 v11, -v11, v22, v21
	v_div_fmas_f32 v5, v7, v12, v19
	s_mov_b32 vcc_lo, s5
	v_div_fixup_f32 v2, v2, v4, v3
	v_div_fmas_f32 v7, v10, v13, v20
	s_mov_b32 vcc_lo, s6
	v_div_fixup_f32 v3, v5, v4, v6
	v_div_fmas_f32 v10, v11, v14, v22
	v_add_co_u32 v5, vcc_lo, s67, v0
	v_add_co_ci_u32_e32 v6, vcc_lo, s95, v1, vcc_lo
	v_mov_b32_e32 v1, 0
	v_div_fixup_f32 v7, v7, v4, v8
	v_div_fixup_f32 v8, v10, v4, v9
	s_clause 0x1
	global_store_b64 v[5:6], v[2:3], off
	global_store_b64 v[5:6], v[7:8], off offset:256
.LBB25_508:                             ;   in Loop: Header=BB25_10 Depth=1
	s_or_b32 exec_lo, exec_lo, s14
	s_mov_b32 s4, -1
	s_mov_b32 s5, exec_lo
	v_cmpx_gt_i32_e32 0x47, v1
; %bb.509:                              ;   in Loop: Header=BB25_10 Depth=1
	v_cmp_eq_u32_e32 vcc_lo, 0, v1
	s_or_not1_b32 s4, vcc_lo, exec_lo
; %bb.510:                              ;   in Loop: Header=BB25_10 Depth=1
	s_or_b32 exec_lo, exec_lo, s5
	s_delay_alu instid0(SALU_CYCLE_1)
	s_and_b32 exec_lo, exec_lo, s4
	s_cbranch_execz .LBB25_523
; %bb.511:                              ;   in Loop: Header=BB25_10 Depth=1
	s_clause 0x1
	scratch_load_b32 v0, off, off offset:720
	scratch_load_b64 v[1:2], off, off offset:700
	s_waitcnt vmcnt(1)
	v_add_nc_u32_e32 v0, s74, v0
	s_waitcnt vmcnt(0)
	v_or_b32_e32 v1, s96, v1
	s_delay_alu instid0(VALU_DEP_1) | instskip(SKIP_2) | instid1(VALU_DEP_3)
	v_cmp_gt_i32_e64 s4, s76, v1
	v_mov_b32_e32 v1, 0x47
	v_cmp_gt_i32_e32 vcc_lo, s8, v0
	s_and_b32 s4, vcc_lo, s4
	s_delay_alu instid0(SALU_CYCLE_1)
	s_and_saveexec_b32 s14, s4
	s_cbranch_execz .LBB25_513
; %bb.512:                              ;   in Loop: Header=BB25_10 Depth=1
	s_clause 0x1
	scratch_load_b32 v1, off, off offset:724
	scratch_load_b32 v6, off, off offset:728
	s_waitcnt vmcnt(1)
	v_add_nc_u32_e32 v5, 0, v1
	s_waitcnt vmcnt(0)
	ds_load_2addr_b32 v[1:2], v6 offset1:32
	ds_load_2addr_b32 v[3:4], v5 offset0:64 offset1:65
	ds_load_b32 v6, v6 offset:4352
	ds_load_b32 v5, v5 offset:4608
	s_clause 0x1
	scratch_load_b32 v7, off, off offset:732
	scratch_load_b64 v[12:13], off, off offset:700
	s_waitcnt lgkmcnt(2)
	v_fma_mix_f32 v8, v3, v1, 0 op_sel_hi:[0,1,0]
	v_fma_mix_f32 v1, v3, v1, 0 op_sel:[0,1,0] op_sel_hi:[0,1,0]
	v_fma_mix_f32 v9, v3, v2, 0 op_sel_hi:[0,1,0]
	v_fma_mix_f32 v2, v3, v2, 0 op_sel:[0,1,0] op_sel_hi:[0,1,0]
	s_waitcnt lgkmcnt(0)
	v_fma_mix_f32 v3, v5, v6, v8 op_sel_hi:[0,1,0]
	v_fma_mix_f32 v6, v5, v6, v1 op_sel:[0,1,0] op_sel_hi:[0,1,0]
	s_delay_alu instid0(VALU_DEP_2) | instskip(NEXT) | instid1(VALU_DEP_2)
	v_div_scale_f32 v15, vcc_lo, v3, v4, v3
	v_div_scale_f32 v16, s4, v6, v4, v6
	s_waitcnt vmcnt(1)
	ds_load_b32 v7, v7 offset:4352
	s_waitcnt lgkmcnt(0)
	v_fma_mix_f32 v8, v5, v7, v9 op_sel_hi:[0,1,0]
	v_fma_mix_f32 v9, v5, v7, v2 op_sel:[0,1,0] op_sel_hi:[0,1,0]
	v_div_scale_f32 v5, null, v4, v4, v3
	v_div_scale_f32 v7, null, v4, v4, v6
	s_waitcnt vmcnt(0)
	v_mad_u64_u32 v[1:2], null, v0, s9, v[12:13]
	v_div_scale_f32 v10, null, v4, v4, v8
	v_rcp_f32_e32 v2, v5
	v_rcp_f32_e32 v12, v7
	v_div_scale_f32 v11, null, v4, v4, v9
	s_delay_alu instid0(VALU_DEP_2) | instskip(SKIP_1) | instid1(VALU_DEP_2)
	v_rcp_f32_e32 v13, v10
	v_div_scale_f32 v17, s5, v8, v4, v8
	v_rcp_f32_e32 v14, v11
	v_div_scale_f32 v21, s6, v9, v4, v9
	v_fma_f32 v0, -v5, v2, 1.0
	s_delay_alu instid0(TRANS32_DEP_3)
	v_fma_f32 v18, -v7, v12, 1.0
	s_waitcnt_depctr 0xfff
	v_fma_f32 v19, -v10, v13, 1.0
	v_fmac_f32_e32 v2, v0, v2
	v_fmac_f32_e32 v12, v18, v12
	v_fma_f32 v20, -v11, v14, 1.0
	v_lshl_add_u32 v0, v1, 6, v209
	v_fmac_f32_e32 v13, v19, v13
	s_delay_alu instid0(VALU_DEP_4) | instskip(NEXT) | instid1(VALU_DEP_4)
	v_dual_mul_f32 v18, v15, v2 :: v_dual_mul_f32 v19, v16, v12
	v_fmac_f32_e32 v14, v20, v14
	s_delay_alu instid0(VALU_DEP_4) | instskip(NEXT) | instid1(VALU_DEP_3)
	v_ashrrev_i32_e32 v1, 31, v0
	v_fma_f32 v23, -v5, v18, v15
	s_delay_alu instid0(VALU_DEP_4) | instskip(SKIP_3) | instid1(VALU_DEP_4)
	v_fma_f32 v24, -v7, v19, v16
	v_mul_f32_e32 v20, v17, v13
	v_mul_f32_e32 v22, v21, v14
	v_lshlrev_b64 v[0:1], 3, v[0:1]
	v_dual_fmac_f32 v18, v23, v2 :: v_dual_fmac_f32 v19, v24, v12
	s_delay_alu instid0(VALU_DEP_4) | instskip(NEXT) | instid1(VALU_DEP_4)
	v_fma_f32 v25, -v10, v20, v17
	v_fma_f32 v26, -v11, v22, v21
	s_delay_alu instid0(VALU_DEP_3) | instskip(NEXT) | instid1(VALU_DEP_4)
	v_fma_f32 v5, -v5, v18, v15
	v_fma_f32 v7, -v7, v19, v16
	s_delay_alu instid0(VALU_DEP_4) | instskip(NEXT) | instid1(VALU_DEP_4)
	v_fmac_f32_e32 v20, v25, v13
	v_fmac_f32_e32 v22, v26, v14
	s_delay_alu instid0(VALU_DEP_4) | instskip(SKIP_1) | instid1(VALU_DEP_3)
	v_div_fmas_f32 v2, v5, v2, v18
	s_mov_b32 vcc_lo, s4
	v_fma_f32 v10, -v10, v20, v17
	s_delay_alu instid0(VALU_DEP_3)
	v_fma_f32 v11, -v11, v22, v21
	v_div_fmas_f32 v5, v7, v12, v19
	s_mov_b32 vcc_lo, s5
	v_div_fixup_f32 v2, v2, v4, v3
	v_div_fmas_f32 v7, v10, v13, v20
	s_mov_b32 vcc_lo, s6
	v_div_fixup_f32 v3, v5, v4, v6
	v_div_fmas_f32 v10, v11, v14, v22
	v_add_co_u32 v5, vcc_lo, s67, v0
	v_add_co_ci_u32_e32 v6, vcc_lo, s95, v1, vcc_lo
	v_mov_b32_e32 v1, 0
	v_div_fixup_f32 v7, v7, v4, v8
	v_div_fixup_f32 v8, v10, v4, v9
	s_clause 0x1
	global_store_b64 v[5:6], v[2:3], off
	global_store_b64 v[5:6], v[7:8], off offset:256
.LBB25_513:                             ;   in Loop: Header=BB25_10 Depth=1
	s_or_b32 exec_lo, exec_lo, s14
	s_mov_b32 s4, -1
	s_mov_b32 s5, exec_lo
	v_cmpx_gt_i32_e32 0x47, v1
; %bb.514:                              ;   in Loop: Header=BB25_10 Depth=1
	v_cmp_eq_u32_e32 vcc_lo, 0, v1
	s_or_not1_b32 s4, vcc_lo, exec_lo
; %bb.515:                              ;   in Loop: Header=BB25_10 Depth=1
	s_or_b32 exec_lo, exec_lo, s5
	s_delay_alu instid0(SALU_CYCLE_1)
	s_and_b32 exec_lo, exec_lo, s4
	s_cbranch_execz .LBB25_523
; %bb.516:                              ;   in Loop: Header=BB25_10 Depth=1
	scratch_load_b32 v0, off, off offset:736 ; 4-byte Folded Reload
	s_waitcnt vmcnt(0)
	v_dual_mov_b32 v1, 0x47 :: v_dual_add_nc_u32 v0, s74, v0
	s_delay_alu instid0(VALU_DEP_1) | instskip(SKIP_1) | instid1(SALU_CYCLE_1)
	v_cmp_gt_i32_e32 vcc_lo, s8, v0
	s_and_b32 s3, vcc_lo, s3
	s_and_saveexec_b32 s6, s3
	s_cbranch_execz .LBB25_518
; %bb.517:                              ;   in Loop: Header=BB25_10 Depth=1
	s_clause 0x1
	scratch_load_b32 v1, off, off offset:748
	scratch_load_b32 v6, off, off offset:752
	s_waitcnt vmcnt(1)
	v_add_nc_u32_e32 v5, 0, v1
	s_waitcnt vmcnt(0)
	ds_load_2addr_b32 v[1:2], v6 offset1:32
	ds_load_2addr_b32 v[3:4], v5 offset0:64 offset1:65
	ds_load_b32 v6, v6 offset:4352
	ds_load_b32 v5, v5 offset:4608
	s_clause 0x1
	scratch_load_b32 v7, off, off offset:756
	scratch_load_b64 v[12:13], off, off offset:260
	s_waitcnt lgkmcnt(2)
	v_fma_mix_f32 v8, v3, v1, 0 op_sel_hi:[0,1,0]
	v_fma_mix_f32 v1, v3, v1, 0 op_sel:[0,1,0] op_sel_hi:[0,1,0]
	v_fma_mix_f32 v9, v3, v2, 0 op_sel_hi:[0,1,0]
	v_fma_mix_f32 v2, v3, v2, 0 op_sel:[0,1,0] op_sel_hi:[0,1,0]
	s_waitcnt lgkmcnt(0)
	v_fma_mix_f32 v3, v5, v6, v8 op_sel_hi:[0,1,0]
	v_fma_mix_f32 v6, v5, v6, v1 op_sel:[0,1,0] op_sel_hi:[0,1,0]
	s_delay_alu instid0(VALU_DEP_2) | instskip(NEXT) | instid1(VALU_DEP_2)
	v_div_scale_f32 v15, vcc_lo, v3, v4, v3
	v_div_scale_f32 v16, s3, v6, v4, v6
	s_waitcnt vmcnt(1)
	ds_load_b32 v7, v7 offset:4352
	s_waitcnt lgkmcnt(0)
	v_fma_mix_f32 v8, v5, v7, v9 op_sel_hi:[0,1,0]
	v_fma_mix_f32 v9, v5, v7, v2 op_sel:[0,1,0] op_sel_hi:[0,1,0]
	v_div_scale_f32 v5, null, v4, v4, v3
	v_div_scale_f32 v7, null, v4, v4, v6
	s_waitcnt vmcnt(0)
	v_mad_u64_u32 v[1:2], null, v0, s9, v[12:13]
	v_div_scale_f32 v10, null, v4, v4, v8
	v_rcp_f32_e32 v2, v5
	v_rcp_f32_e32 v12, v7
	v_div_scale_f32 v11, null, v4, v4, v9
	s_delay_alu instid0(VALU_DEP_2) | instskip(SKIP_1) | instid1(VALU_DEP_2)
	v_rcp_f32_e32 v13, v10
	v_div_scale_f32 v17, s4, v8, v4, v8
	v_rcp_f32_e32 v14, v11
	v_div_scale_f32 v21, s5, v9, v4, v9
	v_fma_f32 v0, -v5, v2, 1.0
	s_delay_alu instid0(TRANS32_DEP_3)
	v_fma_f32 v18, -v7, v12, 1.0
	s_waitcnt_depctr 0xfff
	v_fma_f32 v19, -v10, v13, 1.0
	v_fmac_f32_e32 v2, v0, v2
	v_fmac_f32_e32 v12, v18, v12
	v_fma_f32 v20, -v11, v14, 1.0
	v_lshl_add_u32 v0, v1, 6, v209
	v_fmac_f32_e32 v13, v19, v13
	s_delay_alu instid0(VALU_DEP_4) | instskip(NEXT) | instid1(VALU_DEP_4)
	v_dual_mul_f32 v18, v15, v2 :: v_dual_mul_f32 v19, v16, v12
	v_fmac_f32_e32 v14, v20, v14
	s_delay_alu instid0(VALU_DEP_4) | instskip(NEXT) | instid1(VALU_DEP_3)
	v_ashrrev_i32_e32 v1, 31, v0
	v_fma_f32 v23, -v5, v18, v15
	s_delay_alu instid0(VALU_DEP_4) | instskip(SKIP_3) | instid1(VALU_DEP_4)
	v_fma_f32 v24, -v7, v19, v16
	v_mul_f32_e32 v20, v17, v13
	v_mul_f32_e32 v22, v21, v14
	v_lshlrev_b64 v[0:1], 3, v[0:1]
	v_dual_fmac_f32 v18, v23, v2 :: v_dual_fmac_f32 v19, v24, v12
	s_delay_alu instid0(VALU_DEP_4) | instskip(NEXT) | instid1(VALU_DEP_4)
	v_fma_f32 v25, -v10, v20, v17
	v_fma_f32 v26, -v11, v22, v21
	s_delay_alu instid0(VALU_DEP_3) | instskip(NEXT) | instid1(VALU_DEP_4)
	v_fma_f32 v5, -v5, v18, v15
	v_fma_f32 v7, -v7, v19, v16
	s_delay_alu instid0(VALU_DEP_4) | instskip(NEXT) | instid1(VALU_DEP_4)
	v_fmac_f32_e32 v20, v25, v13
	v_fmac_f32_e32 v22, v26, v14
	s_delay_alu instid0(VALU_DEP_4) | instskip(SKIP_1) | instid1(VALU_DEP_3)
	v_div_fmas_f32 v2, v5, v2, v18
	s_mov_b32 vcc_lo, s3
	v_fma_f32 v10, -v10, v20, v17
	s_delay_alu instid0(VALU_DEP_3)
	v_fma_f32 v11, -v11, v22, v21
	v_div_fmas_f32 v5, v7, v12, v19
	s_mov_b32 vcc_lo, s4
	v_div_fixup_f32 v2, v2, v4, v3
	v_div_fmas_f32 v7, v10, v13, v20
	s_mov_b32 vcc_lo, s5
	v_div_fixup_f32 v3, v5, v4, v6
	v_div_fmas_f32 v10, v11, v14, v22
	v_add_co_u32 v5, vcc_lo, s67, v0
	v_add_co_ci_u32_e32 v6, vcc_lo, s95, v1, vcc_lo
	v_mov_b32_e32 v1, 0
	v_div_fixup_f32 v7, v7, v4, v8
	v_div_fixup_f32 v8, v10, v4, v9
	s_clause 0x1
	global_store_b64 v[5:6], v[2:3], off
	global_store_b64 v[5:6], v[7:8], off offset:256
.LBB25_518:                             ;   in Loop: Header=BB25_10 Depth=1
	s_or_b32 exec_lo, exec_lo, s6
	s_mov_b32 s3, -1
	s_mov_b32 s4, exec_lo
	v_cmpx_gt_i32_e32 0x47, v1
; %bb.519:                              ;   in Loop: Header=BB25_10 Depth=1
	v_cmp_eq_u32_e32 vcc_lo, 0, v1
	s_or_not1_b32 s3, vcc_lo, exec_lo
; %bb.520:                              ;   in Loop: Header=BB25_10 Depth=1
	s_or_b32 exec_lo, exec_lo, s4
	s_delay_alu instid0(SALU_CYCLE_1)
	s_and_b32 exec_lo, exec_lo, s3
	s_cbranch_execz .LBB25_523
; %bb.521:                              ;   in Loop: Header=BB25_10 Depth=1
	s_clause 0x1
	scratch_load_b32 v0, off, off offset:760
	scratch_load_b64 v[1:2], off, off offset:740
	s_waitcnt vmcnt(1)
	v_add_nc_u32_e32 v0, s74, v0
	s_waitcnt vmcnt(0)
	v_or_b32_e32 v1, s96, v1
	s_delay_alu instid0(VALU_DEP_2) | instskip(NEXT) | instid1(VALU_DEP_2)
	v_cmp_gt_i32_e32 vcc_lo, s8, v0
	v_cmp_gt_i32_e64 s3, s76, v1
	s_delay_alu instid0(VALU_DEP_1) | instskip(NEXT) | instid1(SALU_CYCLE_1)
	s_and_b32 s3, vcc_lo, s3
	s_and_b32 exec_lo, exec_lo, s3
	s_cbranch_execz .LBB25_523
; %bb.522:                              ;   in Loop: Header=BB25_10 Depth=1
	s_clause 0x1
	scratch_load_b32 v1, off, off offset:764
	scratch_load_b32 v6, off, off offset:768
	s_waitcnt vmcnt(1)
	v_add_nc_u32_e32 v5, 0, v1
	s_waitcnt vmcnt(0)
	ds_load_2addr_b32 v[1:2], v6 offset1:32
	ds_load_2addr_b32 v[3:4], v5 offset0:64 offset1:65
	ds_load_b32 v6, v6 offset:4352
	ds_load_b32 v5, v5 offset:4608
	s_clause 0x1
	scratch_load_b32 v7, off, off offset:772
	scratch_load_b64 v[12:13], off, off offset:740
	s_waitcnt lgkmcnt(2)
	v_fma_mix_f32 v8, v3, v1, 0 op_sel_hi:[0,1,0]
	v_fma_mix_f32 v1, v3, v1, 0 op_sel:[0,1,0] op_sel_hi:[0,1,0]
	v_fma_mix_f32 v9, v3, v2, 0 op_sel_hi:[0,1,0]
	v_fma_mix_f32 v2, v3, v2, 0 op_sel:[0,1,0] op_sel_hi:[0,1,0]
	s_waitcnt lgkmcnt(0)
	v_fma_mix_f32 v3, v5, v6, v8 op_sel_hi:[0,1,0]
	v_fma_mix_f32 v6, v5, v6, v1 op_sel:[0,1,0] op_sel_hi:[0,1,0]
	s_delay_alu instid0(VALU_DEP_2) | instskip(NEXT) | instid1(VALU_DEP_2)
	v_div_scale_f32 v15, vcc_lo, v3, v4, v3
	v_div_scale_f32 v16, s3, v6, v4, v6
	s_waitcnt vmcnt(1)
	ds_load_b32 v7, v7 offset:4352
	s_waitcnt lgkmcnt(0)
	v_fma_mix_f32 v8, v5, v7, v9 op_sel_hi:[0,1,0]
	v_fma_mix_f32 v7, v5, v7, v2 op_sel:[0,1,0] op_sel_hi:[0,1,0]
	v_div_scale_f32 v5, null, v4, v4, v3
	v_div_scale_f32 v9, null, v4, v4, v6
	s_waitcnt vmcnt(0)
	v_mad_u64_u32 v[1:2], null, v0, s9, v[12:13]
	v_div_scale_f32 v10, null, v4, v4, v8
	v_rcp_f32_e32 v2, v5
	v_rcp_f32_e32 v12, v9
	v_div_scale_f32 v11, null, v4, v4, v7
	s_delay_alu instid0(VALU_DEP_2) | instskip(SKIP_1) | instid1(VALU_DEP_2)
	v_rcp_f32_e32 v13, v10
	v_div_scale_f32 v17, s4, v8, v4, v8
	v_rcp_f32_e32 v14, v11
	v_div_scale_f32 v21, s5, v7, v4, v7
	v_fma_f32 v0, -v5, v2, 1.0
	s_delay_alu instid0(TRANS32_DEP_3)
	v_fma_f32 v18, -v9, v12, 1.0
	s_waitcnt_depctr 0xfff
	v_fma_f32 v19, -v10, v13, 1.0
	v_fmac_f32_e32 v2, v0, v2
	v_fmac_f32_e32 v12, v18, v12
	v_fma_f32 v20, -v11, v14, 1.0
	v_lshl_add_u32 v0, v1, 6, v209
	v_fmac_f32_e32 v13, v19, v13
	s_delay_alu instid0(VALU_DEP_4) | instskip(NEXT) | instid1(VALU_DEP_4)
	v_dual_mul_f32 v18, v15, v2 :: v_dual_mul_f32 v19, v16, v12
	v_fmac_f32_e32 v14, v20, v14
	s_delay_alu instid0(VALU_DEP_4) | instskip(NEXT) | instid1(VALU_DEP_3)
	v_ashrrev_i32_e32 v1, 31, v0
	v_fma_f32 v23, -v5, v18, v15
	s_delay_alu instid0(VALU_DEP_4) | instskip(SKIP_3) | instid1(VALU_DEP_4)
	v_fma_f32 v24, -v9, v19, v16
	v_mul_f32_e32 v20, v17, v13
	v_mul_f32_e32 v22, v21, v14
	v_lshlrev_b64 v[0:1], 3, v[0:1]
	v_dual_fmac_f32 v18, v23, v2 :: v_dual_fmac_f32 v19, v24, v12
	s_delay_alu instid0(VALU_DEP_4) | instskip(NEXT) | instid1(VALU_DEP_4)
	v_fma_f32 v25, -v10, v20, v17
	v_fma_f32 v26, -v11, v22, v21
	s_delay_alu instid0(VALU_DEP_3) | instskip(NEXT) | instid1(VALU_DEP_4)
	v_fma_f32 v5, -v5, v18, v15
	v_fma_f32 v9, -v9, v19, v16
	s_delay_alu instid0(VALU_DEP_4) | instskip(NEXT) | instid1(VALU_DEP_4)
	v_fmac_f32_e32 v20, v25, v13
	v_fmac_f32_e32 v22, v26, v14
	s_delay_alu instid0(VALU_DEP_4) | instskip(SKIP_1) | instid1(VALU_DEP_3)
	v_div_fmas_f32 v2, v5, v2, v18
	s_mov_b32 vcc_lo, s3
	v_fma_f32 v10, -v10, v20, v17
	s_delay_alu instid0(VALU_DEP_3)
	v_fma_f32 v11, -v11, v22, v21
	v_div_fmas_f32 v5, v9, v12, v19
	s_mov_b32 vcc_lo, s4
	v_div_fixup_f32 v2, v2, v4, v3
	v_div_fmas_f32 v9, v10, v13, v20
	s_mov_b32 vcc_lo, s5
	v_div_fixup_f32 v3, v5, v4, v6
	v_div_fmas_f32 v10, v11, v14, v22
	v_add_co_u32 v0, vcc_lo, s67, v0
	v_add_co_ci_u32_e32 v1, vcc_lo, s95, v1, vcc_lo
	v_div_fixup_f32 v5, v9, v4, v8
	s_delay_alu instid0(VALU_DEP_4)
	v_div_fixup_f32 v6, v10, v4, v7
	s_clause 0x1
	global_store_b64 v[0:1], v[2:3], off
	global_store_b64 v[0:1], v[5:6], off offset:256
.LBB25_523:                             ;   in Loop: Header=BB25_10 Depth=1
	s_or_b32 exec_lo, exec_lo, s7
	s_waitcnt_vscnt null, 0x0
	s_barrier
.LBB25_524:                             ;   in Loop: Header=BB25_10 Depth=1
	s_add_i32 s3, s58, s81
	s_mov_b32 s102, 0
	s_abs_i32 s4, s3
	s_waitcnt_vscnt null, 0x0
	buffer_gl0_inv
	s_mul_hi_u32 s5, s4, s84
	s_delay_alu instid0(SALU_CYCLE_1) | instskip(NEXT) | instid1(SALU_CYCLE_1)
	s_mul_i32 s5, s5, s82
	s_sub_i32 s4, s4, s5
	s_ashr_i32 s5, s3, 31
	s_sub_i32 s6, s4, s82
	s_cmp_ge_u32 s4, s82
	s_cselect_b32 s4, s6, s4
	s_delay_alu instid0(SALU_CYCLE_1) | instskip(SKIP_2) | instid1(SALU_CYCLE_1)
	s_sub_i32 s6, s4, s82
	s_cmp_ge_u32 s4, s82
	s_cselect_b32 s4, s6, s4
	s_xor_b32 s4, s4, s5
	s_delay_alu instid0(SALU_CYCLE_1) | instskip(NEXT) | instid1(SALU_CYCLE_1)
	s_sub_i32 s4, s5, s4
	s_add_i32 s58, s3, s4
	s_delay_alu instid0(SALU_CYCLE_1) | instskip(NEXT) | instid1(SALU_CYCLE_1)
	s_sub_i32 s4, s62, s58
	s_min_i32 s101, s81, s4
	s_cmp_gt_i32 s62, s58
	s_cselect_b32 s3, -1, 0
	s_cmp_le_i32 s81, s4
	s_cselect_b32 s4, -1, 0
	s_delay_alu instid0(SALU_CYCLE_1) | instskip(NEXT) | instid1(SALU_CYCLE_1)
	s_and_b32 s4, s4, s3
	s_and_b32 vcc_lo, exec_lo, s4
	s_cbranch_vccz .LBB25_526
; %bb.525:                              ;   in Loop: Header=BB25_10 Depth=1
	scratch_load_b32 v72, off, off offset:236 ; 4-byte Folded Reload
	s_branch .LBB25_10
.LBB25_526:
	s_clause 0xa
	scratch_load_b32 v96, off, off offset:176
	scratch_load_b32 v70, off, off offset:476
	;; [unrolled: 1-line block ×11, first 2 shown]
	v_readlane_b32 s36, v255, 4
	v_readlane_b32 s37, v255, 3
	;; [unrolled: 1-line block ×5, first 2 shown]
	s_and_not1_b32 vcc_lo, exec_lo, s3
	s_cbranch_vccnz .LBB25_8
.LBB25_527:
	v_readlane_b32 s6, v255, 2
	s_abs_i32 s3, s58
	v_readlane_b32 s9, v255, 1
	v_readlane_b32 s11, v255, 0
	s_delay_alu instid0(VALU_DEP_3) | instskip(NEXT) | instid1(SALU_CYCLE_1)
	s_abs_i32 s0, s6
	v_cvt_f32_u32_e32 v0, s0
	s_sub_i32 s2, 0, s0
	s_delay_alu instid0(VALU_DEP_1) | instskip(SKIP_2) | instid1(VALU_DEP_1)
	v_rcp_iflag_f32_e32 v0, v0
	s_waitcnt_depctr 0xfff
	v_mul_f32_e32 v0, 0x4f7ffffe, v0
	v_cvt_u32_f32_e32 v0, v0
	s_delay_alu instid0(VALU_DEP_1) | instskip(NEXT) | instid1(VALU_DEP_1)
	v_readfirstlane_b32 s1, v0
	s_mul_i32 s2, s2, s1
	s_delay_alu instid0(SALU_CYCLE_1) | instskip(NEXT) | instid1(SALU_CYCLE_1)
	s_mul_hi_u32 s2, s1, s2
	s_add_i32 s1, s1, s2
	s_xor_b32 s2, s58, s6
	s_mul_hi_u32 s1, s3, s1
	s_ashr_i32 s2, s2, 31
	s_mul_i32 s4, s1, s0
	s_delay_alu instid0(SALU_CYCLE_1)
	s_sub_i32 s3, s3, s4
	s_add_i32 s4, s1, 1
	s_sub_i32 s5, s3, s0
	s_cmp_ge_u32 s3, s0
	s_cselect_b32 s1, s4, s1
	s_cselect_b32 s3, s5, s3
	s_add_i32 s4, s1, 1
	s_cmp_ge_u32 s3, s0
	s_cselect_b32 s0, s4, s1
	s_abs_i32 s1, s9
	s_xor_b32 s0, s0, s2
	v_cvt_f32_u32_e32 v0, s1
	s_sub_i32 s2, s0, s2
	s_sub_i32 s0, 0, s1
	s_mul_i32 s4, s2, s6
	s_delay_alu instid0(VALU_DEP_1) | instskip(SKIP_1) | instid1(SALU_CYCLE_1)
	v_rcp_iflag_f32_e32 v0, v0
	s_sub_i32 s4, s58, s4
	s_abs_i32 s5, s4
	s_waitcnt_depctr 0xfff
	v_mul_f32_e32 v0, 0x4f7ffffe, v0
	s_delay_alu instid0(VALU_DEP_1) | instskip(NEXT) | instid1(VALU_DEP_1)
	v_cvt_u32_f32_e32 v0, v0
	v_readfirstlane_b32 s3, v0
	s_delay_alu instid0(VALU_DEP_1) | instskip(NEXT) | instid1(SALU_CYCLE_1)
	s_mul_i32 s0, s0, s3
	s_mul_hi_u32 s0, s3, s0
	s_delay_alu instid0(SALU_CYCLE_1) | instskip(NEXT) | instid1(SALU_CYCLE_1)
	s_add_i32 s3, s3, s0
	s_mul_hi_u32 s0, s5, s3
	s_xor_b32 s3, s4, s9
	s_mul_i32 s6, s0, s1
	s_ashr_i32 s3, s3, 31
	s_sub_i32 s5, s5, s6
	s_add_i32 s6, s0, 1
	s_sub_i32 s7, s5, s1
	s_cmp_ge_u32 s5, s1
	s_cselect_b32 s0, s6, s0
	s_cselect_b32 s5, s7, s5
	s_add_i32 s6, s0, 1
	s_cmp_ge_u32 s5, s1
	s_cselect_b32 s0, s6, s0
	s_abs_i32 s1, s11
	s_xor_b32 s0, s0, s3
	v_cvt_f32_u32_e32 v0, s1
	s_sub_i32 s3, s0, s3
	s_sub_i32 s0, 0, s1
	s_mul_i32 s6, s3, s9
	s_delay_alu instid0(VALU_DEP_1) | instskip(SKIP_1) | instid1(SALU_CYCLE_1)
	v_rcp_iflag_f32_e32 v0, v0
	s_sub_i32 s4, s4, s6
	s_abs_i32 s6, s4
	s_waitcnt_depctr 0xfff
	v_mul_f32_e32 v0, 0x4f7ffffe, v0
	s_delay_alu instid0(VALU_DEP_1) | instskip(NEXT) | instid1(VALU_DEP_1)
	v_cvt_u32_f32_e32 v0, v0
	v_readfirstlane_b32 s5, v0
	s_delay_alu instid0(VALU_DEP_1) | instskip(NEXT) | instid1(SALU_CYCLE_1)
	s_mul_i32 s0, s0, s5
	s_mul_hi_u32 s0, s5, s0
	s_delay_alu instid0(SALU_CYCLE_1) | instskip(NEXT) | instid1(SALU_CYCLE_1)
	s_add_i32 s5, s5, s0
	s_mul_hi_u32 s0, s6, s5
	s_xor_b32 s5, s4, s11
	s_mul_i32 s7, s0, s1
	s_ashr_i32 s5, s5, 31
	s_sub_i32 s6, s6, s7
	s_add_i32 s7, s0, 1
	s_sub_i32 s9, s6, s1
	s_cmp_ge_u32 s6, s1
	s_cselect_b32 s0, s7, s0
	s_cselect_b32 s6, s9, s6
	s_add_i32 s7, s0, 1
	s_cmp_ge_u32 s6, s1
	s_cselect_b32 s0, s7, s0
	s_delay_alu instid0(SALU_CYCLE_1) | instskip(NEXT) | instid1(SALU_CYCLE_1)
	s_xor_b32 s0, s0, s5
	s_sub_i32 s0, s0, s5
	s_delay_alu instid0(SALU_CYCLE_1) | instskip(NEXT) | instid1(SALU_CYCLE_1)
	s_mul_i32 s1, s0, s11
	s_sub_i32 s1, s4, s1
	s_delay_alu instid0(SALU_CYCLE_1) | instskip(SKIP_4) | instid1(SALU_CYCLE_1)
	s_abs_i32 s4, s1
	s_ashr_i32 s1, s1, 31
	s_mul_hi_u32 s5, s4, s84
	s_xor_b32 s1, s1, s83
	s_mul_i32 s6, s5, s82
	s_sub_i32 s4, s4, s6
	s_add_i32 s6, s5, 1
	s_sub_i32 s7, s4, s82
	s_cmp_ge_u32 s4, s82
	s_cselect_b32 s5, s6, s5
	s_cselect_b32 s4, s7, s4
	s_add_i32 s6, s5, 1
	s_cmp_ge_u32 s4, s82
	s_cselect_b32 s5, s6, s5
	s_abs_i32 s4, s14
	s_xor_b32 s5, s5, s1
	v_cvt_f32_u32_e32 v0, s4
	s_sub_i32 s1, s5, s1
	s_cmp_eq_u64 s[26:27], 0
	s_delay_alu instid0(VALU_DEP_1) | instskip(SKIP_2) | instid1(VALU_DEP_1)
	v_rcp_iflag_f32_e32 v0, v0
	s_waitcnt_depctr 0xfff
	v_mul_f32_e32 v0, 0x4f7ffffe, v0
	v_cvt_u32_f32_e32 v0, v0
	s_delay_alu instid0(VALU_DEP_1)
	v_readfirstlane_b32 s7, v0
	v_mov_b32_e32 v0, s101
	s_cbranch_scc1 .LBB25_529
; %bb.528:
	s_mul_i32 s5, s2, s77
	v_mov_b32_e32 v0, 0
	s_add_i32 s14, s1, s5
	s_delay_alu instid0(SALU_CYCLE_1) | instskip(NEXT) | instid1(SALU_CYCLE_1)
	s_ashr_i32 s15, s14, 31
	s_lshl_b64 s[14:15], s[14:15], 2
	s_delay_alu instid0(SALU_CYCLE_1) | instskip(SKIP_4) | instid1(VALU_DEP_1)
	s_add_u32 s14, s26, s14
	s_addc_u32 s15, s27, s15
	global_load_b32 v0, v0, s[14:15]
	s_waitcnt vmcnt(0)
	v_ashrrev_i32_e32 v1, 31, v0
	v_lshrrev_b32_e32 v1, 26, v1
	s_delay_alu instid0(VALU_DEP_1) | instskip(NEXT) | instid1(VALU_DEP_1)
	v_add_nc_u32_e32 v0, v0, v1
	v_ashrrev_i32_e32 v0, 6, v0
	s_delay_alu instid0(VALU_DEP_1)
	v_min_i32_e32 v0, s101, v0
.LBB25_529:
	scratch_load_b32 v1, off, off offset:184 ; 4-byte Folded Reload
	s_mul_i32 s5, s3, s76
	s_lshl_b32 s0, s0, 2
	s_mul_i32 s6, s2, s57
	s_add_i32 s5, s0, s5
	s_ashr_i32 s9, s6, 31
	s_mul_i32 s5, s5, s56
	s_add_u32 s6, s16, s6
	s_addc_u32 s9, s17, s9
	s_ashr_i32 s11, s5, 31
	s_add_u32 s5, s6, s5
	s_addc_u32 s6, s9, s11
	s_lshl_b32 s1, s1, 3
	s_waitcnt vmcnt(7)
	v_or_b32_e32 v2, s0, v72
	s_delay_alu instid0(VALU_DEP_1) | instskip(SKIP_3) | instid1(VALU_DEP_1)
	v_cmp_gt_i32_e32 vcc_lo, s76, v2
	s_xor_b32 s9, vcc_lo, -1
	s_waitcnt vmcnt(0)
	v_add_nc_u32_e32 v1, s1, v1
	v_cmp_le_i32_e64 s0, s8, v1
	s_delay_alu instid0(VALU_DEP_1) | instskip(NEXT) | instid1(SALU_CYCLE_1)
	s_or_b32 s0, s0, s9
	s_and_saveexec_b32 s11, s0
	s_delay_alu instid0(SALU_CYCLE_1)
	s_xor_b32 s0, exec_lo, s11
	s_cbranch_execz .LBB25_531
; %bb.530:
	v_mad_u32_u24 v1, 0x44, v96, v209
	v_mov_b32_e32 v2, 0
	s_delay_alu instid0(VALU_DEP_2)
	v_lshl_add_u32 v1, v1, 2, 0
	ds_store_2addr_b32 v1, v2, v2 offset1:32
                                        ; implicit-def: $vgpr1
.LBB25_531:
	s_and_not1_saveexec_b32 s0, s0
	s_cbranch_execz .LBB25_533
; %bb.532:
	v_mul_lo_u32 v1, v1, s59
	v_mul_lo_u32 v2, v72, s42
	v_mad_u32_u24 v5, 0x44, v96, v209
	s_delay_alu instid0(VALU_DEP_2) | instskip(NEXT) | instid1(VALU_DEP_1)
	v_add3_u32 v1, v1, v2, v209
	v_ashrrev_i32_e32 v2, 31, v1
	s_delay_alu instid0(VALU_DEP_1) | instskip(NEXT) | instid1(VALU_DEP_1)
	v_lshlrev_b64 v[1:2], 3, v[1:2]
	v_add_co_u32 v1, vcc_lo, s5, v1
	s_delay_alu instid0(VALU_DEP_2)
	v_add_co_ci_u32_e32 v2, vcc_lo, s6, v2, vcc_lo
	s_clause 0x1
	global_load_b64 v[3:4], v[1:2], off
	global_load_b64 v[1:2], v[1:2], off offset:256
	s_waitcnt vmcnt(1)
	v_cvt_f16_f32_e32 v3, v3
	v_cvt_f16_f32_e32 v4, v4
	s_waitcnt vmcnt(0)
	v_cvt_f16_f32_e32 v1, v1
	v_cvt_f16_f32_e32 v2, v2
	s_delay_alu instid0(VALU_DEP_3)
	v_pack_b32_f16 v3, v3, v4
	scratch_load_b32 v4, off, off offset:156 ; 4-byte Folded Reload
	v_pack_b32_f16 v1, v1, v2
	v_lshl_add_u32 v2, v5, 2, 0
	s_waitcnt vmcnt(0)
	v_pk_mul_f16 v3, v4, v3
	s_delay_alu instid0(VALU_DEP_3)
	v_pk_mul_f16 v1, v4, v1
	ds_store_2addr_b32 v2, v3, v1 offset1:32
.LBB25_533:
	s_or_b32 exec_lo, exec_lo, s0
	v_lshrrev_b32_e32 v1, 2, v97
	s_delay_alu instid0(VALU_DEP_1) | instskip(NEXT) | instid1(VALU_DEP_1)
	v_add_nc_u32_e32 v1, s1, v1
	v_cmp_le_i32_e32 vcc_lo, s8, v1
	s_or_b32 s0, vcc_lo, s9
	s_delay_alu instid0(SALU_CYCLE_1) | instskip(NEXT) | instid1(SALU_CYCLE_1)
	s_and_saveexec_b32 s11, s0
	s_xor_b32 s0, exec_lo, s11
	s_cbranch_execz .LBB25_535
; %bb.534:
	v_mad_u32_u24 v1, 0x44, v97, v209
	v_mov_b32_e32 v2, 0
	s_delay_alu instid0(VALU_DEP_2)
	v_lshl_add_u32 v1, v1, 2, 0
	ds_store_2addr_b32 v1, v2, v2 offset1:32
                                        ; implicit-def: $vgpr1
.LBB25_535:
	s_and_not1_saveexec_b32 s0, s0
	s_cbranch_execz .LBB25_537
; %bb.536:
	v_mul_lo_u32 v1, v1, s59
	v_mul_lo_u32 v2, v72, s42
	v_mad_u32_u24 v5, 0x44, v97, v209
	s_delay_alu instid0(VALU_DEP_2) | instskip(NEXT) | instid1(VALU_DEP_1)
	v_add3_u32 v1, v1, v2, v209
	v_ashrrev_i32_e32 v2, 31, v1
	s_delay_alu instid0(VALU_DEP_1) | instskip(NEXT) | instid1(VALU_DEP_1)
	v_lshlrev_b64 v[1:2], 3, v[1:2]
	v_add_co_u32 v1, vcc_lo, s5, v1
	s_delay_alu instid0(VALU_DEP_2)
	v_add_co_ci_u32_e32 v2, vcc_lo, s6, v2, vcc_lo
	s_clause 0x1
	global_load_b64 v[3:4], v[1:2], off
	global_load_b64 v[1:2], v[1:2], off offset:256
	s_waitcnt vmcnt(1)
	v_cvt_f16_f32_e32 v3, v3
	v_cvt_f16_f32_e32 v4, v4
	s_waitcnt vmcnt(0)
	v_cvt_f16_f32_e32 v1, v1
	v_cvt_f16_f32_e32 v2, v2
	s_delay_alu instid0(VALU_DEP_3)
	v_pack_b32_f16 v3, v3, v4
	scratch_load_b32 v4, off, off offset:156 ; 4-byte Folded Reload
	v_pack_b32_f16 v1, v1, v2
	v_lshl_add_u32 v2, v5, 2, 0
	s_waitcnt vmcnt(0)
	v_pk_mul_f16 v3, v4, v3
	s_delay_alu instid0(VALU_DEP_3)
	v_pk_mul_f16 v1, v4, v1
	ds_store_2addr_b32 v2, v3, v1 offset1:32
.LBB25_537:
	s_or_b32 exec_lo, exec_lo, s0
	v_lshrrev_b32_e32 v1, 2, v78
	s_delay_alu instid0(VALU_DEP_1) | instskip(NEXT) | instid1(VALU_DEP_1)
	v_add_nc_u32_e32 v1, s1, v1
	v_cmp_le_i32_e32 vcc_lo, s8, v1
	s_or_b32 s0, vcc_lo, s9
	s_delay_alu instid0(SALU_CYCLE_1) | instskip(NEXT) | instid1(SALU_CYCLE_1)
	s_and_saveexec_b32 s11, s0
	s_xor_b32 s0, exec_lo, s11
	s_cbranch_execz .LBB25_539
; %bb.538:
	v_mad_u32_u24 v1, 0x44, v78, v209
	v_mov_b32_e32 v2, 0
                                        ; implicit-def: $vgpr78
	s_delay_alu instid0(VALU_DEP_2)
	v_lshl_add_u32 v1, v1, 2, 0
	ds_store_2addr_b32 v1, v2, v2 offset1:32
                                        ; implicit-def: $vgpr1
.LBB25_539:
	s_and_not1_saveexec_b32 s0, s0
	s_cbranch_execz .LBB25_541
; %bb.540:
	v_mul_lo_u32 v1, v1, s59
	v_mul_lo_u32 v2, v72, s42
	v_mad_u32_u24 v5, 0x44, v78, v209
	s_delay_alu instid0(VALU_DEP_2) | instskip(NEXT) | instid1(VALU_DEP_1)
	v_add3_u32 v1, v1, v2, v209
	v_ashrrev_i32_e32 v2, 31, v1
	s_delay_alu instid0(VALU_DEP_1) | instskip(NEXT) | instid1(VALU_DEP_1)
	v_lshlrev_b64 v[1:2], 3, v[1:2]
	v_add_co_u32 v1, vcc_lo, s5, v1
	s_delay_alu instid0(VALU_DEP_2)
	v_add_co_ci_u32_e32 v2, vcc_lo, s6, v2, vcc_lo
	s_clause 0x1
	global_load_b64 v[3:4], v[1:2], off
	global_load_b64 v[1:2], v[1:2], off offset:256
	s_waitcnt vmcnt(1)
	v_cvt_f16_f32_e32 v3, v3
	v_cvt_f16_f32_e32 v4, v4
	s_waitcnt vmcnt(0)
	v_cvt_f16_f32_e32 v1, v1
	v_cvt_f16_f32_e32 v2, v2
	s_delay_alu instid0(VALU_DEP_3)
	v_pack_b32_f16 v3, v3, v4
	scratch_load_b32 v4, off, off offset:156 ; 4-byte Folded Reload
	v_pack_b32_f16 v1, v1, v2
	v_lshl_add_u32 v2, v5, 2, 0
	s_waitcnt vmcnt(0)
	v_pk_mul_f16 v3, v4, v3
	s_delay_alu instid0(VALU_DEP_3)
	v_pk_mul_f16 v1, v4, v1
	ds_store_2addr_b32 v2, v3, v1 offset1:32
.LBB25_541:
	s_or_b32 exec_lo, exec_lo, s0
	v_lshrrev_b32_e32 v1, 2, v77
	s_delay_alu instid0(VALU_DEP_1) | instskip(NEXT) | instid1(VALU_DEP_1)
	v_add_nc_u32_e32 v1, s1, v1
	v_cmp_le_i32_e32 vcc_lo, s8, v1
	s_or_b32 s0, vcc_lo, s9
	s_delay_alu instid0(SALU_CYCLE_1) | instskip(NEXT) | instid1(SALU_CYCLE_1)
	s_and_saveexec_b32 s11, s0
	s_xor_b32 s0, exec_lo, s11
	s_cbranch_execz .LBB25_543
; %bb.542:
	v_mad_u32_u24 v1, 0x44, v77, v209
	v_mov_b32_e32 v2, 0
                                        ; implicit-def: $vgpr77
	s_delay_alu instid0(VALU_DEP_2)
	v_lshl_add_u32 v1, v1, 2, 0
	ds_store_2addr_b32 v1, v2, v2 offset1:32
                                        ; implicit-def: $vgpr1
.LBB25_543:
	s_and_not1_saveexec_b32 s0, s0
	s_cbranch_execz .LBB25_545
; %bb.544:
	v_mul_lo_u32 v1, v1, s59
	v_mul_lo_u32 v2, v72, s42
	v_mad_u32_u24 v5, 0x44, v77, v209
	s_delay_alu instid0(VALU_DEP_2) | instskip(NEXT) | instid1(VALU_DEP_1)
	v_add3_u32 v1, v1, v2, v209
	v_ashrrev_i32_e32 v2, 31, v1
	s_delay_alu instid0(VALU_DEP_1) | instskip(NEXT) | instid1(VALU_DEP_1)
	v_lshlrev_b64 v[1:2], 3, v[1:2]
	v_add_co_u32 v1, vcc_lo, s5, v1
	s_delay_alu instid0(VALU_DEP_2)
	v_add_co_ci_u32_e32 v2, vcc_lo, s6, v2, vcc_lo
	s_clause 0x1
	global_load_b64 v[3:4], v[1:2], off
	global_load_b64 v[1:2], v[1:2], off offset:256
	s_waitcnt vmcnt(1)
	v_cvt_f16_f32_e32 v3, v3
	v_cvt_f16_f32_e32 v4, v4
	s_waitcnt vmcnt(0)
	v_cvt_f16_f32_e32 v1, v1
	v_cvt_f16_f32_e32 v2, v2
	s_delay_alu instid0(VALU_DEP_3)
	v_pack_b32_f16 v3, v3, v4
	scratch_load_b32 v4, off, off offset:156 ; 4-byte Folded Reload
	v_pack_b32_f16 v1, v1, v2
	v_lshl_add_u32 v2, v5, 2, 0
	s_waitcnt vmcnt(0)
	v_pk_mul_f16 v3, v4, v3
	s_delay_alu instid0(VALU_DEP_3)
	v_pk_mul_f16 v1, v4, v1
	ds_store_2addr_b32 v2, v3, v1 offset1:32
.LBB25_545:
	s_or_b32 exec_lo, exec_lo, s0
	v_lshrrev_b32_e32 v1, 2, v76
	s_delay_alu instid0(VALU_DEP_1) | instskip(NEXT) | instid1(VALU_DEP_1)
	v_add_nc_u32_e32 v1, s1, v1
	v_cmp_le_i32_e32 vcc_lo, s8, v1
	s_or_b32 s0, vcc_lo, s9
	s_delay_alu instid0(SALU_CYCLE_1) | instskip(NEXT) | instid1(SALU_CYCLE_1)
	s_and_saveexec_b32 s11, s0
	s_xor_b32 s0, exec_lo, s11
	s_cbranch_execz .LBB25_547
; %bb.546:
	v_mad_u32_u24 v1, 0x44, v76, v209
	v_mov_b32_e32 v2, 0
                                        ; implicit-def: $vgpr76
	s_delay_alu instid0(VALU_DEP_2)
	v_lshl_add_u32 v1, v1, 2, 0
	ds_store_2addr_b32 v1, v2, v2 offset1:32
                                        ; implicit-def: $vgpr1
.LBB25_547:
	s_and_not1_saveexec_b32 s0, s0
	s_cbranch_execz .LBB25_549
; %bb.548:
	v_mul_lo_u32 v1, v1, s59
	v_mul_lo_u32 v2, v72, s42
	v_mad_u32_u24 v5, 0x44, v76, v209
	s_delay_alu instid0(VALU_DEP_2) | instskip(NEXT) | instid1(VALU_DEP_1)
	v_add3_u32 v1, v1, v2, v209
	v_ashrrev_i32_e32 v2, 31, v1
	s_delay_alu instid0(VALU_DEP_1) | instskip(NEXT) | instid1(VALU_DEP_1)
	v_lshlrev_b64 v[1:2], 3, v[1:2]
	v_add_co_u32 v1, vcc_lo, s5, v1
	s_delay_alu instid0(VALU_DEP_2)
	v_add_co_ci_u32_e32 v2, vcc_lo, s6, v2, vcc_lo
	s_clause 0x1
	global_load_b64 v[3:4], v[1:2], off
	global_load_b64 v[1:2], v[1:2], off offset:256
	s_waitcnt vmcnt(1)
	v_cvt_f16_f32_e32 v3, v3
	v_cvt_f16_f32_e32 v4, v4
	s_waitcnt vmcnt(0)
	v_cvt_f16_f32_e32 v1, v1
	v_cvt_f16_f32_e32 v2, v2
	s_delay_alu instid0(VALU_DEP_3)
	v_pack_b32_f16 v3, v3, v4
	scratch_load_b32 v4, off, off offset:156 ; 4-byte Folded Reload
	v_pack_b32_f16 v1, v1, v2
	v_lshl_add_u32 v2, v5, 2, 0
	s_waitcnt vmcnt(0)
	v_pk_mul_f16 v3, v4, v3
	s_delay_alu instid0(VALU_DEP_3)
	v_pk_mul_f16 v1, v4, v1
	ds_store_2addr_b32 v2, v3, v1 offset1:32
.LBB25_549:
	s_or_b32 exec_lo, exec_lo, s0
	v_lshrrev_b32_e32 v1, 2, v75
	s_sub_i32 s11, 0, s4
	s_delay_alu instid0(VALU_DEP_1) | instskip(NEXT) | instid1(VALU_DEP_1)
	v_add_nc_u32_e32 v1, s1, v1
	v_cmp_le_i32_e32 vcc_lo, s8, v1
	s_or_b32 s0, vcc_lo, s9
	s_delay_alu instid0(SALU_CYCLE_1) | instskip(NEXT) | instid1(SALU_CYCLE_1)
	s_and_saveexec_b32 s13, s0
	s_xor_b32 s0, exec_lo, s13
	s_cbranch_execz .LBB25_551
; %bb.550:
	v_mad_u32_u24 v1, 0x44, v75, v209
	v_mov_b32_e32 v2, 0
                                        ; implicit-def: $vgpr75
	s_delay_alu instid0(VALU_DEP_2)
	v_lshl_add_u32 v1, v1, 2, 0
	ds_store_2addr_b32 v1, v2, v2 offset1:32
                                        ; implicit-def: $vgpr1
.LBB25_551:
	s_or_saveexec_b32 s0, s0
	s_mul_i32 s11, s11, s7
	s_xor_b32 exec_lo, exec_lo, s0
	s_cbranch_execz .LBB25_553
; %bb.552:
	v_mul_lo_u32 v1, v1, s59
	v_mul_lo_u32 v2, v72, s42
	v_mad_u32_u24 v5, 0x44, v75, v209
	s_delay_alu instid0(VALU_DEP_2) | instskip(NEXT) | instid1(VALU_DEP_1)
	v_add3_u32 v1, v1, v2, v209
	v_ashrrev_i32_e32 v2, 31, v1
	s_delay_alu instid0(VALU_DEP_1) | instskip(NEXT) | instid1(VALU_DEP_1)
	v_lshlrev_b64 v[1:2], 3, v[1:2]
	v_add_co_u32 v1, vcc_lo, s5, v1
	s_delay_alu instid0(VALU_DEP_2)
	v_add_co_ci_u32_e32 v2, vcc_lo, s6, v2, vcc_lo
	s_clause 0x1
	global_load_b64 v[3:4], v[1:2], off
	global_load_b64 v[1:2], v[1:2], off offset:256
	s_waitcnt vmcnt(1)
	v_cvt_f16_f32_e32 v3, v3
	v_cvt_f16_f32_e32 v4, v4
	s_waitcnt vmcnt(0)
	v_cvt_f16_f32_e32 v1, v1
	v_cvt_f16_f32_e32 v2, v2
	s_delay_alu instid0(VALU_DEP_3)
	v_pack_b32_f16 v3, v3, v4
	scratch_load_b32 v4, off, off offset:156 ; 4-byte Folded Reload
	v_pack_b32_f16 v1, v1, v2
	v_lshl_add_u32 v2, v5, 2, 0
	s_waitcnt vmcnt(0)
	v_pk_mul_f16 v3, v4, v3
	s_delay_alu instid0(VALU_DEP_3)
	v_pk_mul_f16 v1, v4, v1
	ds_store_2addr_b32 v2, v3, v1 offset1:32
.LBB25_553:
	s_or_b32 exec_lo, exec_lo, s0
	v_lshrrev_b32_e32 v1, 2, v74
	s_mul_hi_u32 s13, s7, s11
	s_delay_alu instid0(VALU_DEP_1) | instskip(NEXT) | instid1(VALU_DEP_1)
	v_add_nc_u32_e32 v1, s1, v1
	v_cmp_le_i32_e32 vcc_lo, s8, v1
	s_or_b32 s0, vcc_lo, s9
	s_delay_alu instid0(SALU_CYCLE_1) | instskip(NEXT) | instid1(SALU_CYCLE_1)
	s_and_saveexec_b32 s11, s0
	s_xor_b32 s0, exec_lo, s11
	s_cbranch_execz .LBB25_555
; %bb.554:
	v_mad_u32_u24 v1, 0x44, v74, v209
	v_mov_b32_e32 v2, 0
                                        ; implicit-def: $vgpr74
	s_delay_alu instid0(VALU_DEP_2)
	v_lshl_add_u32 v1, v1, 2, 0
	ds_store_2addr_b32 v1, v2, v2 offset1:32
                                        ; implicit-def: $vgpr1
.LBB25_555:
	s_or_saveexec_b32 s0, s0
	s_abs_i32 s11, s2
	s_add_i32 s7, s7, s13
	s_xor_b32 exec_lo, exec_lo, s0
	s_cbranch_execz .LBB25_557
; %bb.556:
	v_mul_lo_u32 v1, v1, s59
	v_mul_lo_u32 v2, v72, s42
	v_mad_u32_u24 v5, 0x44, v74, v209
	s_delay_alu instid0(VALU_DEP_2) | instskip(NEXT) | instid1(VALU_DEP_1)
	v_add3_u32 v1, v1, v2, v209
	v_ashrrev_i32_e32 v2, 31, v1
	s_delay_alu instid0(VALU_DEP_1) | instskip(NEXT) | instid1(VALU_DEP_1)
	v_lshlrev_b64 v[1:2], 3, v[1:2]
	v_add_co_u32 v1, vcc_lo, s5, v1
	s_delay_alu instid0(VALU_DEP_2)
	v_add_co_ci_u32_e32 v2, vcc_lo, s6, v2, vcc_lo
	s_clause 0x1
	global_load_b64 v[3:4], v[1:2], off
	global_load_b64 v[1:2], v[1:2], off offset:256
	s_waitcnt vmcnt(1)
	v_cvt_f16_f32_e32 v3, v3
	v_cvt_f16_f32_e32 v4, v4
	s_waitcnt vmcnt(0)
	v_cvt_f16_f32_e32 v1, v1
	v_cvt_f16_f32_e32 v2, v2
	s_delay_alu instid0(VALU_DEP_3)
	v_pack_b32_f16 v3, v3, v4
	scratch_load_b32 v4, off, off offset:156 ; 4-byte Folded Reload
	v_pack_b32_f16 v1, v1, v2
	v_lshl_add_u32 v2, v5, 2, 0
	s_waitcnt vmcnt(0)
	v_pk_mul_f16 v3, v4, v3
	s_delay_alu instid0(VALU_DEP_3)
	v_pk_mul_f16 v1, v4, v1
	ds_store_2addr_b32 v2, v3, v1 offset1:32
.LBB25_557:
	s_or_b32 exec_lo, exec_lo, s0
	v_lshrrev_b32_e32 v1, 2, v73
	s_mul_hi_u32 s7, s11, s7
	s_delay_alu instid0(VALU_DEP_1) | instskip(NEXT) | instid1(VALU_DEP_1)
	v_add_nc_u32_e32 v1, s1, v1
	v_cmp_le_i32_e32 vcc_lo, s8, v1
	s_or_b32 s0, vcc_lo, s9
	s_delay_alu instid0(SALU_CYCLE_1) | instskip(NEXT) | instid1(SALU_CYCLE_1)
	s_and_saveexec_b32 s9, s0
	s_xor_b32 s0, exec_lo, s9
	s_cbranch_execz .LBB25_559
; %bb.558:
	v_mad_u32_u24 v1, 0x44, v73, v209
	v_mov_b32_e32 v2, 0
                                        ; implicit-def: $vgpr72
                                        ; implicit-def: $vgpr73
	s_delay_alu instid0(VALU_DEP_2)
	v_lshl_add_u32 v1, v1, 2, 0
	ds_store_2addr_b32 v1, v2, v2 offset1:32
                                        ; implicit-def: $vgpr1
                                        ; implicit-def: $vgpr2
                                        ; kill: killed $vgpr2
.LBB25_559:
	s_or_saveexec_b32 s9, s0
	s_ashr_i32 s0, s2, 31
	s_xor_b32 exec_lo, exec_lo, s9
	s_cbranch_execz .LBB25_561
; %bb.560:
	v_mul_lo_u32 v1, v1, s59
	v_mul_lo_u32 v2, v72, s42
	v_mad_u32_u24 v5, 0x44, v73, v209
	s_delay_alu instid0(VALU_DEP_2) | instskip(NEXT) | instid1(VALU_DEP_1)
	v_add3_u32 v1, v1, v2, v209
	v_ashrrev_i32_e32 v2, 31, v1
	s_delay_alu instid0(VALU_DEP_1) | instskip(NEXT) | instid1(VALU_DEP_1)
	v_lshlrev_b64 v[1:2], 3, v[1:2]
	v_add_co_u32 v1, vcc_lo, s5, v1
	s_delay_alu instid0(VALU_DEP_2)
	v_add_co_ci_u32_e32 v2, vcc_lo, s6, v2, vcc_lo
	s_clause 0x1
	global_load_b64 v[3:4], v[1:2], off
	global_load_b64 v[1:2], v[1:2], off offset:256
	s_waitcnt vmcnt(1)
	v_cvt_f16_f32_e32 v3, v3
	v_cvt_f16_f32_e32 v4, v4
	s_waitcnt vmcnt(0)
	v_cvt_f16_f32_e32 v1, v1
	v_cvt_f16_f32_e32 v2, v2
	s_delay_alu instid0(VALU_DEP_3)
	v_pack_b32_f16 v3, v3, v4
	scratch_load_b32 v4, off, off offset:156 ; 4-byte Folded Reload
	v_pack_b32_f16 v1, v1, v2
	v_lshl_add_u32 v2, v5, 2, 0
	s_waitcnt vmcnt(0)
	v_pk_mul_f16 v3, v4, v3
	s_delay_alu instid0(VALU_DEP_3)
	v_pk_mul_f16 v1, v4, v1
	ds_store_2addr_b32 v2, v3, v1 offset1:32
.LBB25_561:
	s_or_b32 exec_lo, exec_lo, s9
	v_and_b32_e32 v8, 15, v209
	v_add_nc_u32_e32 v0, -1, v0
	v_and_b32_e32 v1, 0x1ff0, v70
	s_mul_i32 s5, s2, s45
	s_mul_hi_u32 s6, s2, s44
	v_mul_u32_u24_e32 v2, 0x110, v8
	v_mov_b32_e32 v216, v0
	v_mul_u32_u24_e32 v3, 0x110, v1
	s_add_i32 s5, s6, s5
	s_mul_i32 s6, s0, s44
	s_mul_i32 s9, s2, s44
	s_add_i32 s5, s5, s6
	v_add3_u32 v3, 0, v3, v2
	s_add_u32 s6, s18, s9
	s_mul_i32 s9, s3, s91
	s_waitcnt lgkmcnt(0)
	s_waitcnt_vscnt null, 0x0
	s_barrier
	buffer_gl0_inv
	ds_load_b128 v[88:91], v3
	ds_load_b128 v[92:95], v3 offset:16
	ds_load_b128 v[80:83], v3 offset:32
	;; [unrolled: 1-line block ×15, first 2 shown]
	s_addc_u32 s5, s19, s5
	s_ashr_i32 s13, s9, 31
	s_mul_i32 s7, s7, s4
	s_add_u32 s14, s6, s9
	s_addc_u32 s15, s5, s13
	s_sub_i32 s5, s11, s7
	v_cmp_lt_i32_e32 vcc_lo, s102, v0
	s_sub_i32 s6, s5, s4
	s_cmp_ge_u32 s5, s4
	s_mul_i32 s3, s3, s47
	s_cselect_b32 s5, s6, s5
	v_lshlrev_b32_e32 v0, 1, v209
	s_sub_i32 s6, s5, s4
	s_cmp_ge_u32 s5, s4
	s_waitcnt lgkmcnt(0)
	s_cselect_b32 s4, s6, s5
	s_barrier
	s_xor_b32 s4, s4, s0
	buffer_gl0_inv
	s_sub_i32 s4, s4, s0
	s_mul_i32 s0, s0, s50
	s_ashr_i32 s5, s4, 31
	s_mul_i32 s6, s4, s53
	s_mul_hi_u32 s7, s4, s52
	s_mul_i32 s5, s5, s52
	s_add_i32 s6, s7, s6
	s_mul_i32 s4, s4, s52
	s_add_i32 s6, s6, s5
	s_add_u32 s24, s22, s4
	s_mul_i32 s4, s2, s51
	s_mul_hi_u32 s5, s2, s50
	s_addc_u32 s25, s23, s6
	s_add_i32 s4, s5, s4
	s_mul_i32 s2, s2, s50
	s_add_i32 s4, s4, s0
	s_add_u32 s0, s20, s2
	s_addc_u32 s2, s21, s4
	s_ashr_i32 s4, s3, 31
	s_add_u32 s11, s0, s3
	s_addc_u32 s13, s2, s4
	s_mov_b32 s0, 0
	s_mov_b32 s3, -1
	s_cbranch_vccnz .LBB25_565
; %bb.562:
	v_lshrrev_b32_e32 v215, 4, v209
	v_add_nc_u32_e32 v3, s1, v96
	v_mul_u32_u24_e32 v5, 0x90, v96
	v_lshlrev_b32_e32 v7, 2, v209
	v_dual_mov_b32 v177, 0 :: v_dual_add_nc_u32 v4, s1, v97
	v_lshl_add_u32 v225, v96, 1, v215
	s_movk_i32 s2, 0x240
	s_delay_alu instid0(VALU_DEP_3) | instskip(NEXT) | instid1(VALU_DEP_3)
	v_and_b32_e32 v176, 60, v7
	v_mul_hi_u32 v6, s34, v4
	v_mad_u32_u24 v9, 0x90, v96, s2
	v_mul_u32_u24_e32 v7, 0x110, v225
	scratch_store_b32 off, v5, off offset:152 ; 4-byte Folded Spill
	v_mul_hi_u32 v5, s34, v3
	s_movk_i32 s2, 0x1980
	s_movk_i32 s3, 0x880
	scratch_store_b32 off, v7, off offset:156 ; 4-byte Folded Spill
	v_add_nc_u32_e32 v6, v4, v6
	v_add_nc_u32_e32 v7, 8, v225
	v_mul_lo_u32 v178, s12, v225
	s_lshl_b32 s4, s12, 3
	v_add_nc_u32_e32 v5, v3, v5
	v_lshrrev_b32_e32 v6, s35, v6
	s_movk_i32 s5, 0x1100
	s_delay_alu instid0(VALU_DEP_2) | instskip(NEXT) | instid1(VALU_DEP_2)
	v_lshrrev_b32_e32 v5, s35, v5
	v_mul_lo_u32 v6, v6, s8
	v_add_nc_u32_e32 v180, s4, v178
	v_ashrrev_i32_e32 v179, 31, v178
	s_delay_alu instid0(VALU_DEP_4) | instskip(NEXT) | instid1(VALU_DEP_3)
	v_mul_lo_u32 v5, v5, s8
	v_add_nc_u32_e32 v182, s4, v180
	v_ashrrev_i32_e32 v181, 31, v180
	v_sub_nc_u32_e32 v4, v4, v6
	s_delay_alu instid0(VALU_DEP_3) | instskip(SKIP_2) | instid1(VALU_DEP_3)
	v_add_nc_u32_e32 v184, s4, v182
	v_sub_nc_u32_e32 v3, v3, v5
	v_ashrrev_i32_e32 v183, 31, v182
	v_add_nc_u32_e32 v190, s4, v184
	s_delay_alu instid0(VALU_DEP_3)
	v_mad_i64_i32 v[5:6], null, v3, s48, 0
	v_add_nc_u32_e32 v3, 24, v225
	s_clause 0x1
	scratch_store_b32 off, v7, off offset:80
	scratch_store_b32 off, v9, off offset:160
	v_mad_u32_u24 v7, 0x110, v225, s3
	s_movk_i32 s3, 0x2a80
	scratch_store_b32 off, v3, off offset:96 ; 4-byte Folded Spill
	v_mad_u32_u24 v3, 0x110, v225, s2
	s_movk_i32 s2, 0x2200
	v_add_nc_u32_e32 v192, s4, v190
	v_ashrrev_i32_e32 v185, 31, v184
	v_ashrrev_i32_e32 v191, 31, v190
	scratch_store_b32 off, v3, off offset:172 ; 4-byte Folded Spill
	v_add_nc_u32_e32 v3, 32, v225
	scratch_store_b32 off, v7, off offset:164 ; 4-byte Folded Spill
	v_add_nc_u32_e32 v7, 16, v225
	v_add_nc_u32_e32 v194, s4, v192
	v_ashrrev_i32_e32 v193, 31, v192
	scratch_store_b32 off, v3, off offset:104 ; 4-byte Folded Spill
	v_mad_u32_u24 v3, 0x110, v225, s2
	v_add_nc_u32_e32 v196, s4, v194
	v_ashrrev_i32_e32 v195, 31, v194
	scratch_store_b32 off, v3, off offset:184 ; 4-byte Folded Spill
	v_add_nc_u32_e32 v3, 40, v225
	v_ashrrev_i32_e32 v197, 31, v196
	scratch_store_b32 off, v3, off offset:112 ; 4-byte Folded Spill
	v_mad_u32_u24 v3, 0x110, v225, s3
	s_movk_i32 s3, 0x3300
	scratch_store_b32 off, v3, off offset:188 ; 4-byte Folded Spill
	v_lshlrev_b32_e32 v3, 4, v96
	scratch_store_b64 off, v[5:6], off      ; 8-byte Folded Spill
	v_mad_i64_i32 v[5:6], null, v4, s48, 0
	v_add_nc_u32_e32 v4, 48, v225
	s_clause 0x1
	scratch_store_b32 off, v3, off offset:72
	scratch_store_b32 off, v4, off offset:120
	v_mad_u32_u24 v4, 0x110, v225, s3
	s_movk_i32 s3, 0x3b80
	s_clause 0x1
	scratch_store_b64 off, v[5:6], off offset:8
	scratch_store_b32 off, v4, off offset:192
	v_and_b32_e32 v4, 16, v3
	v_add_nc_u32_e32 v3, 56, v225
	scratch_store_b32 off, v7, off offset:88 ; 4-byte Folded Spill
	v_mad_u32_u24 v7, 0x110, v225, s5
	s_ashr_i32 s5, s12, 31
	scratch_store_b32 off, v3, off offset:128 ; 4-byte Folded Spill
	v_mad_u32_u24 v3, 0x110, v225, s3
	scratch_store_b32 off, v7, off offset:168 ; 4-byte Folded Spill
	s_mov_b32 s3, 0
	scratch_store_b32 off, v3, off offset:196 ; 4-byte Folded Spill
	v_mul_u32_u24_e32 v3, 0x110, v4
	scratch_store_b32 off, v3, off offset:200 ; 4-byte Folded Spill
	v_or_b32_e32 v3, 32, v4
	s_clause 0x1
	scratch_store_b32 off, v3, off offset:136
	scratch_store_b32 off, v4, off offset:144
	v_mad_u32_u24 v3, 0x110, v4, s2
	s_mov_b32 s2, 0xfeffffff
	scratch_store_b32 off, v3, off offset:180 ; 4-byte Folded Spill
	s_branch .LBB25_566
.LBB25_563:
                                        ; implicit-def: $sgpr58_sgpr59
	s_load_b64 s[56:57], s[0:1], 0x74
	v_cvt_f32_u32_e32 v2, s37
	s_branch .LBB25_2
.LBB25_564:
                                        ; implicit-def: $sgpr62_sgpr63
	s_load_b64 s[34:35], s[0:1], 0x5c
	s_branch .LBB25_5
.LBB25_565:
                                        ; implicit-def: $vgpr3
                                        ; kill: killed $vgpr3
                                        ; implicit-def: $sgpr0
                                        ; implicit-def: $sgpr2
                                        ; implicit-def: $vgpr215
                                        ; implicit-def: $vgpr225
                                        ; implicit-def: $vgpr176
                                        ; implicit-def: $vgpr178_vgpr179
                                        ; implicit-def: $vgpr180_vgpr181
                                        ; implicit-def: $vgpr182_vgpr183
                                        ; implicit-def: $vgpr184_vgpr185
                                        ; implicit-def: $vgpr190_vgpr191
                                        ; implicit-def: $vgpr192_vgpr193
                                        ; implicit-def: $vgpr194_vgpr195
                                        ; implicit-def: $vgpr196_vgpr197
                                        ; implicit-def: $sgpr4_sgpr5
                                        ; implicit-def: $vgpr3_vgpr4
                                        ; kill: killed $vgpr3_vgpr4
                                        ; implicit-def: $vgpr3
                                        ; kill: killed $vgpr3
                                        ; implicit-def: $vgpr3_vgpr4
                                        ; kill: killed $vgpr3_vgpr4
                                        ; implicit-def: $vgpr3
                                        ; kill: killed $vgpr3
                                        ; implicit-def: $vgpr3
                                        ; kill: killed $vgpr3
	;; [unrolled: 2-line block ×20, first 2 shown]
.LBB25_566:
	v_dual_mov_b32 v227, s2 :: v_dual_lshlrev_b32 v0, 1, v0
	v_dual_mov_b32 v23, s0 :: v_dual_mov_b32 v228, s0
	v_dual_mov_b32 v22, s0 :: v_dual_mov_b32 v31, s0
	scratch_store_b32 off, v0, off offset:56 ; 4-byte Folded Spill
	v_dual_mov_b32 v21, s0 :: v_dual_add_nc_u32 v0, 0, v2
	v_dual_mov_b32 v20, s0 :: v_dual_mov_b32 v29, s0
	s_clause 0x1
	scratch_store_b32 off, v0, off offset:48
	scratch_store_b32 off, v209, off offset:20
	v_and_or_b32 v0, v209, 12, v1
	v_dual_mov_b32 v18, s0 :: v_dual_mov_b32 v27, s0
	v_dual_mov_b32 v16, s0 :: v_dual_mov_b32 v25, s0
	scratch_store_b32 off, v0, off offset:40 ; 4-byte Folded Spill
	scratch_load_b32 v0, off, off offset:476 ; 4-byte Folded Reload
	v_dual_mov_b32 v30, s0 :: v_dual_mov_b32 v15, s0
	v_dual_mov_b32 v28, s0 :: v_dual_mov_b32 v13, s0
	;; [unrolled: 1-line block ×7, first 2 shown]
	v_mov_b32_e32 v6, s0
	v_mov_b32_e32 v4, s0
	;; [unrolled: 1-line block ×3, first 2 shown]
	s_and_not1_b32 vcc_lo, exec_lo, s3
	v_mov_b32_e32 v19, s0
	v_mov_b32_e32 v17, s0
	s_waitcnt vmcnt(0)
	v_dual_mov_b32 v1, s0 :: v_dual_and_b32 v0, 8, v0
	s_clause 0x1
	scratch_store_b32 off, v0, off offset:32
	scratch_store_b32 off, v8, off offset:64
	v_lshlrev_b32_e32 v0, 2, v8
	v_mov_b32_e32 v8, s0
	scratch_store_b32 off, v0, off offset:24 ; 4-byte Folded Spill
	v_mov_b32_e32 v0, s0
	s_cbranch_vccnz .LBB25_634
; %bb.567:
	s_clause 0x1
	scratch_load_b32 v4, off, off offset:56
	scratch_load_b32 v5, off, off offset:176
	v_mbcnt_lo_u32_b32 v9, -1, 0
	v_dual_mov_b32 v228, 0xfeffffff :: v_dual_add_nc_u32 v1, s1, v97
	s_movk_i32 s2, 0x2a80
	s_lshl_b32 s3, s10, 3
	s_mov_b32 s16, 0
	s_delay_alu instid0(VALU_DEP_1)
	v_mul_hi_u32 v3, s34, v1
	s_ashr_i32 s5, s12, 31
	s_lshl_b32 s6, s102, 6
	s_mov_b32 s17, s16
	s_mov_b32 s18, s16
	;; [unrolled: 1-line block ×5, first 2 shown]
	v_add_nc_u32_e32 v3, v1, v3
	s_mov_b32 s22, s16
	s_mov_b32 s23, s16
	v_mov_b32_e32 v177, 0
	s_delay_alu instid0(VALU_DEP_2) | instskip(NEXT) | instid1(VALU_DEP_2)
	v_lshrrev_b32_e32 v3, s35, v3
	v_mov_b32_e32 v24, v177
	v_mov_b32_e32 v26, v177
	s_delay_alu instid0(VALU_DEP_3)
	v_mul_lo_u32 v3, v3, s8
	v_mov_b32_e32 v28, v177
	v_mov_b32_e32 v30, v177
	;; [unrolled: 1-line block ×7, first 2 shown]
	v_sub_nc_u32_e32 v1, v1, v3
	s_waitcnt vmcnt(1)
	v_dual_mov_b32 v29, v177 :: v_dual_add_nc_u32 v16, 0, v4
	v_add_co_u32 v232, s0, s24, v4
	scratch_load_b32 v4, off, off offset:20 ; 4-byte Folded Reload
	s_waitcnt vmcnt(1)
	v_add_nc_u32_e32 v0, s1, v5
	v_add_co_ci_u32_e64 v249, null, s25, 0, s0
	s_movk_i32 s0, 0x240
	v_mul_u32_u24_e32 v21, 0x90, v5
	s_delay_alu instid0(VALU_DEP_3) | instskip(SKIP_3) | instid1(VALU_DEP_2)
	v_mul_hi_u32 v2, s34, v0
	v_mad_u32_u24 v7, 0x90, v5, s0
	s_movk_i32 s0, 0x880
	s_lshl_b32 s1, s12, 3
	v_add_nc_u32_e32 v2, v0, v2
	s_delay_alu instid0(VALU_DEP_1) | instskip(NEXT) | instid1(VALU_DEP_1)
	v_lshrrev_b32_e32 v2, s35, v2
	v_mul_lo_u32 v2, v2, s8
	s_mov_b32 s8, 0xbbbac73d
	s_delay_alu instid0(VALU_DEP_1) | instskip(NEXT) | instid1(VALU_DEP_1)
	v_sub_nc_u32_e32 v0, v0, v2
	v_mad_i64_i32 v[2:3], null, v0, s48, 0
	s_waitcnt vmcnt(0)
	v_lshrrev_b32_e32 v215, 4, v4
	v_lshlrev_b32_e32 v4, 2, v4
	s_delay_alu instid0(VALU_DEP_2) | instskip(SKIP_1) | instid1(VALU_DEP_2)
	v_lshl_add_u32 v225, v5, 1, v215
	v_xor_b32_e32 v222, 1, v215
	v_mul_u32_u24_e32 v6, 0x110, v225
	v_add_nc_u32_e32 v0, 8, v225
	scratch_store_b64 off, v[2:3], off      ; 8-byte Folded Spill
	v_mad_i64_i32 v[2:3], null, v1, s48, 0
	s_clause 0x1
	scratch_store_b32 off, v6, off offset:156
	scratch_store_b32 off, v0, off offset:80
	v_mad_u32_u24 v0, 0x110, v225, s0
	s_movk_i32 s0, 0x1100
	v_mul_lo_u32 v178, s12, v225
	scratch_store_b32 off, v0, off offset:164 ; 4-byte Folded Spill
	v_add_nc_u32_e32 v0, 16, v225
	s_clause 0x1
	scratch_store_b64 off, v[2:3], off offset:8
	scratch_store_b32 off, v7, off offset:160
	v_lshlrev_b32_e32 v3, 4, v5
	v_xor_b32_e32 v7, 16, v9
	scratch_store_b32 off, v0, off offset:88 ; 4-byte Folded Spill
	v_mad_u32_u24 v0, 0x110, v225, s0
	s_movk_i32 s0, 0x1980
	v_and_b32_e32 v10, 16, v3
	scratch_store_b32 off, v3, off offset:72 ; 4-byte Folded Spill
	v_lshlrev_b32_e32 v3, 1, v215
	scratch_store_b32 off, v0, off offset:168 ; 4-byte Folded Spill
	v_add_nc_u32_e32 v0, 24, v225
	v_lshlrev_b32_e32 v5, 1, v10
	v_cmp_gt_i32_e32 vcc_lo, 32, v7
	v_mul_u32_u24_e32 v22, 0x110, v10
	v_add_nc_u32_e32 v180, s1, v178
	scratch_store_b32 off, v0, off offset:96 ; 4-byte Folded Spill
	v_mad_u32_u24 v0, 0x110, v225, s0
	s_movk_i32 s0, 0x2200
	v_ashrrev_i32_e32 v179, 31, v178
	scratch_store_b32 off, v0, off offset:172 ; 4-byte Folded Spill
	v_add_nc_u32_e32 v0, 32, v225
	scratch_store_b32 off, v0, off offset:104 ; 4-byte Folded Spill
	v_mad_u32_u24 v0, 0x110, v225, s0
	scratch_store_b32 off, v0, off offset:184 ; 4-byte Folded Spill
	v_add_nc_u32_e32 v0, 40, v225
	scratch_store_b32 off, v0, off offset:112 ; 4-byte Folded Spill
	v_mad_u32_u24 v0, 0x110, v225, s2
	s_movk_i32 s2, 0x3300
	s_delay_alu instid0(SALU_CYCLE_1)
	v_mad_u32_u24 v1, 0x110, v225, s2
	s_movk_i32 s2, 0x3b80
	scratch_store_b32 off, v0, off offset:188 ; 4-byte Folded Spill
	v_add_nc_u32_e32 v0, 48, v225
	scratch_store_b32 off, v1, off offset:192 ; 4-byte Folded Spill
	v_add_nc_u32_e32 v1, 56, v225
	scratch_store_b32 off, v0, off offset:120 ; 4-byte Folded Spill
	v_mul_lo_u32 v0, s10, v225
	scratch_store_b32 off, v1, off offset:128 ; 4-byte Folded Spill
	v_mad_u32_u24 v1, 0x110, v225, s2
	scratch_store_b32 off, v1, off offset:196 ; 4-byte Folded Spill
	scratch_load_b32 v1, off, off offset:40 ; 4-byte Folded Reload
	v_add_nc_u32_e32 v2, s3, v0
	s_waitcnt vmcnt(0)
	v_lshrrev_b32_e32 v1, 2, v1
	s_delay_alu instid0(VALU_DEP_1) | instskip(NEXT) | instid1(VALU_DEP_1)
	v_mad_u32_u24 v1, 0x90, v1, 0
	v_add3_u32 v219, v1, v3, v5
	v_or_b32_e32 v3, 32, v10
	s_clause 0x1
	scratch_store_b32 off, v3, off offset:136
	scratch_store_b32 off, v10, off offset:144
	s_clause 0x1
	scratch_load_b32 v5, off, off offset:32
	scratch_load_b32 v20, off, off offset:24
	v_cndmask_b32_e32 v1, v9, v7, vcc_lo
	v_mad_u32_u24 v3, 0x110, v10, s0
	v_add_nc_u32_e32 v16, v16, v21
	v_add_nc_u32_e32 v220, 0x4400, v219
	scratch_store_b32 off, v22, off offset:200 ; 4-byte Folded Spill
	v_lshlrev_b32_e32 v221, 2, v1
	v_ashrrev_i32_e32 v1, 31, v0
	s_delay_alu instid0(VALU_DEP_1)
	v_lshlrev_b64 v[186:187], 2, v[0:1]
	v_add_nc_u32_e32 v0, 0x4400, v16
	scratch_store_b32 off, v3, off offset:180 ; 4-byte Folded Spill
	v_ashrrev_i32_e32 v3, 31, v2
	v_dual_mov_b32 v1, v177 :: v_dual_and_b32 v176, 60, v4
	s_clause 0x1
	scratch_store_b32 off, v21, off offset:152
	scratch_store_b32 off, v0, off offset:16
	v_lshlrev_b64 v[188:189], 2, v[2:3]
	v_dual_mov_b32 v3, v177 :: v_dual_lshlrev_b32 v4, 2, v176
	v_lshlrev_b32_e32 v238, 2, v176
	v_mov_b32_e32 v0, v177
	v_mov_b32_e32 v16, v177
	;; [unrolled: 1-line block ×3, first 2 shown]
	v_add3_u32 v250, 0, v6, v4
	v_add_nc_u32_e32 v4, s3, v2
	s_delay_alu instid0(VALU_DEP_2) | instskip(NEXT) | instid1(VALU_DEP_2)
	v_dual_mov_b32 v2, v177 :: v_dual_add_nc_u32 v243, 0x880, v250
	v_add_nc_u32_e32 v6, s3, v4
	v_add_nc_u32_e32 v240, 0x1100, v250
	;; [unrolled: 1-line block ×6, first 2 shown]
	v_ashrrev_i32_e32 v7, 31, v6
	v_add_nc_u32_e32 v230, 0x3300, v250
	v_add_nc_u32_e32 v214, 0x3b80, v250
	s_delay_alu instid0(VALU_DEP_4) | instskip(NEXT) | instid1(VALU_DEP_4)
	v_add_nc_u32_e32 v10, s3, v8
	v_lshlrev_b64 v[251:252], 2, v[6:7]
	v_dual_mov_b32 v7, v177 :: v_dual_add_nc_u32 v182, s1, v180
	v_ashrrev_i32_e32 v9, 31, v8
	s_delay_alu instid0(VALU_DEP_4)
	v_ashrrev_i32_e32 v11, 31, v10
	v_add_nc_u32_e32 v12, s3, v10
	v_ashrrev_i32_e32 v181, 31, v180
	v_mov_b32_e32 v6, v177
	v_lshlrev_b64 v[206:207], 2, v[8:9]
	v_lshlrev_b64 v[208:209], 2, v[10:11]
	v_dual_mov_b32 v11, v177 :: v_dual_add_nc_u32 v184, s1, v182
	v_add_nc_u32_e32 v14, s3, v12
	v_ashrrev_i32_e32 v13, 31, v12
	v_ashrrev_i32_e32 v183, 31, v182
	v_mov_b32_e32 v8, v177
	v_add_nc_u32_e32 v190, s1, v184
	v_ashrrev_i32_e32 v15, 31, v14
	v_lshlrev_b64 v[210:211], 2, v[12:13]
	v_ashrrev_i32_e32 v185, 31, v184
	s_delay_alu instid0(VALU_DEP_4) | instskip(NEXT) | instid1(VALU_DEP_4)
	v_dual_mov_b32 v9, v177 :: v_dual_add_nc_u32 v192, s1, v190
	v_lshlrev_b64 v[212:213], 2, v[14:15]
	v_ashrrev_i32_e32 v191, 31, v190
	v_mov_b32_e32 v10, v177
	v_mov_b32_e32 v12, v177
	;; [unrolled: 1-line block ×5, first 2 shown]
	s_waitcnt vmcnt(1)
	v_mul_u32_u24_e32 v17, 0x220, v5
	v_ashrrev_i32_e32 v5, 31, v4
	s_waitcnt vmcnt(0)
	s_delay_alu instid0(VALU_DEP_2)
	v_add3_u32 v223, 0, v17, v20
	v_add3_u32 v18, 0, 64, v17
	;; [unrolled: 1-line block ×4, first 2 shown]
	v_lshlrev_b64 v[247:248], 2, v[4:5]
	v_add_nc_u32_e32 v224, 0x2200, v223
	v_add_nc_u32_e32 v226, 64, v223
	v_add3_u32 v234, v19, v20, 0x2200
	v_mov_b32_e32 v19, v177
	v_add3_u32 v237, v17, v20, 0x2200
	scratch_load_b32 v17, off, off offset:48 ; 4-byte Folded Reload
	v_add_nc_u32_e32 v194, s1, v192
	v_ashrrev_i32_e32 v193, 31, v192
	v_add3_u32 v229, v18, v20, 0x2200
	v_add_nc_u32_e32 v231, 0x80, v223
	v_add_nc_u32_e32 v236, 0xc0, v223
	;; [unrolled: 1-line block ×3, first 2 shown]
	v_ashrrev_i32_e32 v195, 31, v194
	v_mov_b32_e32 v4, v177
	v_mov_b32_e32 v5, v177
	;; [unrolled: 1-line block ×3, first 2 shown]
	v_ashrrev_i32_e32 v197, 31, v196
	v_mov_b32_e32 v20, v177
	s_waitcnt vmcnt(0)
	v_add_nc_u32_e32 v239, v17, v22
	v_mov_b32_e32 v17, v177
	v_mov_b32_e32 v22, v177
.LBB25_568:                             ; =>This Inner Loop Header: Depth=1
	s_clause 0x1
	scratch_load_b64 v[96:97], off, off
	scratch_load_b64 v[98:99], off, off offset:8
	s_ashr_i32 s7, s6, 31
	v_dual_mov_b32 v119, s23 :: v_dual_mov_b32 v118, s22
	s_lshl_b64 s[0:1], s[6:7], 1
	v_dual_mov_b32 v117, s21 :: v_dual_mov_b32 v116, s20
	v_add_co_u32 v100, vcc_lo, v232, s0
	v_add_co_ci_u32_e32 v101, vcc_lo, s1, v249, vcc_lo
	s_mul_hi_i32 s1, s6, s12
	s_mul_i32 s0, s6, s12
	v_dual_mov_b32 v115, s19 :: v_dual_mov_b32 v114, s18
	s_lshl_b64 s[0:1], s[0:1], 2
	v_dual_mov_b32 v113, s17 :: v_dual_mov_b32 v112, s16
	s_add_u32 s0, s14, s0
	s_addc_u32 s1, s15, s1
                                        ; implicit-def: $vgpr227
	s_waitcnt vmcnt(1)
	v_lshlrev_b64 v[96:97], 1, v[96:97]
	s_waitcnt vmcnt(0)
	v_lshlrev_b64 v[98:99], 1, v[98:99]
	s_delay_alu instid0(VALU_DEP_2) | instskip(NEXT) | instid1(VALU_DEP_3)
	v_add_co_u32 v96, vcc_lo, v100, v96
	v_add_co_ci_u32_e32 v97, vcc_lo, v101, v97, vcc_lo
	s_delay_alu instid0(VALU_DEP_3) | instskip(NEXT) | instid1(VALU_DEP_4)
	v_add_co_u32 v98, vcc_lo, v100, v98
	v_add_co_ci_u32_e32 v99, vcc_lo, v101, v99, vcc_lo
	s_clause 0x1
	global_load_b32 v96, v[96:97], off
	global_load_b32 v97, v[98:99], off
	scratch_load_b32 v98, off, off offset:16 ; 4-byte Folded Reload
	s_waitcnt vmcnt(0)
	ds_store_2addr_b32 v98, v96, v97 offset1:144
	v_lshlrev_b64 v[96:97], 2, v[178:179]
	s_delay_alu instid0(VALU_DEP_1) | instskip(NEXT) | instid1(VALU_DEP_2)
	v_add_co_u32 v98, vcc_lo, s0, v96
	v_add_co_ci_u32_e32 v99, vcc_lo, s1, v97, vcc_lo
	v_lshlrev_b64 v[96:97], 2, v[180:181]
	s_delay_alu instid0(VALU_DEP_1) | instskip(NEXT) | instid1(VALU_DEP_2)
	v_add_co_u32 v100, vcc_lo, s0, v96
	v_add_co_ci_u32_e32 v101, vcc_lo, s1, v97, vcc_lo
	v_add_co_u32 v96, vcc_lo, v98, v238
	v_add_co_ci_u32_e32 v97, vcc_lo, 0, v99, vcc_lo
	s_delay_alu instid0(VALU_DEP_4) | instskip(NEXT) | instid1(VALU_DEP_4)
	v_add_co_u32 v100, vcc_lo, v100, v238
	v_add_co_ci_u32_e32 v101, vcc_lo, 0, v101, vcc_lo
	s_clause 0x1
	global_load_b128 v[96:99], v[96:97], off
	global_load_b128 v[100:103], v[100:101], off
	s_waitcnt vmcnt(1)
	ds_store_b128 v250, v[96:99]
	s_waitcnt vmcnt(0)
	ds_store_b128 v243, v[100:103]
	v_lshlrev_b64 v[96:97], 2, v[182:183]
	s_delay_alu instid0(VALU_DEP_1) | instskip(NEXT) | instid1(VALU_DEP_2)
	v_add_co_u32 v98, vcc_lo, s0, v96
	v_add_co_ci_u32_e32 v99, vcc_lo, s1, v97, vcc_lo
	v_lshlrev_b64 v[96:97], 2, v[184:185]
	s_delay_alu instid0(VALU_DEP_1) | instskip(NEXT) | instid1(VALU_DEP_2)
	v_add_co_u32 v100, vcc_lo, s0, v96
	v_add_co_ci_u32_e32 v101, vcc_lo, s1, v97, vcc_lo
	v_add_co_u32 v96, vcc_lo, v98, v238
	v_add_co_ci_u32_e32 v97, vcc_lo, 0, v99, vcc_lo
	s_delay_alu instid0(VALU_DEP_4) | instskip(NEXT) | instid1(VALU_DEP_4)
	v_add_co_u32 v100, vcc_lo, v100, v238
	v_add_co_ci_u32_e32 v101, vcc_lo, 0, v101, vcc_lo
	s_clause 0x1
	global_load_b128 v[96:99], v[96:97], off
	global_load_b128 v[100:103], v[100:101], off
	s_waitcnt vmcnt(1)
	ds_store_b128 v240, v[96:99]
	s_waitcnt vmcnt(0)
	ds_store_b128 v253, v[100:103]
	;; [unrolled: 20-line block ×4, first 2 shown]
	s_waitcnt lgkmcnt(0)
	s_waitcnt_vscnt null, 0x0
	s_barrier
	buffer_gl0_inv
	ds_load_b128 v[104:107], v239
	ds_load_b128 v[108:111], v239 offset:16
	s_waitcnt lgkmcnt(0)
	v_wmma_f32_16x16x16_f16 v[96:103], v[104:111], v[88:95], v[112:119]
	ds_load_b128 v[104:107], v239 offset:32
	ds_load_b128 v[108:111], v239 offset:48
	s_waitcnt lgkmcnt(0)
	v_wmma_f32_16x16x16_f16 v[96:103], v[104:111], v[80:87], v[96:103]
	ds_load_b128 v[104:107], v239 offset:64
	;; [unrolled: 4-line block ×7, first 2 shown]
	ds_load_b128 v[108:111], v239 offset:240
	ds_load_b128 v[168:171], v239 offset:8704
	;; [unrolled: 1-line block ×17, first 2 shown]
	s_waitcnt lgkmcnt(0)
	s_barrier
	buffer_gl0_inv
	v_wmma_f32_16x16x16_f16 v[96:103], v[104:111], v[32:39], v[96:103]
	s_delay_alu instid0(VALU_DEP_1) | instskip(NEXT) | instid1(VALU_DEP_1)
	v_cmp_ngt_f32_e64 s0, 0x3f200000, |v96|
	s_and_saveexec_b32 s1, s0
	s_delay_alu instid0(SALU_CYCLE_1)
	s_xor_b32 s0, exec_lo, s1
	s_cbranch_execz .LBB25_570
; %bb.569:                              ;   in Loop: Header=BB25_568 Depth=1
	v_add_f32_e64 v104, |v96|, |v96|
	s_delay_alu instid0(VALU_DEP_1) | instskip(SKIP_1) | instid1(VALU_DEP_2)
	v_mul_f32_e32 v105, 0x3fb8aa3b, v104
	v_cmp_ngt_f32_e32 vcc_lo, 0xc2ce8ed0, v104
	v_rndne_f32_e32 v106, v105
	v_fma_f32 v107, 0x3fb8aa3b, v104, -v105
	s_delay_alu instid0(VALU_DEP_2) | instskip(NEXT) | instid1(VALU_DEP_2)
	v_sub_f32_e32 v105, v105, v106
	v_fmac_f32_e32 v107, 0x32a5705f, v104
	v_cvt_i32_f32_e32 v106, v106
	s_delay_alu instid0(VALU_DEP_2) | instskip(NEXT) | instid1(VALU_DEP_1)
	v_add_f32_e32 v105, v105, v107
	v_exp_f32_e32 v105, v105
	s_waitcnt_depctr 0xfff
	v_ldexp_f32 v105, v105, v106
	s_delay_alu instid0(VALU_DEP_1) | instskip(SKIP_1) | instid1(VALU_DEP_2)
	v_cndmask_b32_e32 v105, 0, v105, vcc_lo
	v_cmp_nlt_f32_e32 vcc_lo, 0x42b17218, v104
	v_cndmask_b32_e32 v104, 0x7f800000, v105, vcc_lo
	s_delay_alu instid0(VALU_DEP_1) | instskip(NEXT) | instid1(VALU_DEP_1)
	v_add_f32_e32 v104, 1.0, v104
	v_rcp_f32_e32 v104, v104
	s_waitcnt_depctr 0xfff
	v_fma_f32 v227, v104, -2.0, 1.0
.LBB25_570:                             ;   in Loop: Header=BB25_568 Depth=1
	s_and_not1_saveexec_b32 s0, s0
; %bb.571:                              ;   in Loop: Header=BB25_568 Depth=1
	v_mul_f32_e32 v104, v96, v96
	s_delay_alu instid0(VALU_DEP_1) | instskip(NEXT) | instid1(VALU_DEP_1)
	v_fmaak_f32 v105, s8, v104, 0x3ca908c9
	v_fmaak_f32 v105, v104, v105, 0xbd5c1c4e
	s_delay_alu instid0(VALU_DEP_1) | instskip(NEXT) | instid1(VALU_DEP_1)
	v_fmaak_f32 v105, v104, v105, 0x3e088382
	v_fmaak_f32 v105, v104, v105, 0xbeaaaa99
	s_delay_alu instid0(VALU_DEP_1) | instskip(NEXT) | instid1(VALU_DEP_1)
	v_mul_f32_e64 v105, |v96|, v105
	v_fma_f32 v227, v104, v105, |v96|
; %bb.572:                              ;   in Loop: Header=BB25_568 Depth=1
	s_or_b32 exec_lo, exec_lo, s0
	v_cmp_ngt_f32_e64 s0, 0x3f200000, |v97|
                                        ; implicit-def: $vgpr242
	s_delay_alu instid0(VALU_DEP_1) | instskip(NEXT) | instid1(SALU_CYCLE_1)
	s_and_saveexec_b32 s1, s0
	s_xor_b32 s0, exec_lo, s1
	s_cbranch_execz .LBB25_574
; %bb.573:                              ;   in Loop: Header=BB25_568 Depth=1
	v_add_f32_e64 v104, |v97|, |v97|
	s_delay_alu instid0(VALU_DEP_1) | instskip(SKIP_1) | instid1(VALU_DEP_2)
	v_mul_f32_e32 v105, 0x3fb8aa3b, v104
	v_cmp_ngt_f32_e32 vcc_lo, 0xc2ce8ed0, v104
	v_rndne_f32_e32 v106, v105
	v_fma_f32 v107, 0x3fb8aa3b, v104, -v105
	s_delay_alu instid0(VALU_DEP_2) | instskip(NEXT) | instid1(VALU_DEP_2)
	v_sub_f32_e32 v105, v105, v106
	v_fmac_f32_e32 v107, 0x32a5705f, v104
	v_cvt_i32_f32_e32 v106, v106
	s_delay_alu instid0(VALU_DEP_2) | instskip(NEXT) | instid1(VALU_DEP_1)
	v_add_f32_e32 v105, v105, v107
	v_exp_f32_e32 v105, v105
	s_waitcnt_depctr 0xfff
	v_ldexp_f32 v105, v105, v106
	s_delay_alu instid0(VALU_DEP_1) | instskip(SKIP_1) | instid1(VALU_DEP_2)
	v_cndmask_b32_e32 v105, 0, v105, vcc_lo
	v_cmp_nlt_f32_e32 vcc_lo, 0x42b17218, v104
	v_cndmask_b32_e32 v104, 0x7f800000, v105, vcc_lo
	s_delay_alu instid0(VALU_DEP_1) | instskip(NEXT) | instid1(VALU_DEP_1)
	v_add_f32_e32 v104, 1.0, v104
	v_rcp_f32_e32 v104, v104
	s_waitcnt_depctr 0xfff
	v_fma_f32 v242, v104, -2.0, 1.0
.LBB25_574:                             ;   in Loop: Header=BB25_568 Depth=1
	s_and_not1_saveexec_b32 s0, s0
; %bb.575:                              ;   in Loop: Header=BB25_568 Depth=1
	v_mul_f32_e32 v104, v97, v97
	s_delay_alu instid0(VALU_DEP_1) | instskip(NEXT) | instid1(VALU_DEP_1)
	v_fmaak_f32 v105, s8, v104, 0x3ca908c9
	v_fmaak_f32 v105, v104, v105, 0xbd5c1c4e
	s_delay_alu instid0(VALU_DEP_1) | instskip(NEXT) | instid1(VALU_DEP_1)
	v_fmaak_f32 v105, v104, v105, 0x3e088382
	v_fmaak_f32 v105, v104, v105, 0xbeaaaa99
	s_delay_alu instid0(VALU_DEP_1) | instskip(NEXT) | instid1(VALU_DEP_1)
	v_mul_f32_e64 v105, |v97|, v105
	v_fma_f32 v242, v104, v105, |v97|
; %bb.576:                              ;   in Loop: Header=BB25_568 Depth=1
	s_or_b32 exec_lo, exec_lo, s0
	v_cmp_ngt_f32_e64 s0, 0x3f200000, |v98|
                                        ; implicit-def: $vgpr244
	s_delay_alu instid0(VALU_DEP_1) | instskip(NEXT) | instid1(SALU_CYCLE_1)
	s_and_saveexec_b32 s1, s0
	s_xor_b32 s0, exec_lo, s1
	s_cbranch_execz .LBB25_578
; %bb.577:                              ;   in Loop: Header=BB25_568 Depth=1
	v_add_f32_e64 v104, |v98|, |v98|
	s_delay_alu instid0(VALU_DEP_1) | instskip(SKIP_1) | instid1(VALU_DEP_2)
	v_mul_f32_e32 v105, 0x3fb8aa3b, v104
	v_cmp_ngt_f32_e32 vcc_lo, 0xc2ce8ed0, v104
	v_rndne_f32_e32 v106, v105
	v_fma_f32 v107, 0x3fb8aa3b, v104, -v105
	s_delay_alu instid0(VALU_DEP_2) | instskip(NEXT) | instid1(VALU_DEP_2)
	v_sub_f32_e32 v105, v105, v106
	v_fmac_f32_e32 v107, 0x32a5705f, v104
	v_cvt_i32_f32_e32 v106, v106
	s_delay_alu instid0(VALU_DEP_2) | instskip(NEXT) | instid1(VALU_DEP_1)
	v_add_f32_e32 v105, v105, v107
	v_exp_f32_e32 v105, v105
	s_waitcnt_depctr 0xfff
	v_ldexp_f32 v105, v105, v106
	s_delay_alu instid0(VALU_DEP_1) | instskip(SKIP_1) | instid1(VALU_DEP_2)
	v_cndmask_b32_e32 v105, 0, v105, vcc_lo
	v_cmp_nlt_f32_e32 vcc_lo, 0x42b17218, v104
	v_cndmask_b32_e32 v104, 0x7f800000, v105, vcc_lo
	s_delay_alu instid0(VALU_DEP_1) | instskip(NEXT) | instid1(VALU_DEP_1)
	v_add_f32_e32 v104, 1.0, v104
	v_rcp_f32_e32 v104, v104
	s_waitcnt_depctr 0xfff
	v_fma_f32 v244, v104, -2.0, 1.0
.LBB25_578:                             ;   in Loop: Header=BB25_568 Depth=1
	s_and_not1_saveexec_b32 s0, s0
; %bb.579:                              ;   in Loop: Header=BB25_568 Depth=1
	v_mul_f32_e32 v104, v98, v98
	s_delay_alu instid0(VALU_DEP_1) | instskip(NEXT) | instid1(VALU_DEP_1)
	v_fmaak_f32 v105, s8, v104, 0x3ca908c9
	v_fmaak_f32 v105, v104, v105, 0xbd5c1c4e
	s_delay_alu instid0(VALU_DEP_1) | instskip(NEXT) | instid1(VALU_DEP_1)
	v_fmaak_f32 v105, v104, v105, 0x3e088382
	v_fmaak_f32 v105, v104, v105, 0xbeaaaa99
	s_delay_alu instid0(VALU_DEP_1) | instskip(NEXT) | instid1(VALU_DEP_1)
	v_mul_f32_e64 v105, |v98|, v105
	v_fma_f32 v244, v104, v105, |v98|
; %bb.580:                              ;   in Loop: Header=BB25_568 Depth=1
	s_or_b32 exec_lo, exec_lo, s0
	v_cmp_ngt_f32_e64 s0, 0x3f200000, |v99|
                                        ; implicit-def: $vgpr245
	s_delay_alu instid0(VALU_DEP_1) | instskip(NEXT) | instid1(SALU_CYCLE_1)
	s_and_saveexec_b32 s1, s0
	s_xor_b32 s0, exec_lo, s1
	s_cbranch_execz .LBB25_582
; %bb.581:                              ;   in Loop: Header=BB25_568 Depth=1
	v_add_f32_e64 v104, |v99|, |v99|
	s_delay_alu instid0(VALU_DEP_1) | instskip(SKIP_1) | instid1(VALU_DEP_2)
	v_mul_f32_e32 v105, 0x3fb8aa3b, v104
	v_cmp_ngt_f32_e32 vcc_lo, 0xc2ce8ed0, v104
	v_rndne_f32_e32 v106, v105
	v_fma_f32 v107, 0x3fb8aa3b, v104, -v105
	s_delay_alu instid0(VALU_DEP_2) | instskip(NEXT) | instid1(VALU_DEP_2)
	v_sub_f32_e32 v105, v105, v106
	v_fmac_f32_e32 v107, 0x32a5705f, v104
	v_cvt_i32_f32_e32 v106, v106
	s_delay_alu instid0(VALU_DEP_2) | instskip(NEXT) | instid1(VALU_DEP_1)
	v_add_f32_e32 v105, v105, v107
	v_exp_f32_e32 v105, v105
	s_waitcnt_depctr 0xfff
	v_ldexp_f32 v105, v105, v106
	s_delay_alu instid0(VALU_DEP_1) | instskip(SKIP_1) | instid1(VALU_DEP_2)
	v_cndmask_b32_e32 v105, 0, v105, vcc_lo
	v_cmp_nlt_f32_e32 vcc_lo, 0x42b17218, v104
	v_cndmask_b32_e32 v104, 0x7f800000, v105, vcc_lo
	s_delay_alu instid0(VALU_DEP_1) | instskip(NEXT) | instid1(VALU_DEP_1)
	v_add_f32_e32 v104, 1.0, v104
	v_rcp_f32_e32 v104, v104
	s_waitcnt_depctr 0xfff
	v_fma_f32 v245, v104, -2.0, 1.0
.LBB25_582:                             ;   in Loop: Header=BB25_568 Depth=1
	s_and_not1_saveexec_b32 s0, s0
; %bb.583:                              ;   in Loop: Header=BB25_568 Depth=1
	v_mul_f32_e32 v104, v99, v99
	s_delay_alu instid0(VALU_DEP_1) | instskip(NEXT) | instid1(VALU_DEP_1)
	v_fmaak_f32 v105, s8, v104, 0x3ca908c9
	v_fmaak_f32 v105, v104, v105, 0xbd5c1c4e
	s_delay_alu instid0(VALU_DEP_1) | instskip(NEXT) | instid1(VALU_DEP_1)
	v_fmaak_f32 v105, v104, v105, 0x3e088382
	v_fmaak_f32 v105, v104, v105, 0xbeaaaa99
	s_delay_alu instid0(VALU_DEP_1) | instskip(NEXT) | instid1(VALU_DEP_1)
	v_mul_f32_e64 v105, |v99|, v105
	v_fma_f32 v245, v104, v105, |v99|
; %bb.584:                              ;   in Loop: Header=BB25_568 Depth=1
	s_or_b32 exec_lo, exec_lo, s0
	v_cmp_ngt_f32_e64 s0, 0x3f200000, |v100|
                                        ; implicit-def: $vgpr246
	s_delay_alu instid0(VALU_DEP_1) | instskip(NEXT) | instid1(SALU_CYCLE_1)
	s_and_saveexec_b32 s1, s0
	s_xor_b32 s0, exec_lo, s1
	s_cbranch_execz .LBB25_586
; %bb.585:                              ;   in Loop: Header=BB25_568 Depth=1
	v_add_f32_e64 v104, |v100|, |v100|
	s_delay_alu instid0(VALU_DEP_1) | instskip(SKIP_1) | instid1(VALU_DEP_2)
	v_mul_f32_e32 v105, 0x3fb8aa3b, v104
	v_cmp_ngt_f32_e32 vcc_lo, 0xc2ce8ed0, v104
	v_rndne_f32_e32 v106, v105
	v_fma_f32 v107, 0x3fb8aa3b, v104, -v105
	s_delay_alu instid0(VALU_DEP_2) | instskip(NEXT) | instid1(VALU_DEP_2)
	v_sub_f32_e32 v105, v105, v106
	v_fmac_f32_e32 v107, 0x32a5705f, v104
	v_cvt_i32_f32_e32 v106, v106
	s_delay_alu instid0(VALU_DEP_2) | instskip(NEXT) | instid1(VALU_DEP_1)
	v_add_f32_e32 v105, v105, v107
	v_exp_f32_e32 v105, v105
	s_waitcnt_depctr 0xfff
	v_ldexp_f32 v105, v105, v106
	s_delay_alu instid0(VALU_DEP_1) | instskip(SKIP_1) | instid1(VALU_DEP_2)
	v_cndmask_b32_e32 v105, 0, v105, vcc_lo
	v_cmp_nlt_f32_e32 vcc_lo, 0x42b17218, v104
	v_cndmask_b32_e32 v104, 0x7f800000, v105, vcc_lo
	s_delay_alu instid0(VALU_DEP_1) | instskip(NEXT) | instid1(VALU_DEP_1)
	v_add_f32_e32 v104, 1.0, v104
	v_rcp_f32_e32 v104, v104
	s_waitcnt_depctr 0xfff
	v_fma_f32 v246, v104, -2.0, 1.0
.LBB25_586:                             ;   in Loop: Header=BB25_568 Depth=1
	s_and_not1_saveexec_b32 s0, s0
; %bb.587:                              ;   in Loop: Header=BB25_568 Depth=1
	v_mul_f32_e32 v104, v100, v100
	s_delay_alu instid0(VALU_DEP_1) | instskip(NEXT) | instid1(VALU_DEP_1)
	v_fmaak_f32 v105, s8, v104, 0x3ca908c9
	v_fmaak_f32 v105, v104, v105, 0xbd5c1c4e
	s_delay_alu instid0(VALU_DEP_1) | instskip(NEXT) | instid1(VALU_DEP_1)
	v_fmaak_f32 v105, v104, v105, 0x3e088382
	v_fmaak_f32 v105, v104, v105, 0xbeaaaa99
	s_delay_alu instid0(VALU_DEP_1) | instskip(NEXT) | instid1(VALU_DEP_1)
	v_mul_f32_e64 v105, |v100|, v105
	v_fma_f32 v246, v104, v105, |v100|
; %bb.588:                              ;   in Loop: Header=BB25_568 Depth=1
	s_or_b32 exec_lo, exec_lo, s0
	v_cmp_ngt_f32_e64 s0, 0x3f200000, |v101|
                                        ; implicit-def: $vgpr217
	s_delay_alu instid0(VALU_DEP_1) | instskip(NEXT) | instid1(SALU_CYCLE_1)
	s_and_saveexec_b32 s1, s0
	s_xor_b32 s0, exec_lo, s1
	s_cbranch_execz .LBB25_590
; %bb.589:                              ;   in Loop: Header=BB25_568 Depth=1
	v_add_f32_e64 v104, |v101|, |v101|
	s_delay_alu instid0(VALU_DEP_1) | instskip(SKIP_1) | instid1(VALU_DEP_2)
	v_mul_f32_e32 v105, 0x3fb8aa3b, v104
	v_cmp_ngt_f32_e32 vcc_lo, 0xc2ce8ed0, v104
	v_rndne_f32_e32 v106, v105
	v_fma_f32 v107, 0x3fb8aa3b, v104, -v105
	s_delay_alu instid0(VALU_DEP_2) | instskip(NEXT) | instid1(VALU_DEP_2)
	v_sub_f32_e32 v105, v105, v106
	v_fmac_f32_e32 v107, 0x32a5705f, v104
	v_cvt_i32_f32_e32 v106, v106
	s_delay_alu instid0(VALU_DEP_2) | instskip(NEXT) | instid1(VALU_DEP_1)
	v_add_f32_e32 v105, v105, v107
	v_exp_f32_e32 v105, v105
	s_waitcnt_depctr 0xfff
	v_ldexp_f32 v105, v105, v106
	s_delay_alu instid0(VALU_DEP_1) | instskip(SKIP_1) | instid1(VALU_DEP_2)
	v_cndmask_b32_e32 v105, 0, v105, vcc_lo
	v_cmp_nlt_f32_e32 vcc_lo, 0x42b17218, v104
	v_cndmask_b32_e32 v104, 0x7f800000, v105, vcc_lo
	s_delay_alu instid0(VALU_DEP_1) | instskip(NEXT) | instid1(VALU_DEP_1)
	v_add_f32_e32 v104, 1.0, v104
	v_rcp_f32_e32 v104, v104
	s_waitcnt_depctr 0xfff
	v_fma_f32 v217, v104, -2.0, 1.0
.LBB25_590:                             ;   in Loop: Header=BB25_568 Depth=1
	s_and_not1_saveexec_b32 s0, s0
; %bb.591:                              ;   in Loop: Header=BB25_568 Depth=1
	v_mul_f32_e32 v104, v101, v101
	s_delay_alu instid0(VALU_DEP_1) | instskip(NEXT) | instid1(VALU_DEP_1)
	v_fmaak_f32 v105, s8, v104, 0x3ca908c9
	v_fmaak_f32 v105, v104, v105, 0xbd5c1c4e
	s_delay_alu instid0(VALU_DEP_1) | instskip(NEXT) | instid1(VALU_DEP_1)
	v_fmaak_f32 v105, v104, v105, 0x3e088382
	v_fmaak_f32 v105, v104, v105, 0xbeaaaa99
	s_delay_alu instid0(VALU_DEP_1) | instskip(NEXT) | instid1(VALU_DEP_1)
	v_mul_f32_e64 v105, |v101|, v105
	v_fma_f32 v217, v104, v105, |v101|
; %bb.592:                              ;   in Loop: Header=BB25_568 Depth=1
	s_or_b32 exec_lo, exec_lo, s0
	v_cmp_ngt_f32_e64 s0, 0x3f200000, |v102|
                                        ; implicit-def: $vgpr233
	s_delay_alu instid0(VALU_DEP_1) | instskip(NEXT) | instid1(SALU_CYCLE_1)
	s_and_saveexec_b32 s1, s0
	s_xor_b32 s0, exec_lo, s1
	s_cbranch_execz .LBB25_594
; %bb.593:                              ;   in Loop: Header=BB25_568 Depth=1
	v_add_f32_e64 v104, |v102|, |v102|
	s_delay_alu instid0(VALU_DEP_1) | instskip(SKIP_1) | instid1(VALU_DEP_2)
	v_mul_f32_e32 v105, 0x3fb8aa3b, v104
	v_cmp_ngt_f32_e32 vcc_lo, 0xc2ce8ed0, v104
	v_rndne_f32_e32 v106, v105
	v_fma_f32 v107, 0x3fb8aa3b, v104, -v105
	s_delay_alu instid0(VALU_DEP_2) | instskip(NEXT) | instid1(VALU_DEP_2)
	v_sub_f32_e32 v105, v105, v106
	v_fmac_f32_e32 v107, 0x32a5705f, v104
	v_cvt_i32_f32_e32 v106, v106
	s_delay_alu instid0(VALU_DEP_2) | instskip(NEXT) | instid1(VALU_DEP_1)
	v_add_f32_e32 v105, v105, v107
	v_exp_f32_e32 v105, v105
	s_waitcnt_depctr 0xfff
	v_ldexp_f32 v105, v105, v106
	s_delay_alu instid0(VALU_DEP_1) | instskip(SKIP_1) | instid1(VALU_DEP_2)
	v_cndmask_b32_e32 v105, 0, v105, vcc_lo
	v_cmp_nlt_f32_e32 vcc_lo, 0x42b17218, v104
	v_cndmask_b32_e32 v104, 0x7f800000, v105, vcc_lo
	s_delay_alu instid0(VALU_DEP_1) | instskip(NEXT) | instid1(VALU_DEP_1)
	v_add_f32_e32 v104, 1.0, v104
	v_rcp_f32_e32 v104, v104
	s_waitcnt_depctr 0xfff
	v_fma_f32 v233, v104, -2.0, 1.0
.LBB25_594:                             ;   in Loop: Header=BB25_568 Depth=1
	s_and_not1_saveexec_b32 s0, s0
; %bb.595:                              ;   in Loop: Header=BB25_568 Depth=1
	v_mul_f32_e32 v104, v102, v102
	s_delay_alu instid0(VALU_DEP_1) | instskip(NEXT) | instid1(VALU_DEP_1)
	v_fmaak_f32 v105, s8, v104, 0x3ca908c9
	v_fmaak_f32 v105, v104, v105, 0xbd5c1c4e
	s_delay_alu instid0(VALU_DEP_1) | instskip(NEXT) | instid1(VALU_DEP_1)
	v_fmaak_f32 v105, v104, v105, 0x3e088382
	v_fmaak_f32 v105, v104, v105, 0xbeaaaa99
	s_delay_alu instid0(VALU_DEP_1) | instskip(NEXT) | instid1(VALU_DEP_1)
	v_mul_f32_e64 v105, |v102|, v105
	v_fma_f32 v233, v104, v105, |v102|
; %bb.596:                              ;   in Loop: Header=BB25_568 Depth=1
	s_or_b32 exec_lo, exec_lo, s0
	v_cmp_ngt_f32_e64 s0, 0x3f200000, |v103|
                                        ; implicit-def: $vgpr235
	s_delay_alu instid0(VALU_DEP_1) | instskip(NEXT) | instid1(SALU_CYCLE_1)
	s_and_saveexec_b32 s1, s0
	s_xor_b32 s0, exec_lo, s1
	s_cbranch_execz .LBB25_598
; %bb.597:                              ;   in Loop: Header=BB25_568 Depth=1
	v_add_f32_e64 v104, |v103|, |v103|
	s_delay_alu instid0(VALU_DEP_1) | instskip(SKIP_1) | instid1(VALU_DEP_2)
	v_mul_f32_e32 v105, 0x3fb8aa3b, v104
	v_cmp_ngt_f32_e32 vcc_lo, 0xc2ce8ed0, v104
	v_rndne_f32_e32 v106, v105
	v_fma_f32 v107, 0x3fb8aa3b, v104, -v105
	s_delay_alu instid0(VALU_DEP_2) | instskip(NEXT) | instid1(VALU_DEP_2)
	v_sub_f32_e32 v105, v105, v106
	v_fmac_f32_e32 v107, 0x32a5705f, v104
	v_cvt_i32_f32_e32 v106, v106
	s_delay_alu instid0(VALU_DEP_2) | instskip(NEXT) | instid1(VALU_DEP_1)
	v_add_f32_e32 v105, v105, v107
	v_exp_f32_e32 v105, v105
	s_waitcnt_depctr 0xfff
	v_ldexp_f32 v105, v105, v106
	s_delay_alu instid0(VALU_DEP_1) | instskip(SKIP_1) | instid1(VALU_DEP_2)
	v_cndmask_b32_e32 v105, 0, v105, vcc_lo
	v_cmp_nlt_f32_e32 vcc_lo, 0x42b17218, v104
	v_cndmask_b32_e32 v104, 0x7f800000, v105, vcc_lo
	s_delay_alu instid0(VALU_DEP_1) | instskip(NEXT) | instid1(VALU_DEP_1)
	v_add_f32_e32 v104, 1.0, v104
	v_rcp_f32_e32 v104, v104
	s_waitcnt_depctr 0xfff
	v_fma_f32 v235, v104, -2.0, 1.0
.LBB25_598:                             ;   in Loop: Header=BB25_568 Depth=1
	s_and_not1_saveexec_b32 s0, s0
; %bb.599:                              ;   in Loop: Header=BB25_568 Depth=1
	v_mul_f32_e32 v104, v103, v103
	s_delay_alu instid0(VALU_DEP_1) | instskip(NEXT) | instid1(VALU_DEP_1)
	v_fmaak_f32 v105, s8, v104, 0x3ca908c9
	v_fmaak_f32 v105, v104, v105, 0xbd5c1c4e
	s_delay_alu instid0(VALU_DEP_1) | instskip(NEXT) | instid1(VALU_DEP_1)
	v_fmaak_f32 v105, v104, v105, 0x3e088382
	v_fmaak_f32 v105, v104, v105, 0xbeaaaa99
	s_delay_alu instid0(VALU_DEP_1) | instskip(NEXT) | instid1(VALU_DEP_1)
	v_mul_f32_e64 v105, |v103|, v105
	v_fma_f32 v235, v104, v105, |v103|
; %bb.600:                              ;   in Loop: Header=BB25_568 Depth=1
	s_or_b32 exec_lo, exec_lo, s0
	v_dual_mov_b32 v205, s23 :: v_dual_mov_b32 v204, s22
	v_dual_mov_b32 v203, s21 :: v_dual_mov_b32 v202, s20
	;; [unrolled: 1-line block ×4, first 2 shown]
	s_delay_alu instid0(VALU_DEP_1) | instskip(NEXT) | instid1(VALU_DEP_1)
	v_wmma_f32_16x16x16_f16 v[104:111], v[168:175], v[88:95], v[198:205]
	v_wmma_f32_16x16x16_f16 v[104:111], v[160:167], v[80:87], v[104:111]
	s_delay_alu instid0(VALU_DEP_1) | instskip(NEXT) | instid1(VALU_DEP_1)
	v_wmma_f32_16x16x16_f16 v[104:111], v[152:159], v[72:79], v[104:111]
	v_wmma_f32_16x16x16_f16 v[104:111], v[144:151], v[64:71], v[104:111]
	;; [unrolled: 3-line block ×4, first 2 shown]
                                        ; implicit-def: $vgpr116
	s_delay_alu instid0(VALU_DEP_1) | instskip(NEXT) | instid1(VALU_DEP_1)
	v_cmp_ngt_f32_e64 s0, 0x3f200000, |v104|
	s_and_saveexec_b32 s1, s0
	s_delay_alu instid0(SALU_CYCLE_1)
	s_xor_b32 s0, exec_lo, s1
	s_cbranch_execz .LBB25_602
; %bb.601:                              ;   in Loop: Header=BB25_568 Depth=1
	v_add_f32_e64 v112, |v104|, |v104|
	s_delay_alu instid0(VALU_DEP_1) | instskip(SKIP_1) | instid1(VALU_DEP_2)
	v_mul_f32_e32 v113, 0x3fb8aa3b, v112
	v_cmp_ngt_f32_e32 vcc_lo, 0xc2ce8ed0, v112
	v_rndne_f32_e32 v114, v113
	v_fma_f32 v115, 0x3fb8aa3b, v112, -v113
	s_delay_alu instid0(VALU_DEP_2) | instskip(NEXT) | instid1(VALU_DEP_2)
	v_sub_f32_e32 v113, v113, v114
	v_fmac_f32_e32 v115, 0x32a5705f, v112
	v_cvt_i32_f32_e32 v114, v114
	s_delay_alu instid0(VALU_DEP_2) | instskip(NEXT) | instid1(VALU_DEP_1)
	v_add_f32_e32 v113, v113, v115
	v_exp_f32_e32 v113, v113
	s_waitcnt_depctr 0xfff
	v_ldexp_f32 v113, v113, v114
	s_delay_alu instid0(VALU_DEP_1) | instskip(SKIP_1) | instid1(VALU_DEP_2)
	v_cndmask_b32_e32 v113, 0, v113, vcc_lo
	v_cmp_nlt_f32_e32 vcc_lo, 0x42b17218, v112
	v_cndmask_b32_e32 v112, 0x7f800000, v113, vcc_lo
	s_delay_alu instid0(VALU_DEP_1) | instskip(NEXT) | instid1(VALU_DEP_1)
	v_add_f32_e32 v112, 1.0, v112
	v_rcp_f32_e32 v112, v112
	s_waitcnt_depctr 0xfff
	v_fma_f32 v116, v112, -2.0, 1.0
.LBB25_602:                             ;   in Loop: Header=BB25_568 Depth=1
	s_and_not1_saveexec_b32 s0, s0
; %bb.603:                              ;   in Loop: Header=BB25_568 Depth=1
	v_mul_f32_e32 v112, v104, v104
	s_delay_alu instid0(VALU_DEP_1) | instskip(NEXT) | instid1(VALU_DEP_1)
	v_fmaak_f32 v113, s8, v112, 0x3ca908c9
	v_fmaak_f32 v113, v112, v113, 0xbd5c1c4e
	s_delay_alu instid0(VALU_DEP_1) | instskip(NEXT) | instid1(VALU_DEP_1)
	v_fmaak_f32 v113, v112, v113, 0x3e088382
	v_fmaak_f32 v113, v112, v113, 0xbeaaaa99
	s_delay_alu instid0(VALU_DEP_1) | instskip(NEXT) | instid1(VALU_DEP_1)
	v_mul_f32_e64 v113, |v104|, v113
	v_fma_f32 v116, v112, v113, |v104|
; %bb.604:                              ;   in Loop: Header=BB25_568 Depth=1
	s_or_b32 exec_lo, exec_lo, s0
	v_cmp_ngt_f32_e64 s0, 0x3f200000, |v105|
                                        ; implicit-def: $vgpr118
	s_delay_alu instid0(VALU_DEP_1) | instskip(NEXT) | instid1(SALU_CYCLE_1)
	s_and_saveexec_b32 s1, s0
	s_xor_b32 s0, exec_lo, s1
	s_cbranch_execz .LBB25_606
; %bb.605:                              ;   in Loop: Header=BB25_568 Depth=1
	v_add_f32_e64 v112, |v105|, |v105|
	s_delay_alu instid0(VALU_DEP_1) | instskip(SKIP_1) | instid1(VALU_DEP_2)
	v_mul_f32_e32 v113, 0x3fb8aa3b, v112
	v_cmp_ngt_f32_e32 vcc_lo, 0xc2ce8ed0, v112
	v_rndne_f32_e32 v114, v113
	v_fma_f32 v115, 0x3fb8aa3b, v112, -v113
	s_delay_alu instid0(VALU_DEP_2) | instskip(NEXT) | instid1(VALU_DEP_2)
	v_sub_f32_e32 v113, v113, v114
	v_fmac_f32_e32 v115, 0x32a5705f, v112
	v_cvt_i32_f32_e32 v114, v114
	s_delay_alu instid0(VALU_DEP_2) | instskip(NEXT) | instid1(VALU_DEP_1)
	v_add_f32_e32 v113, v113, v115
	v_exp_f32_e32 v113, v113
	s_waitcnt_depctr 0xfff
	v_ldexp_f32 v113, v113, v114
	s_delay_alu instid0(VALU_DEP_1) | instskip(SKIP_1) | instid1(VALU_DEP_2)
	v_cndmask_b32_e32 v113, 0, v113, vcc_lo
	v_cmp_nlt_f32_e32 vcc_lo, 0x42b17218, v112
	v_cndmask_b32_e32 v112, 0x7f800000, v113, vcc_lo
	s_delay_alu instid0(VALU_DEP_1) | instskip(NEXT) | instid1(VALU_DEP_1)
	v_add_f32_e32 v112, 1.0, v112
	v_rcp_f32_e32 v112, v112
	s_waitcnt_depctr 0xfff
	v_fma_f32 v118, v112, -2.0, 1.0
.LBB25_606:                             ;   in Loop: Header=BB25_568 Depth=1
	s_and_not1_saveexec_b32 s0, s0
; %bb.607:                              ;   in Loop: Header=BB25_568 Depth=1
	v_mul_f32_e32 v112, v105, v105
	s_delay_alu instid0(VALU_DEP_1) | instskip(NEXT) | instid1(VALU_DEP_1)
	v_fmaak_f32 v113, s8, v112, 0x3ca908c9
	v_fmaak_f32 v113, v112, v113, 0xbd5c1c4e
	s_delay_alu instid0(VALU_DEP_1) | instskip(NEXT) | instid1(VALU_DEP_1)
	v_fmaak_f32 v113, v112, v113, 0x3e088382
	v_fmaak_f32 v113, v112, v113, 0xbeaaaa99
	s_delay_alu instid0(VALU_DEP_1) | instskip(NEXT) | instid1(VALU_DEP_1)
	v_mul_f32_e64 v113, |v105|, v113
	v_fma_f32 v118, v112, v113, |v105|
; %bb.608:                              ;   in Loop: Header=BB25_568 Depth=1
	s_or_b32 exec_lo, exec_lo, s0
	v_cmp_ngt_f32_e64 s0, 0x3f200000, |v106|
                                        ; implicit-def: $vgpr117
	s_delay_alu instid0(VALU_DEP_1) | instskip(NEXT) | instid1(SALU_CYCLE_1)
	s_and_saveexec_b32 s1, s0
	s_xor_b32 s0, exec_lo, s1
	s_cbranch_execz .LBB25_610
; %bb.609:                              ;   in Loop: Header=BB25_568 Depth=1
	v_add_f32_e64 v112, |v106|, |v106|
	s_delay_alu instid0(VALU_DEP_1) | instskip(SKIP_1) | instid1(VALU_DEP_2)
	v_mul_f32_e32 v113, 0x3fb8aa3b, v112
	v_cmp_ngt_f32_e32 vcc_lo, 0xc2ce8ed0, v112
	v_rndne_f32_e32 v114, v113
	v_fma_f32 v115, 0x3fb8aa3b, v112, -v113
	s_delay_alu instid0(VALU_DEP_2) | instskip(NEXT) | instid1(VALU_DEP_2)
	v_sub_f32_e32 v113, v113, v114
	v_fmac_f32_e32 v115, 0x32a5705f, v112
	v_cvt_i32_f32_e32 v114, v114
	s_delay_alu instid0(VALU_DEP_2) | instskip(NEXT) | instid1(VALU_DEP_1)
	v_add_f32_e32 v113, v113, v115
	v_exp_f32_e32 v113, v113
	s_waitcnt_depctr 0xfff
	v_ldexp_f32 v113, v113, v114
	s_delay_alu instid0(VALU_DEP_1) | instskip(SKIP_1) | instid1(VALU_DEP_2)
	v_cndmask_b32_e32 v113, 0, v113, vcc_lo
	v_cmp_nlt_f32_e32 vcc_lo, 0x42b17218, v112
	v_cndmask_b32_e32 v112, 0x7f800000, v113, vcc_lo
	s_delay_alu instid0(VALU_DEP_1) | instskip(NEXT) | instid1(VALU_DEP_1)
	v_add_f32_e32 v112, 1.0, v112
	v_rcp_f32_e32 v112, v112
	s_waitcnt_depctr 0xfff
	v_fma_f32 v117, v112, -2.0, 1.0
.LBB25_610:                             ;   in Loop: Header=BB25_568 Depth=1
	s_and_not1_saveexec_b32 s0, s0
; %bb.611:                              ;   in Loop: Header=BB25_568 Depth=1
	v_mul_f32_e32 v112, v106, v106
	s_delay_alu instid0(VALU_DEP_1) | instskip(NEXT) | instid1(VALU_DEP_1)
	v_fmaak_f32 v113, s8, v112, 0x3ca908c9
	v_fmaak_f32 v113, v112, v113, 0xbd5c1c4e
	s_delay_alu instid0(VALU_DEP_1) | instskip(NEXT) | instid1(VALU_DEP_1)
	v_fmaak_f32 v113, v112, v113, 0x3e088382
	v_fmaak_f32 v113, v112, v113, 0xbeaaaa99
	s_delay_alu instid0(VALU_DEP_1) | instskip(NEXT) | instid1(VALU_DEP_1)
	v_mul_f32_e64 v113, |v106|, v113
	v_fma_f32 v117, v112, v113, |v106|
; %bb.612:                              ;   in Loop: Header=BB25_568 Depth=1
	s_or_b32 exec_lo, exec_lo, s0
	v_cmp_ngt_f32_e64 s0, 0x3f200000, |v107|
                                        ; implicit-def: $vgpr119
	s_delay_alu instid0(VALU_DEP_1) | instskip(NEXT) | instid1(SALU_CYCLE_1)
	s_and_saveexec_b32 s1, s0
	s_xor_b32 s0, exec_lo, s1
	s_cbranch_execz .LBB25_614
; %bb.613:                              ;   in Loop: Header=BB25_568 Depth=1
	v_add_f32_e64 v112, |v107|, |v107|
	s_delay_alu instid0(VALU_DEP_1) | instskip(SKIP_1) | instid1(VALU_DEP_2)
	v_mul_f32_e32 v113, 0x3fb8aa3b, v112
	v_cmp_ngt_f32_e32 vcc_lo, 0xc2ce8ed0, v112
	v_rndne_f32_e32 v114, v113
	v_fma_f32 v115, 0x3fb8aa3b, v112, -v113
	s_delay_alu instid0(VALU_DEP_2) | instskip(NEXT) | instid1(VALU_DEP_2)
	v_sub_f32_e32 v113, v113, v114
	v_fmac_f32_e32 v115, 0x32a5705f, v112
	v_cvt_i32_f32_e32 v114, v114
	s_delay_alu instid0(VALU_DEP_2) | instskip(NEXT) | instid1(VALU_DEP_1)
	v_add_f32_e32 v113, v113, v115
	v_exp_f32_e32 v113, v113
	s_waitcnt_depctr 0xfff
	v_ldexp_f32 v113, v113, v114
	s_delay_alu instid0(VALU_DEP_1) | instskip(SKIP_1) | instid1(VALU_DEP_2)
	v_cndmask_b32_e32 v113, 0, v113, vcc_lo
	v_cmp_nlt_f32_e32 vcc_lo, 0x42b17218, v112
	v_cndmask_b32_e32 v112, 0x7f800000, v113, vcc_lo
	s_delay_alu instid0(VALU_DEP_1) | instskip(NEXT) | instid1(VALU_DEP_1)
	v_add_f32_e32 v112, 1.0, v112
	v_rcp_f32_e32 v112, v112
	s_waitcnt_depctr 0xfff
	v_fma_f32 v119, v112, -2.0, 1.0
.LBB25_614:                             ;   in Loop: Header=BB25_568 Depth=1
	s_and_not1_saveexec_b32 s0, s0
; %bb.615:                              ;   in Loop: Header=BB25_568 Depth=1
	v_mul_f32_e32 v112, v107, v107
	s_delay_alu instid0(VALU_DEP_1) | instskip(NEXT) | instid1(VALU_DEP_1)
	v_fmaak_f32 v113, s8, v112, 0x3ca908c9
	v_fmaak_f32 v113, v112, v113, 0xbd5c1c4e
	s_delay_alu instid0(VALU_DEP_1) | instskip(NEXT) | instid1(VALU_DEP_1)
	v_fmaak_f32 v113, v112, v113, 0x3e088382
	v_fmaak_f32 v113, v112, v113, 0xbeaaaa99
	s_delay_alu instid0(VALU_DEP_1) | instskip(NEXT) | instid1(VALU_DEP_1)
	v_mul_f32_e64 v113, |v107|, v113
	v_fma_f32 v119, v112, v113, |v107|
; %bb.616:                              ;   in Loop: Header=BB25_568 Depth=1
	s_or_b32 exec_lo, exec_lo, s0
	v_cmp_ngt_f32_e64 s0, 0x3f200000, |v108|
                                        ; implicit-def: $vgpr120
	s_delay_alu instid0(VALU_DEP_1) | instskip(NEXT) | instid1(SALU_CYCLE_1)
	s_and_saveexec_b32 s1, s0
	s_xor_b32 s0, exec_lo, s1
	s_cbranch_execz .LBB25_618
; %bb.617:                              ;   in Loop: Header=BB25_568 Depth=1
	v_add_f32_e64 v112, |v108|, |v108|
	s_delay_alu instid0(VALU_DEP_1) | instskip(SKIP_1) | instid1(VALU_DEP_2)
	v_mul_f32_e32 v113, 0x3fb8aa3b, v112
	v_cmp_ngt_f32_e32 vcc_lo, 0xc2ce8ed0, v112
	v_rndne_f32_e32 v114, v113
	v_fma_f32 v115, 0x3fb8aa3b, v112, -v113
	s_delay_alu instid0(VALU_DEP_2) | instskip(NEXT) | instid1(VALU_DEP_2)
	v_sub_f32_e32 v113, v113, v114
	v_fmac_f32_e32 v115, 0x32a5705f, v112
	v_cvt_i32_f32_e32 v114, v114
	s_delay_alu instid0(VALU_DEP_2) | instskip(NEXT) | instid1(VALU_DEP_1)
	v_add_f32_e32 v113, v113, v115
	v_exp_f32_e32 v113, v113
	s_waitcnt_depctr 0xfff
	v_ldexp_f32 v113, v113, v114
	s_delay_alu instid0(VALU_DEP_1) | instskip(SKIP_1) | instid1(VALU_DEP_2)
	v_cndmask_b32_e32 v113, 0, v113, vcc_lo
	v_cmp_nlt_f32_e32 vcc_lo, 0x42b17218, v112
	v_cndmask_b32_e32 v112, 0x7f800000, v113, vcc_lo
	s_delay_alu instid0(VALU_DEP_1) | instskip(NEXT) | instid1(VALU_DEP_1)
	v_add_f32_e32 v112, 1.0, v112
	v_rcp_f32_e32 v112, v112
	s_waitcnt_depctr 0xfff
	v_fma_f32 v120, v112, -2.0, 1.0
.LBB25_618:                             ;   in Loop: Header=BB25_568 Depth=1
	s_and_not1_saveexec_b32 s0, s0
; %bb.619:                              ;   in Loop: Header=BB25_568 Depth=1
	v_mul_f32_e32 v112, v108, v108
	s_delay_alu instid0(VALU_DEP_1) | instskip(NEXT) | instid1(VALU_DEP_1)
	v_fmaak_f32 v113, s8, v112, 0x3ca908c9
	v_fmaak_f32 v113, v112, v113, 0xbd5c1c4e
	s_delay_alu instid0(VALU_DEP_1) | instskip(NEXT) | instid1(VALU_DEP_1)
	v_fmaak_f32 v113, v112, v113, 0x3e088382
	v_fmaak_f32 v113, v112, v113, 0xbeaaaa99
	s_delay_alu instid0(VALU_DEP_1) | instskip(NEXT) | instid1(VALU_DEP_1)
	v_mul_f32_e64 v113, |v108|, v113
	v_fma_f32 v120, v112, v113, |v108|
; %bb.620:                              ;   in Loop: Header=BB25_568 Depth=1
	s_or_b32 exec_lo, exec_lo, s0
	v_cmp_ngt_f32_e64 s0, 0x3f200000, |v109|
                                        ; implicit-def: $vgpr121
	s_delay_alu instid0(VALU_DEP_1) | instskip(NEXT) | instid1(SALU_CYCLE_1)
	s_and_saveexec_b32 s1, s0
	s_xor_b32 s0, exec_lo, s1
	s_cbranch_execz .LBB25_622
; %bb.621:                              ;   in Loop: Header=BB25_568 Depth=1
	v_add_f32_e64 v112, |v109|, |v109|
	s_delay_alu instid0(VALU_DEP_1) | instskip(SKIP_1) | instid1(VALU_DEP_2)
	v_mul_f32_e32 v113, 0x3fb8aa3b, v112
	v_cmp_ngt_f32_e32 vcc_lo, 0xc2ce8ed0, v112
	v_rndne_f32_e32 v114, v113
	v_fma_f32 v115, 0x3fb8aa3b, v112, -v113
	s_delay_alu instid0(VALU_DEP_2) | instskip(NEXT) | instid1(VALU_DEP_2)
	v_sub_f32_e32 v113, v113, v114
	v_fmac_f32_e32 v115, 0x32a5705f, v112
	v_cvt_i32_f32_e32 v114, v114
	s_delay_alu instid0(VALU_DEP_2) | instskip(NEXT) | instid1(VALU_DEP_1)
	v_add_f32_e32 v113, v113, v115
	v_exp_f32_e32 v113, v113
	s_waitcnt_depctr 0xfff
	v_ldexp_f32 v113, v113, v114
	s_delay_alu instid0(VALU_DEP_1) | instskip(SKIP_1) | instid1(VALU_DEP_2)
	v_cndmask_b32_e32 v113, 0, v113, vcc_lo
	v_cmp_nlt_f32_e32 vcc_lo, 0x42b17218, v112
	v_cndmask_b32_e32 v112, 0x7f800000, v113, vcc_lo
	s_delay_alu instid0(VALU_DEP_1) | instskip(NEXT) | instid1(VALU_DEP_1)
	v_add_f32_e32 v112, 1.0, v112
	v_rcp_f32_e32 v112, v112
	s_waitcnt_depctr 0xfff
	v_fma_f32 v121, v112, -2.0, 1.0
.LBB25_622:                             ;   in Loop: Header=BB25_568 Depth=1
	s_and_not1_saveexec_b32 s0, s0
; %bb.623:                              ;   in Loop: Header=BB25_568 Depth=1
	v_mul_f32_e32 v112, v109, v109
	s_delay_alu instid0(VALU_DEP_1) | instskip(NEXT) | instid1(VALU_DEP_1)
	v_fmaak_f32 v113, s8, v112, 0x3ca908c9
	v_fmaak_f32 v113, v112, v113, 0xbd5c1c4e
	s_delay_alu instid0(VALU_DEP_1) | instskip(NEXT) | instid1(VALU_DEP_1)
	v_fmaak_f32 v113, v112, v113, 0x3e088382
	v_fmaak_f32 v113, v112, v113, 0xbeaaaa99
	s_delay_alu instid0(VALU_DEP_1) | instskip(NEXT) | instid1(VALU_DEP_1)
	v_mul_f32_e64 v113, |v109|, v113
	v_fma_f32 v121, v112, v113, |v109|
; %bb.624:                              ;   in Loop: Header=BB25_568 Depth=1
	s_or_b32 exec_lo, exec_lo, s0
	v_cmp_ngt_f32_e64 s0, 0x3f200000, |v110|
                                        ; implicit-def: $vgpr122
	s_delay_alu instid0(VALU_DEP_1) | instskip(NEXT) | instid1(SALU_CYCLE_1)
	s_and_saveexec_b32 s1, s0
	s_xor_b32 s0, exec_lo, s1
	s_cbranch_execz .LBB25_626
; %bb.625:                              ;   in Loop: Header=BB25_568 Depth=1
	v_add_f32_e64 v112, |v110|, |v110|
	s_delay_alu instid0(VALU_DEP_1) | instskip(SKIP_1) | instid1(VALU_DEP_2)
	v_mul_f32_e32 v113, 0x3fb8aa3b, v112
	v_cmp_ngt_f32_e32 vcc_lo, 0xc2ce8ed0, v112
	v_rndne_f32_e32 v114, v113
	v_fma_f32 v115, 0x3fb8aa3b, v112, -v113
	s_delay_alu instid0(VALU_DEP_2) | instskip(NEXT) | instid1(VALU_DEP_2)
	v_sub_f32_e32 v113, v113, v114
	v_fmac_f32_e32 v115, 0x32a5705f, v112
	v_cvt_i32_f32_e32 v114, v114
	s_delay_alu instid0(VALU_DEP_2) | instskip(NEXT) | instid1(VALU_DEP_1)
	v_add_f32_e32 v113, v113, v115
	v_exp_f32_e32 v113, v113
	s_waitcnt_depctr 0xfff
	v_ldexp_f32 v113, v113, v114
	s_delay_alu instid0(VALU_DEP_1) | instskip(SKIP_1) | instid1(VALU_DEP_2)
	v_cndmask_b32_e32 v113, 0, v113, vcc_lo
	v_cmp_nlt_f32_e32 vcc_lo, 0x42b17218, v112
	v_cndmask_b32_e32 v112, 0x7f800000, v113, vcc_lo
	s_delay_alu instid0(VALU_DEP_1) | instskip(NEXT) | instid1(VALU_DEP_1)
	v_add_f32_e32 v112, 1.0, v112
	v_rcp_f32_e32 v112, v112
	s_waitcnt_depctr 0xfff
	v_fma_f32 v122, v112, -2.0, 1.0
.LBB25_626:                             ;   in Loop: Header=BB25_568 Depth=1
	s_and_not1_saveexec_b32 s0, s0
; %bb.627:                              ;   in Loop: Header=BB25_568 Depth=1
	v_mul_f32_e32 v112, v110, v110
	s_delay_alu instid0(VALU_DEP_1) | instskip(NEXT) | instid1(VALU_DEP_1)
	v_fmaak_f32 v113, s8, v112, 0x3ca908c9
	v_fmaak_f32 v113, v112, v113, 0xbd5c1c4e
	s_delay_alu instid0(VALU_DEP_1) | instskip(NEXT) | instid1(VALU_DEP_1)
	v_fmaak_f32 v113, v112, v113, 0x3e088382
	v_fmaak_f32 v113, v112, v113, 0xbeaaaa99
	s_delay_alu instid0(VALU_DEP_1) | instskip(NEXT) | instid1(VALU_DEP_1)
	v_mul_f32_e64 v113, |v110|, v113
	v_fma_f32 v122, v112, v113, |v110|
; %bb.628:                              ;   in Loop: Header=BB25_568 Depth=1
	s_or_b32 exec_lo, exec_lo, s0
	v_cmp_ngt_f32_e64 s0, 0x3f200000, |v111|
                                        ; implicit-def: $vgpr123
	s_delay_alu instid0(VALU_DEP_1) | instskip(NEXT) | instid1(SALU_CYCLE_1)
	s_and_saveexec_b32 s1, s0
	s_xor_b32 s0, exec_lo, s1
	s_cbranch_execz .LBB25_630
; %bb.629:                              ;   in Loop: Header=BB25_568 Depth=1
	v_add_f32_e64 v112, |v111|, |v111|
	s_delay_alu instid0(VALU_DEP_1) | instskip(SKIP_1) | instid1(VALU_DEP_2)
	v_mul_f32_e32 v113, 0x3fb8aa3b, v112
	v_cmp_ngt_f32_e32 vcc_lo, 0xc2ce8ed0, v112
	v_rndne_f32_e32 v114, v113
	v_fma_f32 v115, 0x3fb8aa3b, v112, -v113
	s_delay_alu instid0(VALU_DEP_2) | instskip(NEXT) | instid1(VALU_DEP_2)
	v_sub_f32_e32 v113, v113, v114
	v_fmac_f32_e32 v115, 0x32a5705f, v112
	v_cvt_i32_f32_e32 v114, v114
	s_delay_alu instid0(VALU_DEP_2) | instskip(NEXT) | instid1(VALU_DEP_1)
	v_add_f32_e32 v113, v113, v115
	v_exp_f32_e32 v113, v113
	s_waitcnt_depctr 0xfff
	v_ldexp_f32 v113, v113, v114
	s_delay_alu instid0(VALU_DEP_1) | instskip(SKIP_1) | instid1(VALU_DEP_2)
	v_cndmask_b32_e32 v113, 0, v113, vcc_lo
	v_cmp_nlt_f32_e32 vcc_lo, 0x42b17218, v112
	v_cndmask_b32_e32 v112, 0x7f800000, v113, vcc_lo
	s_delay_alu instid0(VALU_DEP_1) | instskip(NEXT) | instid1(VALU_DEP_1)
	v_add_f32_e32 v112, 1.0, v112
	v_rcp_f32_e32 v112, v112
	s_waitcnt_depctr 0xfff
	v_fma_f32 v123, v112, -2.0, 1.0
.LBB25_630:                             ;   in Loop: Header=BB25_568 Depth=1
	s_and_not1_saveexec_b32 s0, s0
; %bb.631:                              ;   in Loop: Header=BB25_568 Depth=1
	v_mul_f32_e32 v112, v111, v111
	s_delay_alu instid0(VALU_DEP_1) | instskip(NEXT) | instid1(VALU_DEP_1)
	v_fmaak_f32 v113, s8, v112, 0x3ca908c9
	v_fmaak_f32 v113, v112, v113, 0xbd5c1c4e
	s_delay_alu instid0(VALU_DEP_1) | instskip(NEXT) | instid1(VALU_DEP_1)
	v_fmaak_f32 v113, v112, v113, 0x3e088382
	v_fmaak_f32 v113, v112, v113, 0xbeaaaa99
	s_delay_alu instid0(VALU_DEP_1) | instskip(NEXT) | instid1(VALU_DEP_1)
	v_mul_f32_e64 v113, |v111|, v113
	v_fma_f32 v123, v112, v113, |v111|
; %bb.632:                              ;   in Loop: Header=BB25_568 Depth=1
	s_or_b32 exec_lo, exec_lo, s0
	s_mul_hi_i32 s1, s6, s10
	s_mul_i32 s0, s6, s10
	v_bfi_b32 v112, 0x7fffffff, v227, v96
	s_lshl_b64 s[0:1], s[0:1], 2
	v_bfi_b32 v96, 0x7fffffff, v116, v104
	s_add_u32 s0, s11, s0
	v_bfi_b32 v104, 0x7fffffff, v120, v108
	s_addc_u32 s1, s13, s1
	v_add_co_u32 v108, vcc_lo, s0, v186
	v_bfi_b32 v113, 0x7fffffff, v242, v97
	v_bfi_b32 v97, 0x7fffffff, v118, v105
	;; [unrolled: 1-line block ×3, first 2 shown]
	v_add_co_ci_u32_e32 v109, vcc_lo, s1, v187, vcc_lo
	v_add_co_u32 v108, vcc_lo, v108, v238
	v_bfi_b32 v115, 0x7fffffff, v245, v99
	s_delay_alu instid0(VALU_DEP_3)
	v_add_co_ci_u32_e32 v109, vcc_lo, 0, v109, vcc_lo
	v_bfi_b32 v99, 0x7fffffff, v246, v100
	v_bfi_b32 v100, 0x7fffffff, v217, v101
	;; [unrolled: 1-line block ×4, first 2 shown]
	v_add_co_u32 v110, vcc_lo, s0, v188
	v_bfi_b32 v114, 0x7fffffff, v244, v98
	v_bfi_b32 v98, 0x7fffffff, v233, v102
	;; [unrolled: 1-line block ×4, first 2 shown]
	v_add_co_ci_u32_e32 v111, vcc_lo, s1, v189, vcc_lo
	v_add_co_u32 v116, vcc_lo, v110, v238
	ds_load_u16 v120, v219 offset:17408
	ds_load_u16 v121, v219 offset:17412
	;; [unrolled: 1-line block ×16, first 2 shown]
	v_add_co_ci_u32_e32 v117, vcc_lo, 0, v111, vcc_lo
	s_clause 0x1
	global_load_b128 v[108:111], v[108:109], off
	global_load_b128 v[116:119], v[116:117], off
	v_bfi_b32 v103, 0x7fffffff, v235, v103
	v_cmp_eq_u32_e64 s2, 1, v215
	v_add_nc_u32_e32 v148, 0x400, v223
	v_add_nc_u32_e32 v146, 0x800, v223
	s_add_i32 s102, s102, 1
	s_add_i32 s6, s6, 64
	s_waitcnt lgkmcnt(8)
	v_fma_mix_f32 v103, v103, s33, v127 op_sel_hi:[0,0,1]
	s_waitcnt lgkmcnt(7)
	v_fma_mix_f32 v143, v96, s33, v128 op_sel_hi:[0,0,1]
	;; [unrolled: 2-line block ×6, first 2 shown]
	v_add_f32_e32 v96, 0x40051340, v143
	s_waitcnt lgkmcnt(2)
	v_fma_mix_f32 v139, v105, s33, v133 op_sel_hi:[0,0,1]
	s_waitcnt lgkmcnt(1)
	v_fma_mix_f32 v138, v106, s33, v134 op_sel_hi:[0,0,1]
	;; [unrolled: 2-line block ×3, first 2 shown]
	s_waitcnt vmcnt(1)
	ds_store_b128 v250, v[108:111]
	s_waitcnt vmcnt(0)
	ds_store_b128 v243, v[116:119]
	v_add_co_u32 v108, vcc_lo, s0, v247
	v_add_co_ci_u32_e32 v109, vcc_lo, s1, v248, vcc_lo
	v_add_f32_e32 v97, 0x40051340, v144
	s_delay_alu instid0(VALU_DEP_3) | instskip(NEXT) | instid1(VALU_DEP_3)
	v_add_co_u32 v108, vcc_lo, v108, v238
	v_add_co_ci_u32_e32 v109, vcc_lo, 0, v109, vcc_lo
	v_add_co_u32 v110, vcc_lo, s0, v251
	v_add_co_ci_u32_e32 v111, vcc_lo, s1, v252, vcc_lo
	v_add_nc_u32_e32 v147, 0xc00, v223
	s_delay_alu instid0(VALU_DEP_3) | instskip(NEXT) | instid1(VALU_DEP_3)
	v_add_co_u32 v116, vcc_lo, v110, v238
	v_add_co_ci_u32_e32 v117, vcc_lo, 0, v111, vcc_lo
	s_clause 0x1
	global_load_b128 v[108:111], v[108:109], off
	global_load_b128 v[116:119], v[116:117], off
	s_waitcnt vmcnt(1)
	ds_store_b128 v240, v[108:111]
	s_waitcnt vmcnt(0)
	ds_store_b128 v253, v[116:119]
	v_add_co_u32 v108, vcc_lo, s0, v206
	v_add_co_ci_u32_e32 v109, vcc_lo, s1, v207, vcc_lo
	s_delay_alu instid0(VALU_DEP_2) | instskip(NEXT) | instid1(VALU_DEP_2)
	v_add_co_u32 v108, vcc_lo, v108, v238
	v_add_co_ci_u32_e32 v109, vcc_lo, 0, v109, vcc_lo
	v_add_co_u32 v110, vcc_lo, s0, v208
	v_add_co_ci_u32_e32 v111, vcc_lo, s1, v209, vcc_lo
	s_delay_alu instid0(VALU_DEP_2) | instskip(NEXT) | instid1(VALU_DEP_2)
	v_add_co_u32 v116, vcc_lo, v110, v238
	v_add_co_ci_u32_e32 v117, vcc_lo, 0, v111, vcc_lo
	s_clause 0x1
	global_load_b128 v[108:111], v[108:109], off
	global_load_b128 v[116:119], v[116:117], off
	s_waitcnt vmcnt(1)
	ds_store_b128 v254, v[108:111]
	s_waitcnt vmcnt(0)
	ds_store_b128 v218, v[116:119]
	v_add_co_u32 v108, vcc_lo, s0, v210
	v_add_co_ci_u32_e32 v109, vcc_lo, s1, v211, vcc_lo
	s_delay_alu instid0(VALU_DEP_2) | instskip(NEXT) | instid1(VALU_DEP_2)
	v_add_co_u32 v108, vcc_lo, v108, v238
	v_add_co_ci_u32_e32 v109, vcc_lo, 0, v109, vcc_lo
	v_add_co_u32 v110, vcc_lo, s0, v212
	v_add_co_ci_u32_e32 v111, vcc_lo, s1, v213, vcc_lo
	v_cmp_eq_u32_e64 s1, 0, v215
	s_delay_alu instid0(VALU_DEP_3) | instskip(NEXT) | instid1(VALU_DEP_3)
	v_add_co_u32 v116, vcc_lo, v110, v238
	v_add_co_ci_u32_e32 v117, vcc_lo, 0, v111, vcc_lo
	s_clause 0x1
	global_load_b128 v[108:111], v[108:109], off
	global_load_b128 v[116:119], v[116:117], off
	s_waitcnt vmcnt(1)
	ds_store_b128 v230, v[108:111]
	s_waitcnt vmcnt(0)
	ds_store_b128 v214, v[116:119]
	v_fma_mix_f32 v108, v112, s33, v120 op_sel_hi:[0,0,1]
	v_fma_mix_f32 v109, v113, s33, v121 op_sel_hi:[0,0,1]
	;; [unrolled: 1-line block ×4, first 2 shown]
	s_waitcnt lgkmcnt(0)
	s_delay_alu instid0(VALU_DEP_3) | instskip(SKIP_1) | instid1(VALU_DEP_2)
	v_dual_add_f32 v112, 0x40051340, v108 :: v_dual_add_f32 v113, 0x40051340, v109
	s_barrier
	v_add_f32_e32 v114, 0x40051340, v111
	buffer_gl0_inv
	v_max3_f32 v112, v228, v112, v113
	v_add_f32_e32 v113, 0x40051340, v110
	s_delay_alu instid0(VALU_DEP_1) | instskip(SKIP_2) | instid1(VALU_DEP_1)
	v_max3_f32 v112, v112, v113, v114
	v_fma_mix_f32 v113, v99, s33, v124 op_sel_hi:[0,0,1]
	v_fma_mix_f32 v114, v100, s33, v125 op_sel_hi:[0,0,1]
	v_dual_add_f32 v99, 0x40051340, v113 :: v_dual_add_f32 v100, 0x40051340, v114
	s_delay_alu instid0(VALU_DEP_1) | instskip(SKIP_2) | instid1(VALU_DEP_2)
	v_max3_f32 v99, v112, v99, v100
	v_fma_mix_f32 v112, v98, s33, v126 op_sel_hi:[0,0,1]
	v_add_f32_e32 v100, 0x40051340, v103
	v_add_f32_e32 v98, 0x40051340, v112
	s_delay_alu instid0(VALU_DEP_1) | instskip(NEXT) | instid1(VALU_DEP_1)
	v_max3_f32 v98, v99, v98, v100
	v_max3_f32 v96, v98, v96, v97
	v_dual_add_f32 v97, 0x40051340, v142 :: v_dual_add_f32 v98, 0x40051340, v141
	s_delay_alu instid0(VALU_DEP_1) | instskip(SKIP_1) | instid1(VALU_DEP_1)
	v_max3_f32 v96, v96, v97, v98
	v_dual_add_f32 v97, 0x40051340, v140 :: v_dual_add_f32 v98, 0x40051340, v139
	v_max3_f32 v96, v96, v97, v98
	v_dual_add_f32 v97, 0x40051340, v138 :: v_dual_add_f32 v98, 0x40051340, v136
	s_delay_alu instid0(VALU_DEP_1) | instskip(SKIP_3) | instid1(VALU_DEP_1)
	v_max3_f32 v96, v96, v97, v98
	ds_bpermute_b32 v97, v221, v96
	s_waitcnt lgkmcnt(0)
	v_max_f32_e32 v97, v97, v97
	v_max_f32_e32 v227, v96, v97
	s_delay_alu instid0(VALU_DEP_1) | instskip(SKIP_1) | instid1(VALU_DEP_2)
	v_sub_f32_e32 v96, v109, v227
	v_sub_f32_e32 v103, v103, v227
	v_mul_f32_e32 v97, 0x3fb8aa3b, v96
	s_delay_alu instid0(VALU_DEP_1) | instskip(SKIP_1) | instid1(VALU_DEP_1)
	v_fma_f32 v98, 0x3fb8aa3b, v96, -v97
	v_rndne_f32_e32 v99, v97
	v_dual_fmac_f32 v98, 0x32a5705f, v96 :: v_dual_sub_f32 v97, v97, v99
	v_cvt_i32_f32_e32 v99, v99
	s_delay_alu instid0(VALU_DEP_2) | instskip(NEXT) | instid1(VALU_DEP_1)
	v_dual_add_f32 v97, v97, v98 :: v_dual_sub_f32 v98, v108, v227
	v_mul_f32_e32 v100, 0x3fb8aa3b, v98
	v_cmp_ngt_f32_e64 s0, 0xc2ce8ed0, v98
	s_delay_alu instid0(VALU_DEP_2) | instskip(SKIP_1) | instid1(VALU_DEP_2)
	v_fma_f32 v101, 0x3fb8aa3b, v98, -v100
	v_rndne_f32_e32 v102, v100
	v_fmac_f32_e32 v101, 0x32a5705f, v98
	s_delay_alu instid0(VALU_DEP_2) | instskip(SKIP_1) | instid1(VALU_DEP_2)
	v_sub_f32_e32 v100, v100, v102
	v_cmp_ngt_f32_e32 vcc_lo, 0xc2ce8ed0, v96
	v_add_f32_e32 v100, v100, v101
	v_exp_f32_e32 v97, v97
	s_waitcnt_depctr 0xfff
	v_ldexp_f32 v97, v97, v99
	v_exp_f32_e32 v99, v100
	v_cvt_i32_f32_e32 v100, v102
	s_delay_alu instid0(VALU_DEP_2) | instskip(SKIP_1) | instid1(VALU_DEP_2)
	v_cndmask_b32_e32 v97, 0, v97, vcc_lo
	v_cmp_nlt_f32_e32 vcc_lo, 0x42b17218, v96
	v_cndmask_b32_e32 v129, 0x7f800000, v97, vcc_lo
	s_waitcnt_depctr 0xfff
	v_ldexp_f32 v99, v99, v100
	v_cmp_eq_u32_e32 vcc_lo, 1, v222
	s_delay_alu instid0(VALU_DEP_2)
	v_cndmask_b32_e64 v96, 0, v99, s0
	v_cmp_nlt_f32_e64 s0, 0x42b17218, v98
	ds_bpermute_b32 v98, v221, v129
	v_cndmask_b32_e64 v128, 0x7f800000, v96, s0
	v_cmp_eq_u32_e64 s0, 0, v222
	ds_bpermute_b32 v96, v221, v128
	s_waitcnt lgkmcnt(0)
	v_cndmask_b32_e64 v97, v128, v96, s0
	v_cndmask_b32_e32 v96, v128, v96, vcc_lo
	s_delay_alu instid0(VALU_DEP_2) | instskip(NEXT) | instid1(VALU_DEP_2)
	v_cndmask_b32_e64 v99, v97, v129, s1
	v_cndmask_b32_e64 v100, v96, v129, s2
	v_cvt_f16_f32_e32 v97, v97
	v_cvt_f16_f32_e32 v96, v96
	s_delay_alu instid0(VALU_DEP_4) | instskip(NEXT) | instid1(VALU_DEP_4)
	v_cndmask_b32_e64 v99, v99, v98, s0
	v_cndmask_b32_e32 v98, v100, v98, vcc_lo
	s_delay_alu instid0(VALU_DEP_3) | instskip(NEXT) | instid1(VALU_DEP_3)
	v_pack_b32_f16 v96, v97, v96
	v_cvt_f16_f32_e32 v100, v99
	s_delay_alu instid0(VALU_DEP_3) | instskip(NEXT) | instid1(VALU_DEP_1)
	v_cvt_f16_f32_e32 v101, v98
	v_pack_b32_f16 v97, v100, v101
	v_sub_f32_e32 v100, v110, v227
	s_delay_alu instid0(VALU_DEP_1) | instskip(NEXT) | instid1(VALU_DEP_1)
	v_mul_f32_e32 v101, 0x3fb8aa3b, v100
	v_fma_f32 v102, 0x3fb8aa3b, v100, -v101
	v_rndne_f32_e32 v104, v101
	s_delay_alu instid0(VALU_DEP_1) | instskip(NEXT) | instid1(VALU_DEP_3)
	v_sub_f32_e32 v101, v101, v104
	v_fmac_f32_e32 v102, 0x32a5705f, v100
	v_cmp_ngt_f32_e64 s3, 0xc2ce8ed0, v100
	s_delay_alu instid0(VALU_DEP_2) | instskip(SKIP_1) | instid1(VALU_DEP_2)
	v_add_f32_e32 v101, v101, v102
	v_cvt_i32_f32_e32 v102, v104
	v_exp_f32_e32 v101, v101
	s_waitcnt_depctr 0xfff
	v_ldexp_f32 v101, v101, v102
	s_delay_alu instid0(VALU_DEP_1) | instskip(SKIP_1) | instid1(VALU_DEP_1)
	v_cndmask_b32_e64 v101, 0, v101, s3
	v_cmp_nlt_f32_e64 s3, 0x42b17218, v100
	v_cndmask_b32_e64 v130, 0x7f800000, v101, s3
	ds_bpermute_b32 v100, v221, v130
	v_cndmask_b32_e64 v99, v99, v130, s1
	v_cndmask_b32_e64 v98, v98, v130, s2
	s_waitcnt lgkmcnt(0)
	s_delay_alu instid0(VALU_DEP_2) | instskip(NEXT) | instid1(VALU_DEP_2)
	v_cndmask_b32_e64 v99, v99, v100, s0
	v_cndmask_b32_e32 v100, v98, v100, vcc_lo
	s_delay_alu instid0(VALU_DEP_2) | instskip(NEXT) | instid1(VALU_DEP_2)
	v_cvt_f16_f32_e32 v98, v99
	v_cvt_f16_f32_e32 v101, v100
	s_delay_alu instid0(VALU_DEP_1) | instskip(SKIP_1) | instid1(VALU_DEP_1)
	v_pack_b32_f16 v98, v98, v101
	v_sub_f32_e32 v101, v111, v227
	v_mul_f32_e32 v102, 0x3fb8aa3b, v101
	v_cmp_ngt_f32_e64 s3, 0xc2ce8ed0, v101
	s_delay_alu instid0(VALU_DEP_2) | instskip(SKIP_1) | instid1(VALU_DEP_2)
	v_fma_f32 v104, 0x3fb8aa3b, v101, -v102
	v_rndne_f32_e32 v105, v102
	v_fmac_f32_e32 v104, 0x32a5705f, v101
	s_delay_alu instid0(VALU_DEP_2) | instskip(NEXT) | instid1(VALU_DEP_1)
	v_sub_f32_e32 v102, v102, v105
	v_add_f32_e32 v102, v102, v104
	v_cvt_i32_f32_e32 v104, v105
	s_delay_alu instid0(VALU_DEP_2) | instskip(SKIP_2) | instid1(VALU_DEP_1)
	v_exp_f32_e32 v102, v102
	s_waitcnt_depctr 0xfff
	v_ldexp_f32 v102, v102, v104
	v_cndmask_b32_e64 v102, 0, v102, s3
	v_cmp_nlt_f32_e64 s3, 0x42b17218, v101
	s_delay_alu instid0(VALU_DEP_1) | instskip(SKIP_4) | instid1(VALU_DEP_2)
	v_cndmask_b32_e64 v131, 0x7f800000, v102, s3
	ds_bpermute_b32 v101, v221, v131
	v_cndmask_b32_e64 v99, v99, v131, s1
	v_cndmask_b32_e64 v100, v100, v131, s2
	s_waitcnt lgkmcnt(0)
	v_cndmask_b32_e64 v102, v99, v101, s0
	s_delay_alu instid0(VALU_DEP_2) | instskip(NEXT) | instid1(VALU_DEP_2)
	v_cndmask_b32_e32 v100, v100, v101, vcc_lo
	v_cvt_f16_f32_e32 v99, v102
	s_delay_alu instid0(VALU_DEP_2) | instskip(NEXT) | instid1(VALU_DEP_1)
	v_cvt_f16_f32_e32 v101, v100
	v_pack_b32_f16 v99, v99, v101
	v_sub_f32_e32 v101, v113, v227
	s_delay_alu instid0(VALU_DEP_1) | instskip(SKIP_1) | instid1(VALU_DEP_2)
	v_mul_f32_e32 v104, 0x3fb8aa3b, v101
	v_cmp_ngt_f32_e64 s3, 0xc2ce8ed0, v101
	v_fma_f32 v105, 0x3fb8aa3b, v101, -v104
	v_rndne_f32_e32 v106, v104
	s_delay_alu instid0(VALU_DEP_1) | instskip(NEXT) | instid1(VALU_DEP_1)
	v_dual_fmac_f32 v105, 0x32a5705f, v101 :: v_dual_sub_f32 v104, v104, v106
	v_add_f32_e32 v104, v104, v105
	v_cvt_i32_f32_e32 v105, v106
	s_delay_alu instid0(VALU_DEP_2) | instskip(SKIP_2) | instid1(VALU_DEP_1)
	v_exp_f32_e32 v104, v104
	s_waitcnt_depctr 0xfff
	v_ldexp_f32 v104, v104, v105
	v_cndmask_b32_e64 v104, 0, v104, s3
	v_cmp_nlt_f32_e64 s3, 0x42b17218, v101
	s_delay_alu instid0(VALU_DEP_1) | instskip(NEXT) | instid1(VALU_DEP_1)
	v_cndmask_b32_e64 v132, 0x7f800000, v104, s3
	v_cndmask_b32_e64 v101, v102, v132, s1
	ds_bpermute_b32 v102, v221, v132
	v_cndmask_b32_e64 v100, v100, v132, s2
	s_waitcnt lgkmcnt(0)
	v_cndmask_b32_e64 v101, v101, v102, s0
	s_delay_alu instid0(VALU_DEP_2) | instskip(NEXT) | instid1(VALU_DEP_2)
	v_cndmask_b32_e32 v102, v100, v102, vcc_lo
	v_cvt_f16_f32_e32 v100, v101
	s_delay_alu instid0(VALU_DEP_2) | instskip(NEXT) | instid1(VALU_DEP_1)
	v_cvt_f16_f32_e32 v104, v102
	v_pack_b32_f16 v100, v100, v104
	v_sub_f32_e32 v104, v114, v227
	ds_load_2addr_b32 v[114:115], v223 offset1:16
	ds_load_2addr_b32 v[116:117], v223 offset0:68 offset1:84
	ds_load_2addr_b32 v[118:119], v223 offset0:136 offset1:152
	;; [unrolled: 1-line block ×4, first 2 shown]
	v_mul_f32_e32 v105, 0x3fb8aa3b, v104
	v_cmp_ngt_f32_e64 s3, 0xc2ce8ed0, v104
	s_delay_alu instid0(VALU_DEP_2) | instskip(SKIP_1) | instid1(VALU_DEP_1)
	v_fma_f32 v106, 0x3fb8aa3b, v104, -v105
	v_rndne_f32_e32 v107, v105
	v_dual_fmac_f32 v106, 0x32a5705f, v104 :: v_dual_sub_f32 v105, v105, v107
	s_waitcnt lgkmcnt(3)
	v_perm_b32 v149, v116, v114, 0x5040100
	s_delay_alu instid0(VALU_DEP_2)
	v_add_f32_e32 v105, v105, v106
	v_cvt_i32_f32_e32 v106, v107
	s_waitcnt lgkmcnt(1)
	v_perm_b32 v150, v120, v118, 0x5040100
	s_waitcnt lgkmcnt(0)
	v_perm_b32 v151, v158, v157, 0x5040100
	v_exp_f32_e32 v105, v105
	s_waitcnt_depctr 0xfff
	v_ldexp_f32 v105, v105, v106
	s_delay_alu instid0(VALU_DEP_1) | instskip(SKIP_1) | instid1(VALU_DEP_1)
	v_cndmask_b32_e64 v105, 0, v105, s3
	v_cmp_nlt_f32_e64 s3, 0x42b17218, v104
	v_cndmask_b32_e64 v133, 0x7f800000, v105, s3
	ds_bpermute_b32 v104, v221, v133
	v_cndmask_b32_e64 v101, v101, v133, s1
	v_cndmask_b32_e64 v102, v102, v133, s2
	s_waitcnt lgkmcnt(0)
	s_delay_alu instid0(VALU_DEP_2) | instskip(NEXT) | instid1(VALU_DEP_2)
	v_cndmask_b32_e64 v105, v101, v104, s0
	v_cndmask_b32_e32 v102, v102, v104, vcc_lo
	s_delay_alu instid0(VALU_DEP_2) | instskip(NEXT) | instid1(VALU_DEP_2)
	v_cvt_f16_f32_e32 v101, v105
	v_cvt_f16_f32_e32 v104, v102
	s_delay_alu instid0(VALU_DEP_1) | instskip(SKIP_1) | instid1(VALU_DEP_1)
	v_pack_b32_f16 v101, v101, v104
	v_sub_f32_e32 v104, v112, v227
	v_mul_f32_e32 v106, 0x3fb8aa3b, v104
	v_cmp_ngt_f32_e64 s3, 0xc2ce8ed0, v104
	s_delay_alu instid0(VALU_DEP_2) | instskip(SKIP_1) | instid1(VALU_DEP_2)
	v_fma_f32 v107, 0x3fb8aa3b, v104, -v106
	v_rndne_f32_e32 v108, v106
	v_fmac_f32_e32 v107, 0x32a5705f, v104
	s_delay_alu instid0(VALU_DEP_2) | instskip(NEXT) | instid1(VALU_DEP_1)
	v_sub_f32_e32 v106, v106, v108
	v_add_f32_e32 v106, v106, v107
	v_cvt_i32_f32_e32 v107, v108
	s_delay_alu instid0(VALU_DEP_2) | instskip(SKIP_2) | instid1(VALU_DEP_1)
	v_exp_f32_e32 v106, v106
	s_waitcnt_depctr 0xfff
	v_ldexp_f32 v106, v106, v107
	v_cndmask_b32_e64 v106, 0, v106, s3
	v_cmp_nlt_f32_e64 s3, 0x42b17218, v104
	s_delay_alu instid0(VALU_DEP_1) | instskip(SKIP_1) | instid1(VALU_DEP_2)
	v_cndmask_b32_e64 v134, 0x7f800000, v106, s3
	v_cmp_ngt_f32_e64 s3, 0xc2ce8ed0, v103
	v_cndmask_b32_e64 v104, v105, v134, s1
	ds_bpermute_b32 v105, v221, v134
	v_cndmask_b32_e64 v102, v102, v134, s2
	s_waitcnt lgkmcnt(0)
	v_cndmask_b32_e64 v104, v104, v105, s0
	s_delay_alu instid0(VALU_DEP_2) | instskip(NEXT) | instid1(VALU_DEP_2)
	v_cndmask_b32_e32 v105, v102, v105, vcc_lo
	v_cvt_f16_f32_e32 v102, v104
	s_delay_alu instid0(VALU_DEP_2) | instskip(NEXT) | instid1(VALU_DEP_1)
	v_cvt_f16_f32_e32 v106, v105
	v_pack_b32_f16 v102, v102, v106
	v_mul_f32_e32 v106, 0x3fb8aa3b, v103
	s_delay_alu instid0(VALU_DEP_1) | instskip(SKIP_1) | instid1(VALU_DEP_1)
	v_fma_f32 v107, 0x3fb8aa3b, v103, -v106
	v_rndne_f32_e32 v108, v106
	v_dual_fmac_f32 v107, 0x32a5705f, v103 :: v_dual_sub_f32 v106, v106, v108
	s_delay_alu instid0(VALU_DEP_1) | instskip(SKIP_1) | instid1(VALU_DEP_2)
	v_add_f32_e32 v106, v106, v107
	v_cvt_i32_f32_e32 v107, v108
	v_exp_f32_e32 v106, v106
	s_waitcnt_depctr 0xfff
	v_ldexp_f32 v106, v106, v107
	s_delay_alu instid0(VALU_DEP_1) | instskip(SKIP_1) | instid1(VALU_DEP_1)
	v_cndmask_b32_e64 v106, 0, v106, s3
	v_cmp_nlt_f32_e64 s3, 0x42b17218, v103
	v_cndmask_b32_e64 v135, 0x7f800000, v106, s3
	s_delay_alu instid0(VALU_DEP_1) | instskip(SKIP_3) | instid1(VALU_DEP_1)
	v_cndmask_b32_e64 v103, v105, v135, s2
	ds_bpermute_b32 v105, v221, v135
	v_cndmask_b32_e64 v104, v104, v135, s1
	s_waitcnt lgkmcnt(0)
	v_cndmask_b32_e64 v104, v104, v105, s0
	v_cndmask_b32_e32 v103, v103, v105, vcc_lo
	s_delay_alu instid0(VALU_DEP_2) | instskip(NEXT) | instid1(VALU_DEP_2)
	v_cvt_f16_f32_e32 v104, v104
	v_cvt_f16_f32_e32 v103, v103
	s_delay_alu instid0(VALU_DEP_1) | instskip(SKIP_1) | instid1(VALU_DEP_1)
	v_pack_b32_f16 v103, v104, v103
	v_sub_f32_e32 v104, v228, v227
	v_mul_f32_e32 v105, 0x3fb8aa3b, v104
	v_cmp_ngt_f32_e64 s3, 0xc2ce8ed0, v104
	s_delay_alu instid0(VALU_DEP_2) | instskip(SKIP_1) | instid1(VALU_DEP_1)
	v_fma_f32 v106, 0x3fb8aa3b, v104, -v105
	v_rndne_f32_e32 v107, v105
	v_dual_fmac_f32 v106, 0x32a5705f, v104 :: v_dual_sub_f32 v105, v105, v107
	s_delay_alu instid0(VALU_DEP_1) | instskip(SKIP_1) | instid1(VALU_DEP_2)
	v_add_f32_e32 v105, v105, v106
	v_cvt_i32_f32_e32 v106, v107
	v_exp_f32_e32 v105, v105
	s_waitcnt_depctr 0xfff
	v_ldexp_f32 v105, v105, v106
	s_delay_alu instid0(VALU_DEP_1) | instskip(SKIP_1) | instid1(VALU_DEP_1)
	v_cndmask_b32_e64 v105, 0, v105, s3
	v_cmp_nlt_f32_e64 s3, 0x42b17218, v104
	v_cndmask_b32_e64 v105, 0x7f800000, v105, s3
	v_cmp_le_f32_e64 s3, 0xc1a00000, v104
	s_delay_alu instid0(VALU_DEP_1)
	v_cndmask_b32_e64 v137, 0, v105, s3
	ds_load_2addr_b32 v[104:105], v148 offset0:132 offset1:152
	ds_load_2addr_b32 v[106:107], v148 offset0:200 offset1:220
	ds_load_2addr_b32 v[108:109], v146 offset0:12 offset1:32
	ds_load_2addr_b32 v[122:123], v146 offset0:100 offset1:116
	ds_load_2addr_b32 v[124:125], v146 offset0:168 offset1:184
	ds_load_2addr_b32 v[126:127], v146 offset0:236 offset1:252
	ds_load_2addr_b32 v[159:160], v147 offset0:48 offset1:116
	ds_load_2addr_b32 v[110:111], v147 offset0:164 offset1:184
	ds_load_2addr_b32 v[112:113], v147 offset0:232 offset1:252
	v_cvt_f16_f32_e64 v145, v137
	s_delay_alu instid0(VALU_DEP_1)
	v_pk_mul_f16 v16, v145, v16 op_sel_hi:[0,1]
	v_pk_mul_f16 v17, v145, v17 op_sel_hi:[0,1]
	;; [unrolled: 1-line block ×10, first 2 shown]
	s_waitcnt lgkmcnt(7)
	v_perm_b32 v152, v107, v105, 0x5040100
	s_waitcnt lgkmcnt(5)
	v_perm_b32 v153, v122, v109, 0x5040100
	;; [unrolled: 2-line block ×5, first 2 shown]
	v_pk_mul_f16 v26, v145, v26 op_sel_hi:[0,1]
	v_pk_mul_f16 v27, v145, v27 op_sel_hi:[0,1]
	;; [unrolled: 1-line block ×4, first 2 shown]
	v_wmma_f16_16x16x16_f16 v[16:23], v[149:156], v[96:103], v[16:23]
	v_perm_b32 v156, v113, v111, 0x7060302
	v_add_nc_u32_e32 v111, 0x1000, v223
	v_perm_b32 v151, v158, v157, 0x7060302
	v_perm_b32 v155, v160, v159, 0x7060302
	;; [unrolled: 1-line block ×4, first 2 shown]
	ds_load_b32 v105, v226 offset:2176
	ds_load_b32 v107, v226 offset:3264
	;; [unrolled: 1-line block ×4, first 2 shown]
	ds_load_2addr_b32 v[157:158], v148 offset0:100 offset1:116
	ds_load_2addr_b32 v[159:160], v148 offset0:168 offset1:184
	;; [unrolled: 1-line block ×6, first 2 shown]
	v_perm_b32 v149, v116, v114, 0x7060302
	v_perm_b32 v150, v120, v118, 0x7060302
	;; [unrolled: 1-line block ×3, first 2 shown]
	v_pk_mul_f16 v30, v145, v30 op_sel_hi:[0,1]
	v_pk_mul_f16 v31, v145, v31 op_sel_hi:[0,1]
	v_perm_b32 v113, v117, v115, 0x7060302
	v_perm_b32 v114, v121, v119, 0x7060302
	v_wmma_f16_16x16x16_f16 v[16:23], v[149:156], v[96:103], v[16:23] op_sel:[0,0,1]
	v_perm_b32 v149, v117, v115, 0x5040100
	v_perm_b32 v150, v121, v119, 0x5040100
	v_perm_b32 v154, v127, v125, 0x5040100
	v_perm_b32 v118, v127, v125, 0x7060302
	s_waitcnt lgkmcnt(9)
	v_perm_b32 v153, v123, v105, 0x5040100
	v_perm_b32 v117, v123, v105, 0x7060302
	v_pk_mul_f16 v8, v145, v8 op_sel_hi:[0,1]
	v_pk_mul_f16 v9, v145, v9 op_sel_hi:[0,1]
	s_waitcnt lgkmcnt(5)
	v_perm_b32 v151, v157, v109, 0x5040100
	s_waitcnt lgkmcnt(3)
	v_perm_b32 v152, v161, v159, 0x5040100
	;; [unrolled: 2-line block ×4, first 2 shown]
	v_perm_b32 v115, v157, v109, 0x7060302
	v_perm_b32 v119, v163, v107, 0x7060302
	;; [unrolled: 1-line block ×4, first 2 shown]
	v_wmma_f16_16x16x16_f16 v[24:31], v[149:156], v[96:103], v[24:31]
	ds_load_2addr_b32 v[121:122], v223 offset0:32 offset1:48
	ds_load_2addr_b32 v[123:124], v223 offset0:100 offset1:116
	;; [unrolled: 1-line block ×4, first 2 shown]
	ds_load_b32 v105, v231 offset:1088
	ds_load_b32 v107, v231 offset:2176
	;; [unrolled: 1-line block ×5, first 2 shown]
	ds_load_2addr_b32 v[150:151], v146 offset0:132 offset1:148
	ds_load_2addr_b32 v[152:153], v146 offset0:200 offset1:216
	;; [unrolled: 1-line block ×3, first 2 shown]
	v_wmma_f16_16x16x16_f16 v[24:31], v[113:120], v[96:103], v[24:31] op_sel:[0,0,1]
	v_pk_mul_f16 v10, v145, v10 op_sel_hi:[0,1]
	v_pk_mul_f16 v11, v145, v11 op_sel_hi:[0,1]
	;; [unrolled: 1-line block ×6, first 2 shown]
	v_perm_b32 v116, v162, v160, 0x5040100
	v_perm_b32 v120, v166, v168, 0x5040100
	v_pk_mul_f16 v0, v145, v0 op_sel_hi:[0,1]
	v_pk_mul_f16 v1, v145, v1 op_sel_hi:[0,1]
	;; [unrolled: 1-line block ×4, first 2 shown]
	s_waitcnt lgkmcnt(7)
	v_perm_b32 v115, v158, v105, 0x5040100
	v_perm_b32 v113, v123, v121, 0x5040100
	s_waitcnt lgkmcnt(5)
	v_perm_b32 v119, v164, v109, 0x5040100
	v_perm_b32 v114, v148, v125, 0x5040100
	v_pk_mul_f16 v4, v145, v4 op_sel_hi:[0,1]
	s_waitcnt lgkmcnt(2)
	v_perm_b32 v117, v150, v107, 0x5040100
	s_waitcnt lgkmcnt(0)
	v_perm_b32 v118, v146, v152, 0x5040100
	v_pk_mul_f16 v5, v145, v5 op_sel_hi:[0,1]
	v_pk_mul_f16 v6, v145, v6 op_sel_hi:[0,1]
	;; [unrolled: 1-line block ×3, first 2 shown]
	s_delay_alu instid0(VALU_DEP_4)
	v_wmma_f16_16x16x16_f16 v[8:15], v[113:120], v[96:103], v[8:15]
	v_perm_b32 v116, v162, v160, 0x7060302
	v_perm_b32 v115, v158, v105, 0x7060302
	;; [unrolled: 1-line block ×5, first 2 shown]
	ds_load_b32 v105, v236 offset:1088
	ds_load_b32 v107, v236 offset:2176
	;; [unrolled: 1-line block ×8, first 2 shown]
	v_perm_b32 v120, v166, v168, 0x7060302
	v_perm_b32 v113, v123, v121, 0x7060302
	;; [unrolled: 1-line block ×3, first 2 shown]
	s_delay_alu instid0(VALU_DEP_1)
	v_wmma_f16_16x16x16_f16 v[8:15], v[113:120], v[96:103], v[8:15] op_sel:[0,0,1]
	v_perm_b32 v113, v124, v122, 0x5040100
	v_perm_b32 v114, v149, v126, 0x5040100
	v_perm_b32 v116, v108, v106, 0x5040100
	v_perm_b32 v118, v147, v153, 0x5040100
	s_waitcnt lgkmcnt(7)
	v_perm_b32 v115, v104, v105, 0x5040100
	s_waitcnt lgkmcnt(6)
	v_perm_b32 v117, v151, v107, 0x5040100
	;; [unrolled: 2-line block ×4, first 2 shown]
	s_delay_alu instid0(VALU_DEP_1)
	v_wmma_f16_16x16x16_f16 v[0:7], v[113:120], v[96:103], v[0:7]
	v_perm_b32 v113, v124, v122, 0x7060302
	v_perm_b32 v114, v149, v126, 0x7060302
	;; [unrolled: 1-line block ×8, first 2 shown]
	v_add_nc_u32_e32 v110, 0x2e00, v223
	v_add_nc_u32_e32 v109, 0x2c00, v223
	s_delay_alu instid0(VALU_DEP_3) | instskip(SKIP_1) | instid1(VALU_DEP_1)
	v_wmma_f16_16x16x16_f16 v[0:7], v[113:120], v[96:103], v[0:7] op_sel:[0,0,1]
	v_sub_f32_e32 v96, v144, v227
	v_mul_f32_e32 v97, 0x3fb8aa3b, v96
	v_cmp_ngt_f32_e64 s3, 0xc2ce8ed0, v96
	s_delay_alu instid0(VALU_DEP_2) | instskip(SKIP_1) | instid1(VALU_DEP_1)
	v_fma_f32 v98, 0x3fb8aa3b, v96, -v97
	v_rndne_f32_e32 v99, v97
	v_dual_fmac_f32 v98, 0x32a5705f, v96 :: v_dual_sub_f32 v97, v97, v99
	v_cvt_i32_f32_e32 v99, v99
	s_delay_alu instid0(VALU_DEP_2) | instskip(NEXT) | instid1(VALU_DEP_1)
	v_dual_add_f32 v97, v97, v98 :: v_dual_sub_f32 v98, v143, v227
	v_exp_f32_e32 v97, v97
	s_delay_alu instid0(VALU_DEP_1) | instskip(SKIP_1) | instid1(VALU_DEP_2)
	v_mul_f32_e32 v100, 0x3fb8aa3b, v98
	v_cmp_ngt_f32_e64 s4, 0xc2ce8ed0, v98
	v_fma_f32 v101, 0x3fb8aa3b, v98, -v100
	v_rndne_f32_e32 v102, v100
	s_waitcnt_depctr 0xfff
	v_ldexp_f32 v97, v97, v99
	v_fmac_f32_e32 v101, 0x32a5705f, v98
	v_sub_f32_e32 v100, v100, v102
	s_delay_alu instid0(VALU_DEP_3) | instskip(SKIP_1) | instid1(VALU_DEP_3)
	v_cndmask_b32_e64 v97, 0, v97, s3
	v_cmp_nlt_f32_e64 s3, 0x42b17218, v96
	v_add_f32_e32 v100, v100, v101
	s_delay_alu instid0(VALU_DEP_2) | instskip(NEXT) | instid1(VALU_DEP_2)
	v_cndmask_b32_e64 v163, 0x7f800000, v97, s3
	v_exp_f32_e32 v99, v100
	v_cvt_i32_f32_e32 v100, v102
	s_waitcnt_depctr 0xfff
	v_ldexp_f32 v99, v99, v100
	s_delay_alu instid0(VALU_DEP_1)
	v_cndmask_b32_e64 v96, 0, v99, s4
	v_cmp_nlt_f32_e64 s4, 0x42b17218, v98
	ds_bpermute_b32 v98, v221, v163
	v_cndmask_b32_e64 v162, 0x7f800000, v96, s4
	ds_bpermute_b32 v96, v221, v162
	s_waitcnt lgkmcnt(0)
	v_cndmask_b32_e64 v97, v162, v96, s0
	v_cndmask_b32_e32 v96, v162, v96, vcc_lo
	s_delay_alu instid0(VALU_DEP_2) | instskip(NEXT) | instid1(VALU_DEP_2)
	v_cndmask_b32_e64 v99, v97, v163, s1
	v_cndmask_b32_e64 v100, v96, v163, s2
	v_cvt_f16_f32_e32 v97, v97
	v_cvt_f16_f32_e32 v96, v96
	s_delay_alu instid0(VALU_DEP_4) | instskip(NEXT) | instid1(VALU_DEP_4)
	v_cndmask_b32_e64 v99, v99, v98, s0
	v_cndmask_b32_e32 v98, v100, v98, vcc_lo
	s_delay_alu instid0(VALU_DEP_3) | instskip(NEXT) | instid1(VALU_DEP_3)
	v_pack_b32_f16 v96, v97, v96
	v_cvt_f16_f32_e32 v100, v99
	s_delay_alu instid0(VALU_DEP_3) | instskip(NEXT) | instid1(VALU_DEP_1)
	v_cvt_f16_f32_e32 v101, v98
	v_pack_b32_f16 v97, v100, v101
	v_sub_f32_e32 v100, v142, v227
	s_delay_alu instid0(VALU_DEP_1) | instskip(SKIP_1) | instid1(VALU_DEP_2)
	v_mul_f32_e32 v101, 0x3fb8aa3b, v100
	v_cmp_ngt_f32_e64 s3, 0xc2ce8ed0, v100
	v_fma_f32 v102, 0x3fb8aa3b, v100, -v101
	v_rndne_f32_e32 v103, v101
	s_delay_alu instid0(VALU_DEP_1) | instskip(NEXT) | instid1(VALU_DEP_1)
	v_dual_fmac_f32 v102, 0x32a5705f, v100 :: v_dual_sub_f32 v101, v101, v103
	v_add_f32_e32 v101, v101, v102
	v_cvt_i32_f32_e32 v102, v103
	s_delay_alu instid0(VALU_DEP_2) | instskip(SKIP_2) | instid1(VALU_DEP_1)
	v_exp_f32_e32 v101, v101
	s_waitcnt_depctr 0xfff
	v_ldexp_f32 v101, v101, v102
	v_cndmask_b32_e64 v101, 0, v101, s3
	v_cmp_nlt_f32_e64 s3, 0x42b17218, v100
	s_delay_alu instid0(VALU_DEP_1) | instskip(SKIP_4) | instid1(VALU_DEP_2)
	v_cndmask_b32_e64 v164, 0x7f800000, v101, s3
	ds_bpermute_b32 v100, v221, v164
	v_cndmask_b32_e64 v99, v99, v164, s1
	v_cndmask_b32_e64 v98, v98, v164, s2
	s_waitcnt lgkmcnt(0)
	v_cndmask_b32_e64 v99, v99, v100, s0
	s_delay_alu instid0(VALU_DEP_2) | instskip(NEXT) | instid1(VALU_DEP_2)
	v_cndmask_b32_e32 v100, v98, v100, vcc_lo
	v_cvt_f16_f32_e32 v98, v99
	s_delay_alu instid0(VALU_DEP_2) | instskip(NEXT) | instid1(VALU_DEP_1)
	v_cvt_f16_f32_e32 v101, v100
	v_pack_b32_f16 v98, v98, v101
	v_sub_f32_e32 v101, v141, v227
	s_delay_alu instid0(VALU_DEP_1) | instskip(SKIP_1) | instid1(VALU_DEP_2)
	v_mul_f32_e32 v102, 0x3fb8aa3b, v101
	v_cmp_ngt_f32_e64 s3, 0xc2ce8ed0, v101
	v_fma_f32 v103, 0x3fb8aa3b, v101, -v102
	v_rndne_f32_e32 v104, v102
	s_delay_alu instid0(VALU_DEP_1) | instskip(NEXT) | instid1(VALU_DEP_1)
	v_dual_fmac_f32 v103, 0x32a5705f, v101 :: v_dual_sub_f32 v102, v102, v104
	v_add_f32_e32 v102, v102, v103
	v_cvt_i32_f32_e32 v103, v104
	s_delay_alu instid0(VALU_DEP_2) | instskip(SKIP_2) | instid1(VALU_DEP_1)
	v_exp_f32_e32 v102, v102
	s_waitcnt_depctr 0xfff
	v_ldexp_f32 v102, v102, v103
	v_cndmask_b32_e64 v102, 0, v102, s3
	v_cmp_nlt_f32_e64 s3, 0x42b17218, v101
	s_delay_alu instid0(VALU_DEP_1) | instskip(SKIP_4) | instid1(VALU_DEP_2)
	v_cndmask_b32_e64 v165, 0x7f800000, v102, s3
	ds_bpermute_b32 v101, v221, v165
	v_cndmask_b32_e64 v99, v99, v165, s1
	v_cndmask_b32_e64 v100, v100, v165, s2
	s_waitcnt lgkmcnt(0)
	v_cndmask_b32_e64 v102, v99, v101, s0
	s_delay_alu instid0(VALU_DEP_2) | instskip(NEXT) | instid1(VALU_DEP_2)
	v_cndmask_b32_e32 v100, v100, v101, vcc_lo
	v_cvt_f16_f32_e32 v99, v102
	s_delay_alu instid0(VALU_DEP_2) | instskip(NEXT) | instid1(VALU_DEP_1)
	v_cvt_f16_f32_e32 v101, v100
	v_pack_b32_f16 v99, v99, v101
	v_sub_f32_e32 v101, v140, v227
	s_delay_alu instid0(VALU_DEP_1) | instskip(SKIP_1) | instid1(VALU_DEP_2)
	v_mul_f32_e32 v103, 0x3fb8aa3b, v101
	v_cmp_ngt_f32_e64 s3, 0xc2ce8ed0, v101
	v_fma_f32 v104, 0x3fb8aa3b, v101, -v103
	v_rndne_f32_e32 v105, v103
	s_delay_alu instid0(VALU_DEP_2) | instskip(NEXT) | instid1(VALU_DEP_2)
	v_fmac_f32_e32 v104, 0x32a5705f, v101
	v_sub_f32_e32 v103, v103, v105
	s_delay_alu instid0(VALU_DEP_1) | instskip(SKIP_1) | instid1(VALU_DEP_2)
	v_add_f32_e32 v103, v103, v104
	v_cvt_i32_f32_e32 v104, v105
	v_exp_f32_e32 v103, v103
	s_waitcnt_depctr 0xfff
	v_ldexp_f32 v103, v103, v104
	s_delay_alu instid0(VALU_DEP_1) | instskip(SKIP_1) | instid1(VALU_DEP_1)
	v_cndmask_b32_e64 v103, 0, v103, s3
	v_cmp_nlt_f32_e64 s3, 0x42b17218, v101
	v_cndmask_b32_e64 v166, 0x7f800000, v103, s3
	s_delay_alu instid0(VALU_DEP_1) | instskip(SKIP_4) | instid1(VALU_DEP_2)
	v_cndmask_b32_e64 v101, v102, v166, s1
	ds_bpermute_b32 v102, v221, v166
	v_cndmask_b32_e64 v100, v100, v166, s2
	s_waitcnt lgkmcnt(0)
	v_cndmask_b32_e64 v101, v101, v102, s0
	v_cndmask_b32_e32 v102, v100, v102, vcc_lo
	s_delay_alu instid0(VALU_DEP_2) | instskip(NEXT) | instid1(VALU_DEP_2)
	v_cvt_f16_f32_e32 v100, v101
	v_cvt_f16_f32_e32 v103, v102
	s_delay_alu instid0(VALU_DEP_1) | instskip(SKIP_1) | instid1(VALU_DEP_1)
	v_pack_b32_f16 v100, v100, v103
	v_sub_f32_e32 v103, v139, v227
	v_mul_f32_e32 v104, 0x3fb8aa3b, v103
	v_cmp_ngt_f32_e64 s3, 0xc2ce8ed0, v103
	s_delay_alu instid0(VALU_DEP_2) | instskip(SKIP_1) | instid1(VALU_DEP_1)
	v_fma_f32 v105, 0x3fb8aa3b, v103, -v104
	v_rndne_f32_e32 v106, v104
	v_dual_fmac_f32 v105, 0x32a5705f, v103 :: v_dual_sub_f32 v104, v104, v106
	s_delay_alu instid0(VALU_DEP_1) | instskip(SKIP_1) | instid1(VALU_DEP_2)
	v_add_f32_e32 v104, v104, v105
	v_cvt_i32_f32_e32 v105, v106
	v_exp_f32_e32 v104, v104
	s_waitcnt_depctr 0xfff
	v_ldexp_f32 v104, v104, v105
	s_delay_alu instid0(VALU_DEP_1) | instskip(SKIP_1) | instid1(VALU_DEP_1)
	v_cndmask_b32_e64 v104, 0, v104, s3
	v_cmp_nlt_f32_e64 s3, 0x42b17218, v103
	v_cndmask_b32_e64 v167, 0x7f800000, v104, s3
	ds_bpermute_b32 v103, v221, v167
	v_cndmask_b32_e64 v101, v101, v167, s1
	v_cndmask_b32_e64 v102, v102, v167, s2
	s_waitcnt lgkmcnt(0)
	s_delay_alu instid0(VALU_DEP_2) | instskip(NEXT) | instid1(VALU_DEP_2)
	v_cndmask_b32_e64 v104, v101, v103, s0
	v_cndmask_b32_e32 v102, v102, v103, vcc_lo
	s_delay_alu instid0(VALU_DEP_2) | instskip(NEXT) | instid1(VALU_DEP_2)
	v_cvt_f16_f32_e32 v101, v104
	v_cvt_f16_f32_e32 v103, v102
	s_delay_alu instid0(VALU_DEP_1) | instskip(SKIP_1) | instid1(VALU_DEP_1)
	v_pack_b32_f16 v101, v101, v103
	v_sub_f32_e32 v103, v138, v227
	v_mul_f32_e32 v105, 0x3fb8aa3b, v103
	v_cmp_ngt_f32_e64 s3, 0xc2ce8ed0, v103
	s_delay_alu instid0(VALU_DEP_2) | instskip(SKIP_1) | instid1(VALU_DEP_2)
	v_fma_f32 v106, 0x3fb8aa3b, v103, -v105
	v_rndne_f32_e32 v107, v105
	v_fmac_f32_e32 v106, 0x32a5705f, v103
	s_delay_alu instid0(VALU_DEP_2) | instskip(NEXT) | instid1(VALU_DEP_1)
	v_sub_f32_e32 v105, v105, v107
	v_add_f32_e32 v105, v105, v106
	v_cvt_i32_f32_e32 v106, v107
	s_delay_alu instid0(VALU_DEP_2) | instskip(SKIP_2) | instid1(VALU_DEP_1)
	v_exp_f32_e32 v105, v105
	s_waitcnt_depctr 0xfff
	v_ldexp_f32 v105, v105, v106
	v_cndmask_b32_e64 v105, 0, v105, s3
	v_cmp_nlt_f32_e64 s3, 0x42b17218, v103
	s_delay_alu instid0(VALU_DEP_1) | instskip(NEXT) | instid1(VALU_DEP_1)
	v_cndmask_b32_e64 v168, 0x7f800000, v105, s3
	v_cndmask_b32_e64 v103, v104, v168, s1
	ds_bpermute_b32 v104, v221, v168
	v_cndmask_b32_e64 v102, v102, v168, s2
	s_waitcnt lgkmcnt(0)
	v_cndmask_b32_e64 v103, v103, v104, s0
	s_delay_alu instid0(VALU_DEP_2) | instskip(NEXT) | instid1(VALU_DEP_2)
	v_cndmask_b32_e32 v104, v102, v104, vcc_lo
	v_cvt_f16_f32_e32 v102, v103
	s_delay_alu instid0(VALU_DEP_2) | instskip(NEXT) | instid1(VALU_DEP_1)
	v_cvt_f16_f32_e32 v105, v104
	v_pack_b32_f16 v102, v102, v105
	v_sub_f32_e32 v105, v136, v227
	s_delay_alu instid0(VALU_DEP_1) | instskip(SKIP_1) | instid1(VALU_DEP_2)
	v_mul_f32_e32 v106, 0x3fb8aa3b, v105
	v_cmp_ngt_f32_e64 s3, 0xc2ce8ed0, v105
	v_fma_f32 v107, 0x3fb8aa3b, v105, -v106
	v_rndne_f32_e32 v108, v106
	s_delay_alu instid0(VALU_DEP_1) | instskip(NEXT) | instid1(VALU_DEP_1)
	v_dual_fmac_f32 v107, 0x32a5705f, v105 :: v_dual_sub_f32 v106, v106, v108
	v_add_f32_e32 v106, v106, v107
	v_cvt_i32_f32_e32 v107, v108
	s_delay_alu instid0(VALU_DEP_2) | instskip(SKIP_3) | instid1(VALU_DEP_2)
	v_exp_f32_e32 v106, v106
	s_waitcnt_depctr 0xfff
	v_ldexp_f32 v106, v106, v107
	v_add_nc_u32_e32 v107, 0x2800, v223
	v_cndmask_b32_e64 v106, 0, v106, s3
	v_cmp_nlt_f32_e64 s3, 0x42b17218, v105
	s_delay_alu instid0(VALU_DEP_1)
	v_cndmask_b32_e64 v136, 0x7f800000, v106, s3
	v_add_nc_u32_e32 v106, 0x2600, v223
	ds_bpermute_b32 v105, v221, v136
	v_cndmask_b32_e64 v103, v103, v136, s1
	v_cndmask_b32_e64 v104, v104, v136, s2
	s_waitcnt lgkmcnt(0)
	s_delay_alu instid0(VALU_DEP_2) | instskip(NEXT) | instid1(VALU_DEP_2)
	v_cndmask_b32_e64 v103, v103, v105, s0
	v_dual_cndmask_b32 v104, v104, v105 :: v_dual_add_nc_u32 v105, 0x2400, v223
	v_cmp_lt_i32_e32 vcc_lo, s102, v216
	s_delay_alu instid0(VALU_DEP_3) | instskip(NEXT) | instid1(VALU_DEP_3)
	v_cvt_f16_f32_e32 v103, v103
	v_cvt_f16_f32_e32 v104, v104
	s_and_b32 vcc_lo, exec_lo, vcc_lo
	s_delay_alu instid0(VALU_DEP_1)
	v_pack_b32_f16 v103, v103, v104
	v_add_nc_u32_e32 v104, 0x2000, v223
	ds_load_2addr_b32 v[112:113], v104 offset0:128 offset1:196
	ds_load_2addr_b32 v[114:115], v105 offset0:8 offset1:76
	ds_load_b32 v124, v224 offset:1088
	ds_load_2addr_b32 v[116:117], v106 offset0:84 offset1:152
	ds_load_2addr_b32 v[118:119], v107 offset0:92 offset1:228
	;; [unrolled: 1-line block ×4, first 2 shown]
	s_waitcnt lgkmcnt(6)
	v_perm_b32 v104, v113, v112, 0x5040100
	s_waitcnt lgkmcnt(5)
	v_perm_b32 v105, v115, v114, 0x5040100
	;; [unrolled: 2-line block ×4, first 2 shown]
	v_perm_b32 v108, v119, v125, 0x5040100
	s_waitcnt lgkmcnt(1)
	v_perm_b32 v109, v121, v120, 0x5040100
	s_waitcnt lgkmcnt(0)
	v_perm_b32 v110, v122, v169, 0x5040100
	v_perm_b32 v111, v127, v123, 0x5040100
	s_delay_alu instid0(VALU_DEP_1)
	v_wmma_f16_16x16x16_f16 v[16:23], v[104:111], v[96:103], v[16:23]
	v_perm_b32 v106, v116, v124, 0x7060302
	v_perm_b32 v107, v118, v117, 0x7060302
	;; [unrolled: 1-line block ×8, first 2 shown]
	s_delay_alu instid0(VALU_DEP_1)
	v_wmma_f16_16x16x16_f16 v[16:23], v[104:111], v[96:103], v[16:23] op_sel:[0,0,1]
	v_add_nc_u32_e32 v104, 0x2000, v226
	v_add_nc_u32_e32 v106, 0x2600, v226
	;; [unrolled: 1-line block ×6, first 2 shown]
	ds_load_2addr_b32 v[112:113], v104 offset0:128 offset1:196
	ds_load_2addr_b32 v[114:115], v105 offset0:8 offset1:76
	ds_load_2addr_b32 v[116:117], v106 offset0:84 offset1:152
	ds_load_b32 v169, v229 offset:1088
	ds_load_b32 v170, v229 offset:2176
	;; [unrolled: 1-line block ×3, first 2 shown]
	ds_load_2addr_b32 v[118:119], v107 offset0:92 offset1:228
	ds_load_2addr_b32 v[120:121], v109 offset0:40 offset1:108
	;; [unrolled: 1-line block ×3, first 2 shown]
	s_waitcnt lgkmcnt(8)
	v_perm_b32 v104, v113, v112, 0x5040100
	s_waitcnt lgkmcnt(7)
	v_perm_b32 v105, v115, v114, 0x5040100
	;; [unrolled: 2-line block ×4, first 2 shown]
	v_perm_b32 v108, v119, v170, 0x5040100
	s_waitcnt lgkmcnt(1)
	v_perm_b32 v109, v121, v120, 0x5040100
	s_waitcnt lgkmcnt(0)
	v_perm_b32 v110, v122, v161, 0x5040100
	v_perm_b32 v111, v171, v123, 0x5040100
	s_delay_alu instid0(VALU_DEP_1)
	v_wmma_f16_16x16x16_f16 v[24:31], v[104:111], v[96:103], v[24:31]
	v_add_nc_u32_e32 v109, 0x2c00, v231
	v_add_nc_u32_e32 v104, 0x2000, v231
	;; [unrolled: 1-line block ×6, first 2 shown]
	ds_load_2addr_b32 v[124:125], v104 offset0:128 offset1:196
	ds_load_2addr_b32 v[126:127], v105 offset0:8 offset1:76
	;; [unrolled: 1-line block ×3, first 2 shown]
	ds_load_b32 v172, v234 offset:1088
	ds_load_b32 v173, v234 offset:2176
	ds_load_2addr_b32 v[140:141], v107 offset0:92 offset1:228
	ds_load_2addr_b32 v[142:143], v109 offset0:40 offset1:108
	;; [unrolled: 1-line block ×3, first 2 shown]
	s_waitcnt lgkmcnt(7)
	v_perm_b32 v104, v125, v124, 0x5040100
	s_waitcnt lgkmcnt(6)
	v_perm_b32 v105, v127, v126, 0x5040100
	s_waitcnt lgkmcnt(4)
	v_perm_b32 v106, v138, v172, 0x5040100
	s_waitcnt lgkmcnt(2)
	v_perm_b32 v107, v140, v139, 0x5040100
	v_perm_b32 v108, v141, v173, 0x5040100
	s_waitcnt lgkmcnt(1)
	v_perm_b32 v109, v143, v142, 0x5040100
	s_waitcnt lgkmcnt(0)
	v_perm_b32 v110, v144, v160, 0x5040100
	v_perm_b32 v111, v159, v145, 0x5040100
	s_delay_alu instid0(VALU_DEP_1)
	v_wmma_f16_16x16x16_f16 v[8:15], v[104:111], v[96:103], v[8:15]
	v_add_nc_u32_e32 v104, 0x2000, v236
	v_add_nc_u32_e32 v107, 0x2800, v236
	;; [unrolled: 1-line block ×6, first 2 shown]
	ds_load_2addr_b32 v[146:147], v104 offset0:128 offset1:196
	ds_load_2addr_b32 v[148:149], v105 offset0:8 offset1:76
	ds_load_b32 v174, v237 offset:1088
	ds_load_2addr_b32 v[150:151], v106 offset0:84 offset1:152
	ds_load_2addr_b32 v[152:153], v107 offset0:92 offset1:228
	ds_load_b32 v175, v237 offset:2176
	ds_load_b32 v198, v237 offset:3264
	ds_load_2addr_b32 v[154:155], v109 offset0:40 offset1:108
	ds_load_2addr_b32 v[156:157], v110 offset0:116 offset1:184
	s_waitcnt lgkmcnt(0)
	s_barrier
	buffer_gl0_inv
	v_perm_b32 v104, v147, v146, 0x5040100
	v_perm_b32 v105, v149, v148, 0x5040100
	;; [unrolled: 1-line block ×8, first 2 shown]
	s_delay_alu instid0(VALU_DEP_1)
	v_wmma_f16_16x16x16_f16 v[0:7], v[104:111], v[96:103], v[0:7]
	v_perm_b32 v106, v116, v169, 0x7060302
	v_perm_b32 v107, v118, v117, 0x7060302
	v_perm_b32 v108, v119, v170, 0x7060302
	v_perm_b32 v110, v122, v161, 0x7060302
	v_perm_b32 v111, v171, v123, 0x7060302
	v_perm_b32 v104, v113, v112, 0x7060302
	v_perm_b32 v105, v115, v114, 0x7060302
	v_perm_b32 v109, v121, v120, 0x7060302
	s_delay_alu instid0(VALU_DEP_1)
	v_wmma_f16_16x16x16_f16 v[24:31], v[104:111], v[96:103], v[24:31] op_sel:[0,0,1]
	v_perm_b32 v106, v138, v172, 0x7060302
	v_perm_b32 v107, v140, v139, 0x7060302
	v_perm_b32 v108, v141, v173, 0x7060302
	v_perm_b32 v110, v144, v160, 0x7060302
	v_perm_b32 v111, v159, v145, 0x7060302
	v_perm_b32 v104, v125, v124, 0x7060302
	v_perm_b32 v105, v127, v126, 0x7060302
	v_perm_b32 v109, v143, v142, 0x7060302
	s_delay_alu instid0(VALU_DEP_1)
	v_wmma_f16_16x16x16_f16 v[8:15], v[104:111], v[96:103], v[8:15] op_sel:[0,0,1]
	v_perm_b32 v106, v150, v174, 0x7060302
	v_perm_b32 v107, v152, v151, 0x7060302
	;; [unrolled: 1-line block ×8, first 2 shown]
	s_delay_alu instid0(VALU_DEP_1) | instskip(SKIP_1) | instid1(VALU_DEP_1)
	v_wmma_f16_16x16x16_f16 v[0:7], v[104:111], v[96:103], v[0:7] op_sel:[0,0,1]
	v_add_f32_e32 v96, v128, v129
	v_add_f32_e32 v96, v130, v96
	s_delay_alu instid0(VALU_DEP_1) | instskip(NEXT) | instid1(VALU_DEP_1)
	v_add_f32_e32 v96, v131, v96
	v_add_f32_e32 v96, v132, v96
	s_delay_alu instid0(VALU_DEP_1) | instskip(NEXT) | instid1(VALU_DEP_1)
	;; [unrolled: 3-line block ×7, first 2 shown]
	v_add_f32_e32 v228, v136, v96
	v_fmac_f32_e32 v228, v241, v137
	s_cbranch_vccz .LBB25_634
; %bb.633:                              ;   in Loop: Header=BB25_568 Depth=1
	s_delay_alu instid0(VALU_DEP_1)
	v_dual_mov_b32 v241, v228 :: v_dual_mov_b32 v228, v227
	s_branch .LBB25_568
.LBB25_634:
	s_clause 0x2
	scratch_load_b64 v[96:97], off, off
	scratch_load_b64 v[98:99], off, off offset:8
	scratch_load_b32 v130, off, off offset:56
	s_lshl_b32 s8, s102, 6
	v_lshlrev_b64 v[100:101], 2, v[178:179]
	s_ashr_i32 s9, s8, 31
	v_lshlrev_b64 v[177:178], 2, v[176:177]
	s_lshl_b64 s[0:1], s[8:9], 1
	s_mul_i32 s2, s12, s9
	s_add_u32 s0, s24, s0
	s_addc_u32 s1, s25, s1
	v_lshlrev_b64 v[104:105], 2, v[182:183]
	s_waitcnt vmcnt(2)
	v_lshlrev_b64 v[96:97], 1, v[96:97]
	s_waitcnt vmcnt(1)
	;; [unrolled: 2-line block ×3, first 2 shown]
	v_add_co_u32 v102, s0, s0, v130
	s_delay_alu instid0(VALU_DEP_1)
	v_add_co_ci_u32_e64 v103, null, s1, 0, s0
	s_mul_hi_u32 s0, s12, s8
	s_mul_i32 s1, s5, s8
	s_add_i32 s0, s0, s2
	v_add_co_u32 v96, vcc_lo, v102, v96
	s_add_i32 s1, s0, s1
	s_mul_i32 s0, s12, s8
	v_add_co_ci_u32_e32 v97, vcc_lo, v103, v97, vcc_lo
	v_add_co_u32 v98, vcc_lo, v102, v98
	s_lshl_b64 s[0:1], s[0:1], 2
	v_add_co_ci_u32_e32 v99, vcc_lo, v103, v99, vcc_lo
	v_lshlrev_b64 v[102:103], 2, v[180:181]
	s_add_u32 s0, s14, s0
	s_addc_u32 s1, s15, s1
	v_add_co_u32 v100, vcc_lo, s0, v100
	v_add_co_ci_u32_e32 v101, vcc_lo, s1, v101, vcc_lo
	s_delay_alu instid0(VALU_DEP_3) | instskip(SKIP_1) | instid1(VALU_DEP_4)
	v_add_co_u32 v102, vcc_lo, s0, v102
	v_add_co_ci_u32_e32 v103, vcc_lo, s1, v103, vcc_lo
	v_add_co_u32 v100, vcc_lo, v100, v177
	s_delay_alu instid0(VALU_DEP_4) | instskip(NEXT) | instid1(VALU_DEP_4)
	v_add_co_ci_u32_e32 v101, vcc_lo, v101, v178, vcc_lo
	v_add_co_u32 v102, vcc_lo, v102, v177
	s_delay_alu instid0(VALU_DEP_4) | instskip(SKIP_3) | instid1(VALU_DEP_3)
	v_add_co_ci_u32_e32 v103, vcc_lo, v103, v178, vcc_lo
	v_add_co_u32 v106, vcc_lo, s0, v104
	v_add_co_ci_u32_e32 v107, vcc_lo, s1, v105, vcc_lo
	v_lshlrev_b64 v[104:105], 2, v[184:185]
	v_add_co_u32 v106, vcc_lo, v106, v177
	s_delay_alu instid0(VALU_DEP_3)
	v_add_co_ci_u32_e32 v107, vcc_lo, v107, v178, vcc_lo
	s_clause 0x1
	global_load_b32 v128, v[96:97], off
	global_load_b32 v129, v[98:99], off
	s_clause 0x1
	global_load_b128 v[96:99], v[100:101], off
	global_load_b128 v[100:103], v[102:103], off
	v_add_co_u32 v108, vcc_lo, s0, v104
	v_add_co_ci_u32_e32 v109, vcc_lo, s1, v105, vcc_lo
	v_lshlrev_b64 v[104:105], 2, v[190:191]
	s_delay_alu instid0(VALU_DEP_3) | instskip(NEXT) | instid1(VALU_DEP_3)
	v_add_co_u32 v108, vcc_lo, v108, v177
	v_add_co_ci_u32_e32 v109, vcc_lo, v109, v178, vcc_lo
	s_delay_alu instid0(VALU_DEP_3) | instskip(NEXT) | instid1(VALU_DEP_4)
	v_add_co_u32 v110, vcc_lo, s0, v104
	v_add_co_ci_u32_e32 v111, vcc_lo, s1, v105, vcc_lo
	v_lshlrev_b64 v[104:105], 2, v[192:193]
	s_delay_alu instid0(VALU_DEP_3) | instskip(NEXT) | instid1(VALU_DEP_3)
	v_add_co_u32 v112, vcc_lo, v110, v177
	v_add_co_ci_u32_e32 v113, vcc_lo, v111, v178, vcc_lo
	s_delay_alu instid0(VALU_DEP_3) | instskip(NEXT) | instid1(VALU_DEP_4)
	v_add_co_u32 v110, vcc_lo, s0, v104
	v_add_co_ci_u32_e32 v111, vcc_lo, s1, v105, vcc_lo
	v_lshlrev_b64 v[104:105], 2, v[194:195]
	s_delay_alu instid0(VALU_DEP_3) | instskip(NEXT) | instid1(VALU_DEP_3)
	v_add_co_u32 v116, vcc_lo, v110, v177
	v_add_co_ci_u32_e32 v117, vcc_lo, v111, v178, vcc_lo
	v_lshlrev_b64 v[110:111], 2, v[196:197]
	s_delay_alu instid0(VALU_DEP_4) | instskip(SKIP_1) | instid1(VALU_DEP_3)
	v_add_co_u32 v104, vcc_lo, s0, v104
	v_add_co_ci_u32_e32 v105, vcc_lo, s1, v105, vcc_lo
	v_add_co_u32 v110, vcc_lo, s0, v110
	s_delay_alu instid0(VALU_DEP_4) | instskip(NEXT) | instid1(VALU_DEP_4)
	v_add_co_ci_u32_e32 v111, vcc_lo, s1, v111, vcc_lo
	v_add_co_u32 v120, vcc_lo, v104, v177
	s_delay_alu instid0(VALU_DEP_4) | instskip(NEXT) | instid1(VALU_DEP_4)
	v_add_co_ci_u32_e32 v121, vcc_lo, v105, v178, vcc_lo
	v_add_co_u32 v124, vcc_lo, v110, v177
	s_delay_alu instid0(VALU_DEP_4)
	v_add_co_ci_u32_e32 v125, vcc_lo, v111, v178, vcc_lo
	s_clause 0x5
	global_load_b128 v[104:107], v[106:107], off
	global_load_b128 v[108:111], v[108:109], off
	;; [unrolled: 1-line block ×6, first 2 shown]
	s_clause 0x1
	scratch_load_b32 v145, off, off offset:48
	scratch_load_b32 v131, off, off offset:200
	s_mov_b32 s0, 0
	s_clause 0x1
	scratch_load_b32 v132, off, off offset:160
	scratch_load_b32 v133, off, off offset:156
	s_mov_b32 s1, s0
	s_mov_b32 s2, s0
	;; [unrolled: 1-line block ×7, first 2 shown]
	v_add_nc_u32_e32 v179, 0, v130
	v_lshlrev_b32_e32 v130, 2, v176
	s_waitcnt vmcnt(2)
	v_add_nc_u32_e32 v144, v145, v131
	scratch_load_b32 v131, off, off offset:152 ; 4-byte Folded Reload
	s_waitcnt vmcnt(2)
	v_add_nc_u32_e32 v132, v179, v132
	s_waitcnt vmcnt(1)
	v_add3_u32 v184, 0, v133, v130
	scratch_load_b32 v133, off, off offset:164 ; 4-byte Folded Reload
	s_waitcnt vmcnt(1)
	v_add_nc_u32_e32 v131, v179, v131
	s_waitcnt vmcnt(0)
	v_add3_u32 v185, 0, v133, v130
	scratch_load_b32 v133, off, off offset:168 ; 4-byte Folded Reload
	s_waitcnt vmcnt(0)
	v_add3_u32 v186, 0, v133, v130
	scratch_load_b32 v133, off, off offset:172 ; 4-byte Folded Reload
	;; [unrolled: 3-line block ×6, first 2 shown]
	s_waitcnt vmcnt(0)
	v_add3_u32 v176, 0, v133, v130
	ds_store_b32 v131, v128 offset:17408
	ds_store_b32 v132, v129 offset:17408
	ds_store_b128 v184, v[96:99]
	ds_store_b128 v185, v[100:103]
	;; [unrolled: 1-line block ×8, first 2 shown]
	s_waitcnt lgkmcnt(0)
	s_waitcnt_vscnt null, 0x0
	s_barrier
	buffer_gl0_inv
	v_dual_mov_b32 v135, s7 :: v_dual_mov_b32 v132, s4
	ds_load_b128 v[104:107], v144
	ds_load_b128 v[108:111], v144 offset:16
	ds_load_b128 v[112:115], v144 offset:32
	;; [unrolled: 1-line block ×7, first 2 shown]
	scratch_load_b32 v96, off, off offset:180 ; 4-byte Folded Reload
	v_dual_mov_b32 v134, s6 :: v_dual_mov_b32 v133, s5
	v_dual_mov_b32 v131, s3 :: v_dual_mov_b32 v130, s2
	v_dual_mov_b32 v129, s1 :: v_dual_mov_b32 v128, s0
	ds_load_b128 v[187:190], v144 offset:128
	ds_load_b128 v[191:194], v144 offset:144
	s_waitcnt vmcnt(0)
	v_add_nc_u32_e32 v211, v145, v96
	s_waitcnt lgkmcnt(8)
	v_wmma_f32_16x16x16_f16 v[96:103], v[104:111], v[88:95], v[128:135]
	ds_load_b128 v[104:107], v144 offset:160
	ds_load_b128 v[108:111], v144 offset:176
	;; [unrolled: 1-line block ×6, first 2 shown]
	ds_load_b128 v[168:171], v211
	ds_load_b128 v[172:175], v211 offset:16
	ds_load_b128 v[160:163], v211 offset:32
	;; [unrolled: 1-line block ×5, first 2 shown]
	s_waitcnt lgkmcnt(18)
	v_wmma_f32_16x16x16_f16 v[96:103], v[112:119], v[80:87], v[96:103]
	s_waitcnt lgkmcnt(16)
	s_delay_alu instid0(VALU_DEP_1) | instskip(SKIP_1) | instid1(VALU_DEP_1)
	v_wmma_f32_16x16x16_f16 v[96:103], v[120:127], v[72:79], v[96:103]
	s_waitcnt lgkmcnt(14)
	v_wmma_f32_16x16x16_f16 v[96:103], v[136:143], v[64:71], v[96:103]
	ds_load_b128 v[144:147], v211 offset:96
	ds_load_b128 v[148:151], v211 offset:112
	;; [unrolled: 1-line block ×10, first 2 shown]
	s_waitcnt lgkmcnt(0)
	s_barrier
	buffer_gl0_inv
	v_wmma_f32_16x16x16_f16 v[96:103], v[187:194], v[56:63], v[96:103]
                                        ; implicit-def: $vgpr187
	s_delay_alu instid0(VALU_DEP_1) | instskip(NEXT) | instid1(VALU_DEP_1)
	v_wmma_f32_16x16x16_f16 v[96:103], v[104:111], v[48:55], v[96:103]
	v_wmma_f32_16x16x16_f16 v[96:103], v[195:202], v[40:47], v[96:103]
	s_delay_alu instid0(VALU_DEP_1) | instskip(NEXT) | instid1(VALU_DEP_1)
	v_wmma_f32_16x16x16_f16 v[96:103], v[203:210], v[32:39], v[96:103]
	v_cmp_ngt_f32_e64 s9, 0x3f200000, |v96|
	s_delay_alu instid0(VALU_DEP_1) | instskip(NEXT) | instid1(SALU_CYCLE_1)
	s_and_saveexec_b32 s12, s9
	s_xor_b32 s9, exec_lo, s12
	s_cbranch_execz .LBB25_636
; %bb.635:
	v_add_f32_e64 v104, |v96|, |v96|
	s_delay_alu instid0(VALU_DEP_1) | instskip(SKIP_1) | instid1(VALU_DEP_2)
	v_mul_f32_e32 v105, 0x3fb8aa3b, v104
	v_cmp_ngt_f32_e32 vcc_lo, 0xc2ce8ed0, v104
	v_rndne_f32_e32 v106, v105
	v_fma_f32 v107, 0x3fb8aa3b, v104, -v105
	s_delay_alu instid0(VALU_DEP_2) | instskip(NEXT) | instid1(VALU_DEP_2)
	v_sub_f32_e32 v105, v105, v106
	v_fmamk_f32 v107, v104, 0x32a5705f, v107
	v_cvt_i32_f32_e32 v106, v106
	s_delay_alu instid0(VALU_DEP_2) | instskip(NEXT) | instid1(VALU_DEP_1)
	v_add_f32_e32 v105, v105, v107
	v_exp_f32_e32 v105, v105
	s_waitcnt_depctr 0xfff
	v_ldexp_f32 v105, v105, v106
	s_delay_alu instid0(VALU_DEP_1) | instskip(SKIP_1) | instid1(VALU_DEP_2)
	v_cndmask_b32_e32 v105, 0, v105, vcc_lo
	v_cmp_nlt_f32_e32 vcc_lo, 0x42b17218, v104
	v_cndmask_b32_e32 v104, 0x7f800000, v105, vcc_lo
	s_delay_alu instid0(VALU_DEP_1) | instskip(NEXT) | instid1(VALU_DEP_1)
	v_add_f32_e32 v104, 1.0, v104
	v_rcp_f32_e32 v104, v104
	s_waitcnt_depctr 0xfff
	v_fma_f32 v187, v104, -2.0, 1.0
.LBB25_636:
	s_or_saveexec_b32 s9, s9
	s_clause 0x1
	scratch_load_b32 v216, off, off offset:176
	scratch_load_b32 v192, off, off offset:72
	s_xor_b32 exec_lo, exec_lo, s9
; %bb.637:
	v_mul_f32_e32 v104, v96, v96
	s_mov_b32 s12, 0xbbbac73d
	s_delay_alu instid0(VALU_DEP_1) | instid1(SALU_CYCLE_1)
	v_fmaak_f32 v105, s12, v104, 0x3ca908c9
	s_delay_alu instid0(VALU_DEP_1) | instskip(NEXT) | instid1(VALU_DEP_1)
	v_fmaak_f32 v105, v104, v105, 0xbd5c1c4e
	v_fmaak_f32 v105, v104, v105, 0x3e088382
	s_delay_alu instid0(VALU_DEP_1) | instskip(NEXT) | instid1(VALU_DEP_1)
	v_fmaak_f32 v105, v104, v105, 0xbeaaaa99
	v_mul_f32_e64 v105, |v96|, v105
	s_delay_alu instid0(VALU_DEP_1)
	v_fma_f32 v187, v104, v105, |v96|
; %bb.638:
	s_or_b32 exec_lo, exec_lo, s9
	v_cmp_ngt_f32_e64 s9, 0x3f200000, |v97|
                                        ; implicit-def: $vgpr188
	s_delay_alu instid0(VALU_DEP_1) | instskip(NEXT) | instid1(SALU_CYCLE_1)
	s_and_saveexec_b32 s12, s9
	s_xor_b32 s9, exec_lo, s12
	s_cbranch_execz .LBB25_640
; %bb.639:
	v_add_f32_e64 v104, |v97|, |v97|
	s_delay_alu instid0(VALU_DEP_1) | instskip(SKIP_1) | instid1(VALU_DEP_2)
	v_mul_f32_e32 v105, 0x3fb8aa3b, v104
	v_cmp_ngt_f32_e32 vcc_lo, 0xc2ce8ed0, v104
	v_rndne_f32_e32 v106, v105
	v_fma_f32 v107, 0x3fb8aa3b, v104, -v105
	s_delay_alu instid0(VALU_DEP_2) | instskip(NEXT) | instid1(VALU_DEP_2)
	v_sub_f32_e32 v105, v105, v106
	v_fmamk_f32 v107, v104, 0x32a5705f, v107
	v_cvt_i32_f32_e32 v106, v106
	s_delay_alu instid0(VALU_DEP_2) | instskip(NEXT) | instid1(VALU_DEP_1)
	v_add_f32_e32 v105, v105, v107
	v_exp_f32_e32 v105, v105
	s_waitcnt_depctr 0xfff
	v_ldexp_f32 v105, v105, v106
	s_delay_alu instid0(VALU_DEP_1) | instskip(SKIP_1) | instid1(VALU_DEP_2)
	v_cndmask_b32_e32 v105, 0, v105, vcc_lo
	v_cmp_nlt_f32_e32 vcc_lo, 0x42b17218, v104
	v_cndmask_b32_e32 v104, 0x7f800000, v105, vcc_lo
	s_delay_alu instid0(VALU_DEP_1) | instskip(NEXT) | instid1(VALU_DEP_1)
	v_add_f32_e32 v104, 1.0, v104
	v_rcp_f32_e32 v104, v104
	s_waitcnt_depctr 0xfff
	v_fma_f32 v188, v104, -2.0, 1.0
.LBB25_640:
	s_and_not1_saveexec_b32 s9, s9
; %bb.641:
	v_mul_f32_e32 v104, v97, v97
	s_mov_b32 s12, 0xbbbac73d
	s_delay_alu instid0(VALU_DEP_1) | instid1(SALU_CYCLE_1)
	v_fmaak_f32 v105, s12, v104, 0x3ca908c9
	s_delay_alu instid0(VALU_DEP_1) | instskip(NEXT) | instid1(VALU_DEP_1)
	v_fmaak_f32 v105, v104, v105, 0xbd5c1c4e
	v_fmaak_f32 v105, v104, v105, 0x3e088382
	s_delay_alu instid0(VALU_DEP_1) | instskip(NEXT) | instid1(VALU_DEP_1)
	v_fmaak_f32 v105, v104, v105, 0xbeaaaa99
	v_mul_f32_e64 v105, |v97|, v105
	s_delay_alu instid0(VALU_DEP_1)
	v_fma_f32 v188, v104, v105, |v97|
; %bb.642:
	s_or_b32 exec_lo, exec_lo, s9
	v_cmp_ngt_f32_e64 s9, 0x3f200000, |v98|
                                        ; implicit-def: $vgpr189
	s_delay_alu instid0(VALU_DEP_1) | instskip(NEXT) | instid1(SALU_CYCLE_1)
	s_and_saveexec_b32 s12, s9
	s_xor_b32 s9, exec_lo, s12
	s_cbranch_execz .LBB25_644
; %bb.643:
	v_add_f32_e64 v104, |v98|, |v98|
	s_delay_alu instid0(VALU_DEP_1) | instskip(SKIP_1) | instid1(VALU_DEP_2)
	v_mul_f32_e32 v105, 0x3fb8aa3b, v104
	v_cmp_ngt_f32_e32 vcc_lo, 0xc2ce8ed0, v104
	v_rndne_f32_e32 v106, v105
	v_fma_f32 v107, 0x3fb8aa3b, v104, -v105
	s_delay_alu instid0(VALU_DEP_2) | instskip(NEXT) | instid1(VALU_DEP_2)
	v_sub_f32_e32 v105, v105, v106
	v_fmamk_f32 v107, v104, 0x32a5705f, v107
	v_cvt_i32_f32_e32 v106, v106
	s_delay_alu instid0(VALU_DEP_2) | instskip(NEXT) | instid1(VALU_DEP_1)
	v_add_f32_e32 v105, v105, v107
	v_exp_f32_e32 v105, v105
	s_waitcnt_depctr 0xfff
	v_ldexp_f32 v105, v105, v106
	s_delay_alu instid0(VALU_DEP_1) | instskip(SKIP_1) | instid1(VALU_DEP_2)
	v_cndmask_b32_e32 v105, 0, v105, vcc_lo
	v_cmp_nlt_f32_e32 vcc_lo, 0x42b17218, v104
	v_cndmask_b32_e32 v104, 0x7f800000, v105, vcc_lo
	s_delay_alu instid0(VALU_DEP_1) | instskip(NEXT) | instid1(VALU_DEP_1)
	v_add_f32_e32 v104, 1.0, v104
	v_rcp_f32_e32 v104, v104
	s_waitcnt_depctr 0xfff
	v_fma_f32 v189, v104, -2.0, 1.0
.LBB25_644:
	s_and_not1_saveexec_b32 s9, s9
; %bb.645:
	v_mul_f32_e32 v104, v98, v98
	s_mov_b32 s12, 0xbbbac73d
	s_delay_alu instid0(VALU_DEP_1) | instid1(SALU_CYCLE_1)
	v_fmaak_f32 v105, s12, v104, 0x3ca908c9
	s_delay_alu instid0(VALU_DEP_1) | instskip(NEXT) | instid1(VALU_DEP_1)
	v_fmaak_f32 v105, v104, v105, 0xbd5c1c4e
	v_fmaak_f32 v105, v104, v105, 0x3e088382
	s_delay_alu instid0(VALU_DEP_1) | instskip(NEXT) | instid1(VALU_DEP_1)
	v_fmaak_f32 v105, v104, v105, 0xbeaaaa99
	v_mul_f32_e64 v105, |v98|, v105
	s_delay_alu instid0(VALU_DEP_1)
	v_fma_f32 v189, v104, v105, |v98|
; %bb.646:
	s_or_b32 exec_lo, exec_lo, s9
	v_cmp_ngt_f32_e64 s9, 0x3f200000, |v99|
                                        ; implicit-def: $vgpr190
	s_delay_alu instid0(VALU_DEP_1) | instskip(NEXT) | instid1(SALU_CYCLE_1)
	s_and_saveexec_b32 s12, s9
	s_xor_b32 s9, exec_lo, s12
	s_cbranch_execz .LBB25_648
; %bb.647:
	v_add_f32_e64 v104, |v99|, |v99|
	s_delay_alu instid0(VALU_DEP_1) | instskip(SKIP_1) | instid1(VALU_DEP_2)
	v_mul_f32_e32 v105, 0x3fb8aa3b, v104
	v_cmp_ngt_f32_e32 vcc_lo, 0xc2ce8ed0, v104
	v_rndne_f32_e32 v106, v105
	v_fma_f32 v107, 0x3fb8aa3b, v104, -v105
	s_delay_alu instid0(VALU_DEP_2) | instskip(NEXT) | instid1(VALU_DEP_2)
	v_sub_f32_e32 v105, v105, v106
	v_fmamk_f32 v107, v104, 0x32a5705f, v107
	v_cvt_i32_f32_e32 v106, v106
	s_delay_alu instid0(VALU_DEP_2) | instskip(NEXT) | instid1(VALU_DEP_1)
	v_add_f32_e32 v105, v105, v107
	v_exp_f32_e32 v105, v105
	s_waitcnt_depctr 0xfff
	v_ldexp_f32 v105, v105, v106
	s_delay_alu instid0(VALU_DEP_1) | instskip(SKIP_1) | instid1(VALU_DEP_2)
	v_cndmask_b32_e32 v105, 0, v105, vcc_lo
	v_cmp_nlt_f32_e32 vcc_lo, 0x42b17218, v104
	v_cndmask_b32_e32 v104, 0x7f800000, v105, vcc_lo
	s_delay_alu instid0(VALU_DEP_1) | instskip(NEXT) | instid1(VALU_DEP_1)
	v_add_f32_e32 v104, 1.0, v104
	v_rcp_f32_e32 v104, v104
	s_waitcnt_depctr 0xfff
	v_fma_f32 v190, v104, -2.0, 1.0
.LBB25_648:
	s_or_saveexec_b32 s9, s9
	v_dual_mov_b32 v111, s7 :: v_dual_mov_b32 v110, s6
	v_dual_mov_b32 v109, s5 :: v_dual_mov_b32 v108, s4
	;; [unrolled: 1-line block ×4, first 2 shown]
	s_xor_b32 exec_lo, exec_lo, s9
; %bb.649:
	v_mul_f32_e32 v190, v99, v99
	s_mov_b32 s0, 0xbbbac73d
	s_delay_alu instid0(VALU_DEP_1) | instid1(SALU_CYCLE_1)
	v_fmaak_f32 v191, s0, v190, 0x3ca908c9
	s_delay_alu instid0(VALU_DEP_1) | instskip(NEXT) | instid1(VALU_DEP_1)
	v_fmaak_f32 v191, v190, v191, 0xbd5c1c4e
	v_fmaak_f32 v191, v190, v191, 0x3e088382
	s_delay_alu instid0(VALU_DEP_1) | instskip(NEXT) | instid1(VALU_DEP_1)
	v_fmaak_f32 v191, v190, v191, 0xbeaaaa99
	v_mul_f32_e64 v191, |v99|, v191
	s_delay_alu instid0(VALU_DEP_1)
	v_fma_f32 v190, v190, v191, |v99|
; %bb.650:
	s_or_b32 exec_lo, exec_lo, s9
	v_wmma_f32_16x16x16_f16 v[104:111], v[168:175], v[88:95], v[104:111]
	v_cmp_ngt_f32_e64 s0, 0x3f200000, |v100|
                                        ; implicit-def: $vgpr88
	s_delay_alu instid0(VALU_DEP_1) | instskip(NEXT) | instid1(SALU_CYCLE_1)
	s_and_saveexec_b32 s1, s0
	s_xor_b32 s0, exec_lo, s1
	s_cbranch_execz .LBB25_652
; %bb.651:
	v_add_f32_e64 v88, |v100|, |v100|
	s_delay_alu instid0(VALU_DEP_1) | instskip(SKIP_1) | instid1(VALU_DEP_2)
	v_mul_f32_e32 v89, 0x3fb8aa3b, v88
	v_cmp_ngt_f32_e32 vcc_lo, 0xc2ce8ed0, v88
	v_rndne_f32_e32 v90, v89
	v_fma_f32 v91, 0x3fb8aa3b, v88, -v89
	s_delay_alu instid0(VALU_DEP_2) | instskip(NEXT) | instid1(VALU_DEP_2)
	v_sub_f32_e32 v89, v89, v90
	v_fmamk_f32 v91, v88, 0x32a5705f, v91
	v_cvt_i32_f32_e32 v90, v90
	s_delay_alu instid0(VALU_DEP_2) | instskip(NEXT) | instid1(VALU_DEP_1)
	v_add_f32_e32 v89, v89, v91
	v_exp_f32_e32 v89, v89
	s_waitcnt_depctr 0xfff
	v_ldexp_f32 v89, v89, v90
	s_delay_alu instid0(VALU_DEP_1) | instskip(SKIP_1) | instid1(VALU_DEP_2)
	v_cndmask_b32_e32 v89, 0, v89, vcc_lo
	v_cmp_nlt_f32_e32 vcc_lo, 0x42b17218, v88
	v_cndmask_b32_e32 v88, 0x7f800000, v89, vcc_lo
	s_delay_alu instid0(VALU_DEP_1) | instskip(NEXT) | instid1(VALU_DEP_1)
	v_add_f32_e32 v88, 1.0, v88
	v_rcp_f32_e32 v88, v88
	s_waitcnt_depctr 0xfff
	v_fma_f32 v88, v88, -2.0, 1.0
.LBB25_652:
	s_or_saveexec_b32 s0, s0
	v_wmma_f32_16x16x16_f16 v[104:111], v[160:167], v[80:87], v[104:111]
	s_xor_b32 exec_lo, exec_lo, s0
; %bb.653:
	v_mul_f32_e32 v80, v100, v100
	s_mov_b32 s1, 0xbbbac73d
	s_delay_alu instid0(VALU_DEP_1) | instid1(SALU_CYCLE_1)
	v_fmaak_f32 v81, s1, v80, 0x3ca908c9
	s_delay_alu instid0(VALU_DEP_1) | instskip(NEXT) | instid1(VALU_DEP_1)
	v_fmaak_f32 v81, v80, v81, 0xbd5c1c4e
	v_fmaak_f32 v81, v80, v81, 0x3e088382
	s_delay_alu instid0(VALU_DEP_1) | instskip(NEXT) | instid1(VALU_DEP_1)
	v_fmaak_f32 v81, v80, v81, 0xbeaaaa99
	v_mul_f32_e64 v81, |v100|, v81
	s_delay_alu instid0(VALU_DEP_1)
	v_fma_f32 v88, v80, v81, |v100|
; %bb.654:
	s_or_b32 exec_lo, exec_lo, s0
	v_wmma_f32_16x16x16_f16 v[104:111], v[152:159], v[72:79], v[104:111]
	v_cmp_ngt_f32_e64 s0, 0x3f200000, |v101|
                                        ; implicit-def: $vgpr72
	s_delay_alu instid0(VALU_DEP_1) | instskip(NEXT) | instid1(SALU_CYCLE_1)
	s_and_saveexec_b32 s1, s0
	s_xor_b32 s0, exec_lo, s1
	s_cbranch_execz .LBB25_656
; %bb.655:
	v_add_f32_e64 v72, |v101|, |v101|
	s_delay_alu instid0(VALU_DEP_1) | instskip(SKIP_1) | instid1(VALU_DEP_2)
	v_mul_f32_e32 v73, 0x3fb8aa3b, v72
	v_cmp_ngt_f32_e32 vcc_lo, 0xc2ce8ed0, v72
	v_rndne_f32_e32 v74, v73
	v_fma_f32 v75, 0x3fb8aa3b, v72, -v73
	s_delay_alu instid0(VALU_DEP_2) | instskip(NEXT) | instid1(VALU_DEP_2)
	v_sub_f32_e32 v73, v73, v74
	v_fmamk_f32 v75, v72, 0x32a5705f, v75
	v_cvt_i32_f32_e32 v74, v74
	s_delay_alu instid0(VALU_DEP_2) | instskip(NEXT) | instid1(VALU_DEP_1)
	v_add_f32_e32 v73, v73, v75
	v_exp_f32_e32 v73, v73
	s_waitcnt_depctr 0xfff
	v_ldexp_f32 v73, v73, v74
	s_delay_alu instid0(VALU_DEP_1) | instskip(SKIP_1) | instid1(VALU_DEP_2)
	v_cndmask_b32_e32 v73, 0, v73, vcc_lo
	v_cmp_nlt_f32_e32 vcc_lo, 0x42b17218, v72
	v_cndmask_b32_e32 v72, 0x7f800000, v73, vcc_lo
	s_delay_alu instid0(VALU_DEP_1) | instskip(NEXT) | instid1(VALU_DEP_1)
	v_add_f32_e32 v72, 1.0, v72
	v_rcp_f32_e32 v72, v72
	s_waitcnt_depctr 0xfff
	v_fma_f32 v72, v72, -2.0, 1.0
.LBB25_656:
	s_or_saveexec_b32 s0, s0
	v_wmma_f32_16x16x16_f16 v[104:111], v[144:151], v[64:71], v[104:111]
	s_xor_b32 exec_lo, exec_lo, s0
; %bb.657:
	v_mul_f32_e32 v64, v101, v101
	s_mov_b32 s1, 0xbbbac73d
	s_delay_alu instid0(VALU_DEP_1) | instid1(SALU_CYCLE_1)
	v_fmaak_f32 v65, s1, v64, 0x3ca908c9
	s_delay_alu instid0(VALU_DEP_1) | instskip(NEXT) | instid1(VALU_DEP_1)
	v_fmaak_f32 v65, v64, v65, 0xbd5c1c4e
	v_fmaak_f32 v65, v64, v65, 0x3e088382
	s_delay_alu instid0(VALU_DEP_1) | instskip(NEXT) | instid1(VALU_DEP_1)
	v_fmaak_f32 v65, v64, v65, 0xbeaaaa99
	v_mul_f32_e64 v65, |v101|, v65
	s_delay_alu instid0(VALU_DEP_1)
	v_fma_f32 v72, v64, v65, |v101|
; %bb.658:
	s_or_b32 exec_lo, exec_lo, s0
	v_wmma_f32_16x16x16_f16 v[104:111], v[136:143], v[56:63], v[104:111]
	v_cmp_ngt_f32_e64 s0, 0x3f200000, |v102|
                                        ; implicit-def: $vgpr56
	s_delay_alu instid0(VALU_DEP_1) | instskip(NEXT) | instid1(SALU_CYCLE_1)
	s_and_saveexec_b32 s1, s0
	s_xor_b32 s0, exec_lo, s1
	s_cbranch_execz .LBB25_660
; %bb.659:
	v_add_f32_e64 v56, |v102|, |v102|
	s_delay_alu instid0(VALU_DEP_1) | instskip(SKIP_1) | instid1(VALU_DEP_2)
	v_mul_f32_e32 v57, 0x3fb8aa3b, v56
	v_cmp_ngt_f32_e32 vcc_lo, 0xc2ce8ed0, v56
	v_rndne_f32_e32 v58, v57
	v_fma_f32 v59, 0x3fb8aa3b, v56, -v57
	s_delay_alu instid0(VALU_DEP_2) | instskip(NEXT) | instid1(VALU_DEP_2)
	v_sub_f32_e32 v57, v57, v58
	v_fmamk_f32 v59, v56, 0x32a5705f, v59
	v_cvt_i32_f32_e32 v58, v58
	s_delay_alu instid0(VALU_DEP_2) | instskip(NEXT) | instid1(VALU_DEP_1)
	v_add_f32_e32 v57, v57, v59
	v_exp_f32_e32 v57, v57
	s_waitcnt_depctr 0xfff
	v_ldexp_f32 v57, v57, v58
	s_delay_alu instid0(VALU_DEP_1) | instskip(SKIP_1) | instid1(VALU_DEP_2)
	v_cndmask_b32_e32 v57, 0, v57, vcc_lo
	v_cmp_nlt_f32_e32 vcc_lo, 0x42b17218, v56
	v_cndmask_b32_e32 v56, 0x7f800000, v57, vcc_lo
	s_delay_alu instid0(VALU_DEP_1) | instskip(NEXT) | instid1(VALU_DEP_1)
	v_add_f32_e32 v56, 1.0, v56
	v_rcp_f32_e32 v56, v56
	s_waitcnt_depctr 0xfff
	v_fma_f32 v56, v56, -2.0, 1.0
.LBB25_660:
	s_or_saveexec_b32 s0, s0
	v_wmma_f32_16x16x16_f16 v[104:111], v[128:135], v[48:55], v[104:111]
	s_xor_b32 exec_lo, exec_lo, s0
; %bb.661:
	v_mul_f32_e32 v48, v102, v102
	s_mov_b32 s1, 0xbbbac73d
	s_delay_alu instid0(VALU_DEP_1) | instid1(SALU_CYCLE_1)
	v_fmaak_f32 v49, s1, v48, 0x3ca908c9
	s_delay_alu instid0(VALU_DEP_1) | instskip(NEXT) | instid1(VALU_DEP_1)
	v_fmaak_f32 v49, v48, v49, 0xbd5c1c4e
	v_fmaak_f32 v49, v48, v49, 0x3e088382
	s_delay_alu instid0(VALU_DEP_1) | instskip(NEXT) | instid1(VALU_DEP_1)
	v_fmaak_f32 v49, v48, v49, 0xbeaaaa99
	v_mul_f32_e64 v49, |v102|, v49
	s_delay_alu instid0(VALU_DEP_1)
	v_fma_f32 v56, v48, v49, |v102|
; %bb.662:
	s_or_b32 exec_lo, exec_lo, s0
	v_wmma_f32_16x16x16_f16 v[104:111], v[120:127], v[40:47], v[104:111]
	v_cmp_ngt_f32_e64 s0, 0x3f200000, |v103|
                                        ; implicit-def: $vgpr40
	s_delay_alu instid0(VALU_DEP_1) | instskip(NEXT) | instid1(SALU_CYCLE_1)
	s_and_saveexec_b32 s1, s0
	s_xor_b32 s0, exec_lo, s1
	s_cbranch_execz .LBB25_664
; %bb.663:
	v_add_f32_e64 v40, |v103|, |v103|
	s_delay_alu instid0(VALU_DEP_1) | instskip(SKIP_1) | instid1(VALU_DEP_2)
	v_mul_f32_e32 v41, 0x3fb8aa3b, v40
	v_cmp_ngt_f32_e32 vcc_lo, 0xc2ce8ed0, v40
	v_rndne_f32_e32 v42, v41
	v_fma_f32 v43, 0x3fb8aa3b, v40, -v41
	s_delay_alu instid0(VALU_DEP_2) | instskip(NEXT) | instid1(VALU_DEP_2)
	v_sub_f32_e32 v41, v41, v42
	v_fmamk_f32 v43, v40, 0x32a5705f, v43
	v_cvt_i32_f32_e32 v42, v42
	s_delay_alu instid0(VALU_DEP_2) | instskip(NEXT) | instid1(VALU_DEP_1)
	v_add_f32_e32 v41, v41, v43
	v_exp_f32_e32 v41, v41
	s_waitcnt_depctr 0xfff
	v_ldexp_f32 v41, v41, v42
	s_delay_alu instid0(VALU_DEP_1) | instskip(SKIP_1) | instid1(VALU_DEP_2)
	v_cndmask_b32_e32 v41, 0, v41, vcc_lo
	v_cmp_nlt_f32_e32 vcc_lo, 0x42b17218, v40
	v_cndmask_b32_e32 v40, 0x7f800000, v41, vcc_lo
	s_delay_alu instid0(VALU_DEP_1) | instskip(NEXT) | instid1(VALU_DEP_1)
	v_add_f32_e32 v40, 1.0, v40
	v_rcp_f32_e32 v40, v40
	s_waitcnt_depctr 0xfff
	v_fma_f32 v40, v40, -2.0, 1.0
.LBB25_664:
	s_or_saveexec_b32 s0, s0
	v_wmma_f32_16x16x16_f16 v[104:111], v[112:119], v[32:39], v[104:111]
	s_xor_b32 exec_lo, exec_lo, s0
; %bb.665:
	v_mul_f32_e32 v32, v103, v103
	s_mov_b32 s1, 0xbbbac73d
	s_delay_alu instid0(VALU_DEP_1) | instid1(SALU_CYCLE_1)
	v_fmaak_f32 v33, s1, v32, 0x3ca908c9
	s_delay_alu instid0(VALU_DEP_1) | instskip(NEXT) | instid1(VALU_DEP_1)
	v_fmaak_f32 v33, v32, v33, 0xbd5c1c4e
	v_fmaak_f32 v33, v32, v33, 0x3e088382
	s_delay_alu instid0(VALU_DEP_1) | instskip(NEXT) | instid1(VALU_DEP_1)
	v_fmaak_f32 v33, v32, v33, 0xbeaaaa99
	v_mul_f32_e64 v33, |v103|, v33
	s_delay_alu instid0(VALU_DEP_1)
	v_fma_f32 v40, v32, v33, |v103|
; %bb.666:
	s_or_b32 exec_lo, exec_lo, s0
	v_cmp_ngt_f32_e64 s0, 0x3f200000, |v104|
                                        ; implicit-def: $vgpr32
	s_delay_alu instid0(VALU_DEP_1) | instskip(NEXT) | instid1(SALU_CYCLE_1)
	s_and_saveexec_b32 s1, s0
	s_xor_b32 s0, exec_lo, s1
	s_cbranch_execz .LBB25_668
; %bb.667:
	v_add_f32_e64 v32, |v104|, |v104|
	s_delay_alu instid0(VALU_DEP_1) | instskip(SKIP_1) | instid1(VALU_DEP_2)
	v_mul_f32_e32 v33, 0x3fb8aa3b, v32
	v_cmp_ngt_f32_e32 vcc_lo, 0xc2ce8ed0, v32
	v_rndne_f32_e32 v34, v33
	v_fma_f32 v35, 0x3fb8aa3b, v32, -v33
	s_delay_alu instid0(VALU_DEP_2) | instskip(NEXT) | instid1(VALU_DEP_2)
	v_sub_f32_e32 v33, v33, v34
	v_fmamk_f32 v35, v32, 0x32a5705f, v35
	v_cvt_i32_f32_e32 v34, v34
	s_delay_alu instid0(VALU_DEP_2) | instskip(NEXT) | instid1(VALU_DEP_1)
	v_add_f32_e32 v33, v33, v35
	v_exp_f32_e32 v33, v33
	s_waitcnt_depctr 0xfff
	v_ldexp_f32 v33, v33, v34
	s_delay_alu instid0(VALU_DEP_1) | instskip(SKIP_1) | instid1(VALU_DEP_2)
	v_cndmask_b32_e32 v33, 0, v33, vcc_lo
	v_cmp_nlt_f32_e32 vcc_lo, 0x42b17218, v32
	v_cndmask_b32_e32 v32, 0x7f800000, v33, vcc_lo
	s_delay_alu instid0(VALU_DEP_1) | instskip(NEXT) | instid1(VALU_DEP_1)
	v_add_f32_e32 v32, 1.0, v32
	v_rcp_f32_e32 v32, v32
	s_waitcnt_depctr 0xfff
	v_fma_f32 v32, v32, -2.0, 1.0
.LBB25_668:
	s_and_not1_saveexec_b32 s0, s0
; %bb.669:
	v_mul_f32_e32 v32, v104, v104
	s_mov_b32 s1, 0xbbbac73d
	s_delay_alu instid0(VALU_DEP_1) | instid1(SALU_CYCLE_1)
	v_fmaak_f32 v33, s1, v32, 0x3ca908c9
	s_delay_alu instid0(VALU_DEP_1) | instskip(NEXT) | instid1(VALU_DEP_1)
	v_fmaak_f32 v33, v32, v33, 0xbd5c1c4e
	v_fmaak_f32 v33, v32, v33, 0x3e088382
	s_delay_alu instid0(VALU_DEP_1) | instskip(NEXT) | instid1(VALU_DEP_1)
	v_fmaak_f32 v33, v32, v33, 0xbeaaaa99
	v_mul_f32_e64 v33, |v104|, v33
	s_delay_alu instid0(VALU_DEP_1)
	v_fma_f32 v32, v32, v33, |v104|
; %bb.670:
	s_or_b32 exec_lo, exec_lo, s0
	v_cmp_ngt_f32_e64 s0, 0x3f200000, |v105|
                                        ; implicit-def: $vgpr33
	s_delay_alu instid0(VALU_DEP_1) | instskip(NEXT) | instid1(SALU_CYCLE_1)
	s_and_saveexec_b32 s1, s0
	s_xor_b32 s0, exec_lo, s1
	s_cbranch_execz .LBB25_672
; %bb.671:
	v_add_f32_e64 v33, |v105|, |v105|
	s_delay_alu instid0(VALU_DEP_1) | instskip(SKIP_1) | instid1(VALU_DEP_2)
	v_mul_f32_e32 v34, 0x3fb8aa3b, v33
	v_cmp_ngt_f32_e32 vcc_lo, 0xc2ce8ed0, v33
	v_rndne_f32_e32 v35, v34
	v_fma_f32 v36, 0x3fb8aa3b, v33, -v34
	s_delay_alu instid0(VALU_DEP_2) | instskip(NEXT) | instid1(VALU_DEP_2)
	v_sub_f32_e32 v34, v34, v35
	v_fmamk_f32 v36, v33, 0x32a5705f, v36
	v_cvt_i32_f32_e32 v35, v35
	s_delay_alu instid0(VALU_DEP_2) | instskip(NEXT) | instid1(VALU_DEP_1)
	v_add_f32_e32 v34, v34, v36
	v_exp_f32_e32 v34, v34
	s_waitcnt_depctr 0xfff
	v_ldexp_f32 v34, v34, v35
	s_delay_alu instid0(VALU_DEP_1) | instskip(SKIP_1) | instid1(VALU_DEP_2)
	v_cndmask_b32_e32 v34, 0, v34, vcc_lo
	v_cmp_nlt_f32_e32 vcc_lo, 0x42b17218, v33
	v_cndmask_b32_e32 v33, 0x7f800000, v34, vcc_lo
	s_delay_alu instid0(VALU_DEP_1) | instskip(NEXT) | instid1(VALU_DEP_1)
	v_add_f32_e32 v33, 1.0, v33
	v_rcp_f32_e32 v33, v33
	s_waitcnt_depctr 0xfff
	v_fma_f32 v33, v33, -2.0, 1.0
.LBB25_672:
	s_and_not1_saveexec_b32 s0, s0
; %bb.673:
	v_mul_f32_e32 v33, v105, v105
	s_mov_b32 s1, 0xbbbac73d
	s_delay_alu instid0(VALU_DEP_1) | instid1(SALU_CYCLE_1)
	v_fmaak_f32 v34, s1, v33, 0x3ca908c9
	s_delay_alu instid0(VALU_DEP_1) | instskip(NEXT) | instid1(VALU_DEP_1)
	v_fmaak_f32 v34, v33, v34, 0xbd5c1c4e
	v_fmaak_f32 v34, v33, v34, 0x3e088382
	s_delay_alu instid0(VALU_DEP_1) | instskip(NEXT) | instid1(VALU_DEP_1)
	v_fmaak_f32 v34, v33, v34, 0xbeaaaa99
	v_mul_f32_e64 v34, |v105|, v34
	s_delay_alu instid0(VALU_DEP_1)
	v_fma_f32 v33, v33, v34, |v105|
; %bb.674:
	s_or_b32 exec_lo, exec_lo, s0
	v_cmp_ngt_f32_e64 s0, 0x3f200000, |v106|
                                        ; implicit-def: $vgpr34
	s_delay_alu instid0(VALU_DEP_1) | instskip(NEXT) | instid1(SALU_CYCLE_1)
	s_and_saveexec_b32 s1, s0
	s_xor_b32 s0, exec_lo, s1
	s_cbranch_execz .LBB25_676
; %bb.675:
	v_add_f32_e64 v34, |v106|, |v106|
	s_delay_alu instid0(VALU_DEP_1) | instskip(SKIP_1) | instid1(VALU_DEP_2)
	v_mul_f32_e32 v35, 0x3fb8aa3b, v34
	v_cmp_ngt_f32_e32 vcc_lo, 0xc2ce8ed0, v34
	v_rndne_f32_e32 v36, v35
	v_fma_f32 v37, 0x3fb8aa3b, v34, -v35
	s_delay_alu instid0(VALU_DEP_2) | instskip(NEXT) | instid1(VALU_DEP_2)
	v_sub_f32_e32 v35, v35, v36
	v_fmamk_f32 v37, v34, 0x32a5705f, v37
	v_cvt_i32_f32_e32 v36, v36
	s_delay_alu instid0(VALU_DEP_2) | instskip(NEXT) | instid1(VALU_DEP_1)
	v_add_f32_e32 v35, v35, v37
	v_exp_f32_e32 v35, v35
	s_waitcnt_depctr 0xfff
	v_ldexp_f32 v35, v35, v36
	s_delay_alu instid0(VALU_DEP_1) | instskip(SKIP_1) | instid1(VALU_DEP_2)
	v_cndmask_b32_e32 v35, 0, v35, vcc_lo
	v_cmp_nlt_f32_e32 vcc_lo, 0x42b17218, v34
	v_cndmask_b32_e32 v34, 0x7f800000, v35, vcc_lo
	s_delay_alu instid0(VALU_DEP_1) | instskip(NEXT) | instid1(VALU_DEP_1)
	v_add_f32_e32 v34, 1.0, v34
	v_rcp_f32_e32 v34, v34
	s_waitcnt_depctr 0xfff
	v_fma_f32 v34, v34, -2.0, 1.0
.LBB25_676:
	s_and_not1_saveexec_b32 s0, s0
; %bb.677:
	v_mul_f32_e32 v34, v106, v106
	s_mov_b32 s1, 0xbbbac73d
	s_delay_alu instid0(VALU_DEP_1) | instid1(SALU_CYCLE_1)
	v_fmaak_f32 v35, s1, v34, 0x3ca908c9
	s_delay_alu instid0(VALU_DEP_1) | instskip(NEXT) | instid1(VALU_DEP_1)
	v_fmaak_f32 v35, v34, v35, 0xbd5c1c4e
	v_fmaak_f32 v35, v34, v35, 0x3e088382
	s_delay_alu instid0(VALU_DEP_1) | instskip(NEXT) | instid1(VALU_DEP_1)
	v_fmaak_f32 v35, v34, v35, 0xbeaaaa99
	v_mul_f32_e64 v35, |v106|, v35
	s_delay_alu instid0(VALU_DEP_1)
	v_fma_f32 v34, v34, v35, |v106|
; %bb.678:
	s_or_b32 exec_lo, exec_lo, s0
	v_cmp_ngt_f32_e64 s0, 0x3f200000, |v107|
                                        ; implicit-def: $vgpr35
	s_delay_alu instid0(VALU_DEP_1) | instskip(NEXT) | instid1(SALU_CYCLE_1)
	s_and_saveexec_b32 s1, s0
	s_xor_b32 s0, exec_lo, s1
	s_cbranch_execz .LBB25_680
; %bb.679:
	v_add_f32_e64 v35, |v107|, |v107|
	s_delay_alu instid0(VALU_DEP_1) | instskip(SKIP_1) | instid1(VALU_DEP_2)
	v_mul_f32_e32 v36, 0x3fb8aa3b, v35
	v_cmp_ngt_f32_e32 vcc_lo, 0xc2ce8ed0, v35
	v_rndne_f32_e32 v37, v36
	v_fma_f32 v38, 0x3fb8aa3b, v35, -v36
	s_delay_alu instid0(VALU_DEP_2) | instskip(NEXT) | instid1(VALU_DEP_2)
	v_sub_f32_e32 v36, v36, v37
	v_fmamk_f32 v38, v35, 0x32a5705f, v38
	v_cvt_i32_f32_e32 v37, v37
	s_delay_alu instid0(VALU_DEP_2) | instskip(NEXT) | instid1(VALU_DEP_1)
	v_add_f32_e32 v36, v36, v38
	v_exp_f32_e32 v36, v36
	s_waitcnt_depctr 0xfff
	v_ldexp_f32 v36, v36, v37
	s_delay_alu instid0(VALU_DEP_1) | instskip(SKIP_1) | instid1(VALU_DEP_2)
	v_cndmask_b32_e32 v36, 0, v36, vcc_lo
	v_cmp_nlt_f32_e32 vcc_lo, 0x42b17218, v35
	v_cndmask_b32_e32 v35, 0x7f800000, v36, vcc_lo
	s_delay_alu instid0(VALU_DEP_1) | instskip(NEXT) | instid1(VALU_DEP_1)
	v_add_f32_e32 v35, 1.0, v35
	v_rcp_f32_e32 v35, v35
	s_waitcnt_depctr 0xfff
	v_fma_f32 v35, v35, -2.0, 1.0
.LBB25_680:
	s_and_not1_saveexec_b32 s0, s0
; %bb.681:
	v_mul_f32_e32 v35, v107, v107
	s_mov_b32 s1, 0xbbbac73d
	s_delay_alu instid0(VALU_DEP_1) | instid1(SALU_CYCLE_1)
	v_fmaak_f32 v36, s1, v35, 0x3ca908c9
	s_delay_alu instid0(VALU_DEP_1) | instskip(NEXT) | instid1(VALU_DEP_1)
	v_fmaak_f32 v36, v35, v36, 0xbd5c1c4e
	v_fmaak_f32 v36, v35, v36, 0x3e088382
	s_delay_alu instid0(VALU_DEP_1) | instskip(NEXT) | instid1(VALU_DEP_1)
	v_fmaak_f32 v36, v35, v36, 0xbeaaaa99
	v_mul_f32_e64 v36, |v107|, v36
	s_delay_alu instid0(VALU_DEP_1)
	v_fma_f32 v35, v35, v36, |v107|
; %bb.682:
	s_or_b32 exec_lo, exec_lo, s0
	v_cmp_ngt_f32_e64 s0, 0x3f200000, |v108|
                                        ; implicit-def: $vgpr36
	s_delay_alu instid0(VALU_DEP_1) | instskip(NEXT) | instid1(SALU_CYCLE_1)
	s_and_saveexec_b32 s1, s0
	s_xor_b32 s0, exec_lo, s1
	s_cbranch_execz .LBB25_684
; %bb.683:
	v_add_f32_e64 v36, |v108|, |v108|
	s_delay_alu instid0(VALU_DEP_1) | instskip(SKIP_1) | instid1(VALU_DEP_2)
	v_mul_f32_e32 v37, 0x3fb8aa3b, v36
	v_cmp_ngt_f32_e32 vcc_lo, 0xc2ce8ed0, v36
	v_rndne_f32_e32 v38, v37
	v_fma_f32 v39, 0x3fb8aa3b, v36, -v37
	s_delay_alu instid0(VALU_DEP_2) | instskip(NEXT) | instid1(VALU_DEP_2)
	v_sub_f32_e32 v37, v37, v38
	v_fmamk_f32 v39, v36, 0x32a5705f, v39
	v_cvt_i32_f32_e32 v38, v38
	s_delay_alu instid0(VALU_DEP_2) | instskip(NEXT) | instid1(VALU_DEP_1)
	v_add_f32_e32 v37, v37, v39
	v_exp_f32_e32 v37, v37
	s_waitcnt_depctr 0xfff
	v_ldexp_f32 v37, v37, v38
	s_delay_alu instid0(VALU_DEP_1) | instskip(SKIP_1) | instid1(VALU_DEP_2)
	v_cndmask_b32_e32 v37, 0, v37, vcc_lo
	v_cmp_nlt_f32_e32 vcc_lo, 0x42b17218, v36
	v_cndmask_b32_e32 v36, 0x7f800000, v37, vcc_lo
	s_delay_alu instid0(VALU_DEP_1) | instskip(NEXT) | instid1(VALU_DEP_1)
	v_add_f32_e32 v36, 1.0, v36
	v_rcp_f32_e32 v36, v36
	s_waitcnt_depctr 0xfff
	v_fma_f32 v36, v36, -2.0, 1.0
.LBB25_684:
	s_and_not1_saveexec_b32 s0, s0
; %bb.685:
	v_mul_f32_e32 v36, v108, v108
	s_mov_b32 s1, 0xbbbac73d
	s_delay_alu instid0(VALU_DEP_1) | instid1(SALU_CYCLE_1)
	v_fmaak_f32 v37, s1, v36, 0x3ca908c9
	s_delay_alu instid0(VALU_DEP_1) | instskip(NEXT) | instid1(VALU_DEP_1)
	v_fmaak_f32 v37, v36, v37, 0xbd5c1c4e
	v_fmaak_f32 v37, v36, v37, 0x3e088382
	s_delay_alu instid0(VALU_DEP_1) | instskip(NEXT) | instid1(VALU_DEP_1)
	v_fmaak_f32 v37, v36, v37, 0xbeaaaa99
	v_mul_f32_e64 v37, |v108|, v37
	s_delay_alu instid0(VALU_DEP_1)
	v_fma_f32 v36, v36, v37, |v108|
; %bb.686:
	s_or_b32 exec_lo, exec_lo, s0
	v_cmp_ngt_f32_e64 s0, 0x3f200000, |v109|
                                        ; implicit-def: $vgpr37
	s_delay_alu instid0(VALU_DEP_1) | instskip(NEXT) | instid1(SALU_CYCLE_1)
	s_and_saveexec_b32 s1, s0
	s_xor_b32 s0, exec_lo, s1
	s_cbranch_execz .LBB25_688
; %bb.687:
	v_add_f32_e64 v37, |v109|, |v109|
	s_delay_alu instid0(VALU_DEP_1) | instskip(SKIP_1) | instid1(VALU_DEP_2)
	v_mul_f32_e32 v38, 0x3fb8aa3b, v37
	v_cmp_ngt_f32_e32 vcc_lo, 0xc2ce8ed0, v37
	v_rndne_f32_e32 v39, v38
	v_fma_f32 v41, 0x3fb8aa3b, v37, -v38
	s_delay_alu instid0(VALU_DEP_1) | instskip(SKIP_1) | instid1(VALU_DEP_2)
	v_dual_sub_f32 v38, v38, v39 :: v_dual_fmamk_f32 v41, v37, 0x32a5705f, v41
	v_cvt_i32_f32_e32 v39, v39
	v_add_f32_e32 v38, v38, v41
	s_delay_alu instid0(VALU_DEP_1) | instskip(SKIP_2) | instid1(VALU_DEP_1)
	v_exp_f32_e32 v38, v38
	s_waitcnt_depctr 0xfff
	v_ldexp_f32 v38, v38, v39
	v_cndmask_b32_e32 v38, 0, v38, vcc_lo
	v_cmp_nlt_f32_e32 vcc_lo, 0x42b17218, v37
	s_delay_alu instid0(VALU_DEP_2) | instskip(NEXT) | instid1(VALU_DEP_1)
	v_cndmask_b32_e32 v37, 0x7f800000, v38, vcc_lo
	v_add_f32_e32 v37, 1.0, v37
	s_delay_alu instid0(VALU_DEP_1)
	v_rcp_f32_e32 v37, v37
	s_waitcnt_depctr 0xfff
	v_fma_f32 v37, v37, -2.0, 1.0
.LBB25_688:
	s_and_not1_saveexec_b32 s0, s0
; %bb.689:
	v_mul_f32_e32 v37, v109, v109
	s_mov_b32 s1, 0xbbbac73d
	s_delay_alu instid0(VALU_DEP_1) | instid1(SALU_CYCLE_1)
	v_fmaak_f32 v38, s1, v37, 0x3ca908c9
	s_delay_alu instid0(VALU_DEP_1) | instskip(NEXT) | instid1(VALU_DEP_1)
	v_fmaak_f32 v38, v37, v38, 0xbd5c1c4e
	v_fmaak_f32 v38, v37, v38, 0x3e088382
	s_delay_alu instid0(VALU_DEP_1) | instskip(NEXT) | instid1(VALU_DEP_1)
	v_fmaak_f32 v38, v37, v38, 0xbeaaaa99
	v_mul_f32_e64 v38, |v109|, v38
	s_delay_alu instid0(VALU_DEP_1)
	v_fma_f32 v37, v37, v38, |v109|
; %bb.690:
	s_or_b32 exec_lo, exec_lo, s0
	v_cmp_ngt_f32_e64 s0, 0x3f200000, |v110|
                                        ; implicit-def: $vgpr38
	s_delay_alu instid0(VALU_DEP_1) | instskip(NEXT) | instid1(SALU_CYCLE_1)
	s_and_saveexec_b32 s1, s0
	s_xor_b32 s0, exec_lo, s1
	s_cbranch_execz .LBB25_692
; %bb.691:
	v_add_f32_e64 v38, |v110|, |v110|
	s_delay_alu instid0(VALU_DEP_1) | instskip(SKIP_1) | instid1(VALU_DEP_2)
	v_mul_f32_e32 v39, 0x3fb8aa3b, v38
	v_cmp_ngt_f32_e32 vcc_lo, 0xc2ce8ed0, v38
	v_rndne_f32_e32 v41, v39
	v_fma_f32 v42, 0x3fb8aa3b, v38, -v39
	s_delay_alu instid0(VALU_DEP_1) | instskip(SKIP_1) | instid1(VALU_DEP_2)
	v_dual_sub_f32 v39, v39, v41 :: v_dual_fmamk_f32 v42, v38, 0x32a5705f, v42
	v_cvt_i32_f32_e32 v41, v41
	v_add_f32_e32 v39, v39, v42
	s_delay_alu instid0(VALU_DEP_1) | instskip(SKIP_2) | instid1(VALU_DEP_1)
	v_exp_f32_e32 v39, v39
	s_waitcnt_depctr 0xfff
	v_ldexp_f32 v39, v39, v41
	v_cndmask_b32_e32 v39, 0, v39, vcc_lo
	v_cmp_nlt_f32_e32 vcc_lo, 0x42b17218, v38
	s_delay_alu instid0(VALU_DEP_2) | instskip(NEXT) | instid1(VALU_DEP_1)
	v_cndmask_b32_e32 v38, 0x7f800000, v39, vcc_lo
	v_add_f32_e32 v38, 1.0, v38
	s_delay_alu instid0(VALU_DEP_1)
	v_rcp_f32_e32 v38, v38
	s_waitcnt_depctr 0xfff
	v_fma_f32 v38, v38, -2.0, 1.0
.LBB25_692:
	s_and_not1_saveexec_b32 s0, s0
; %bb.693:
	v_mul_f32_e32 v38, v110, v110
	s_mov_b32 s1, 0xbbbac73d
	s_delay_alu instid0(VALU_DEP_1) | instid1(SALU_CYCLE_1)
	v_fmaak_f32 v39, s1, v38, 0x3ca908c9
	s_delay_alu instid0(VALU_DEP_1) | instskip(NEXT) | instid1(VALU_DEP_1)
	v_fmaak_f32 v39, v38, v39, 0xbd5c1c4e
	v_fmaak_f32 v39, v38, v39, 0x3e088382
	s_delay_alu instid0(VALU_DEP_1) | instskip(NEXT) | instid1(VALU_DEP_1)
	v_fmaak_f32 v39, v38, v39, 0xbeaaaa99
	v_mul_f32_e64 v39, |v110|, v39
	s_delay_alu instid0(VALU_DEP_1)
	v_fma_f32 v38, v38, v39, |v110|
; %bb.694:
	s_or_b32 exec_lo, exec_lo, s0
	v_cmp_ngt_f32_e64 s0, 0x3f200000, |v111|
                                        ; implicit-def: $vgpr39
	s_delay_alu instid0(VALU_DEP_1) | instskip(NEXT) | instid1(SALU_CYCLE_1)
	s_and_saveexec_b32 s1, s0
	s_xor_b32 s0, exec_lo, s1
	s_cbranch_execz .LBB25_696
; %bb.695:
	v_add_f32_e64 v39, |v111|, |v111|
	s_delay_alu instid0(VALU_DEP_1) | instskip(SKIP_1) | instid1(VALU_DEP_2)
	v_mul_f32_e32 v41, 0x3fb8aa3b, v39
	v_cmp_ngt_f32_e32 vcc_lo, 0xc2ce8ed0, v39
	v_rndne_f32_e32 v42, v41
	v_fma_f32 v43, 0x3fb8aa3b, v39, -v41
	s_delay_alu instid0(VALU_DEP_2) | instskip(NEXT) | instid1(VALU_DEP_2)
	v_sub_f32_e32 v41, v41, v42
	v_fmamk_f32 v43, v39, 0x32a5705f, v43
	v_cvt_i32_f32_e32 v42, v42
	s_delay_alu instid0(VALU_DEP_2) | instskip(NEXT) | instid1(VALU_DEP_1)
	v_add_f32_e32 v41, v41, v43
	v_exp_f32_e32 v41, v41
	s_waitcnt_depctr 0xfff
	v_ldexp_f32 v41, v41, v42
	s_delay_alu instid0(VALU_DEP_1) | instskip(SKIP_1) | instid1(VALU_DEP_2)
	v_cndmask_b32_e32 v41, 0, v41, vcc_lo
	v_cmp_nlt_f32_e32 vcc_lo, 0x42b17218, v39
	v_cndmask_b32_e32 v39, 0x7f800000, v41, vcc_lo
	s_delay_alu instid0(VALU_DEP_1) | instskip(NEXT) | instid1(VALU_DEP_1)
	v_add_f32_e32 v39, 1.0, v39
	v_rcp_f32_e32 v39, v39
	s_waitcnt_depctr 0xfff
	v_fma_f32 v39, v39, -2.0, 1.0
.LBB25_696:
	s_and_not1_saveexec_b32 s0, s0
; %bb.697:
	v_mul_f32_e32 v39, v111, v111
	s_mov_b32 s1, 0xbbbac73d
	s_delay_alu instid0(VALU_DEP_1) | instid1(SALU_CYCLE_1)
	v_fmaak_f32 v41, s1, v39, 0x3ca908c9
	s_delay_alu instid0(VALU_DEP_1) | instskip(NEXT) | instid1(VALU_DEP_1)
	v_fmaak_f32 v41, v39, v41, 0xbd5c1c4e
	v_fmaak_f32 v41, v39, v41, 0x3e088382
	s_delay_alu instid0(VALU_DEP_1) | instskip(NEXT) | instid1(VALU_DEP_1)
	v_fmaak_f32 v41, v39, v41, 0xbeaaaa99
	v_mul_f32_e64 v41, |v111|, v41
	s_delay_alu instid0(VALU_DEP_1)
	v_fma_f32 v39, v39, v41, |v111|
; %bb.698:
	s_or_b32 exec_lo, exec_lo, s0
	scratch_load_b32 v41, off, off offset:40 ; 4-byte Folded Reload
	v_lshlrev_b32_e32 v42, 1, v215
	v_bfi_b32 v48, 0x7fffffff, v36, v108
	v_bfi_b32 v49, 0x7fffffff, v37, v109
	v_bfi_b32 v53, 0x7fffffff, v56, v102
	v_bfi_b32 v54, 0x7fffffff, v39, v111
	v_bfi_b32 v50, 0x7fffffff, v38, v110
	v_bfi_b32 v38, 0x7fffffff, v40, v103
	v_bfi_b32 v40, 0x7fffffff, v187, v96
	v_bfi_b32 v43, 0x7fffffff, v188, v97
	v_bfi_b32 v44, 0x7fffffff, v189, v98
	v_bfi_b32 v45, 0x7fffffff, v190, v99
	v_bfi_b32 v46, 0x7fffffff, v88, v100
	v_bfi_b32 v47, 0x7fffffff, v72, v101
	v_bfi_b32 v32, 0x7fffffff, v32, v104
	v_bfi_b32 v33, 0x7fffffff, v33, v105
	v_bfi_b32 v34, 0x7fffffff, v34, v106
	v_bfi_b32 v35, 0x7fffffff, v35, v107
	v_mbcnt_lo_u32_b32 v66, -1, 0
	s_mul_hi_i32 s1, s8, s10
	s_mul_i32 s0, s8, s10
	v_cmp_eq_u32_e64 s2, 1, v215
	s_lshl_b64 s[0:1], s[0:1], 2
	v_xor_b32_e32 v57, 16, v66
	s_add_u32 s0, s11, s0
	s_addc_u32 s1, s13, s1
	s_delay_alu instid0(VALU_DEP_1) | instskip(SKIP_2) | instid1(VALU_DEP_1)
	v_cmp_gt_i32_e32 vcc_lo, 32, v57
	s_waitcnt vmcnt(0)
	v_lshrrev_b32_e32 v41, 2, v41
	v_mul_u32_u24_e32 v41, 0x90, v41
	s_delay_alu instid0(VALU_DEP_1)
	v_add3_u32 v41, 0, v41, v42
	scratch_load_b32 v42, off, off offset:144 ; 4-byte Folded Reload
	s_waitcnt vmcnt(0)
	v_lshl_add_u32 v42, v42, 1, v41
	ds_load_u16 v36, v42 offset:17408
	ds_load_u16 v37, v42 offset:17412
	ds_load_u16 v51, v42 offset:17416
	ds_load_u16 v52, v42 offset:17420
	ds_load_u16 v55, v42 offset:17424
	ds_load_u16 v56, v42 offset:17428
	scratch_load_b32 v39, off, off offset:136 ; 4-byte Folded Reload
	ds_load_u16 v58, v42 offset:17432
	ds_load_u16 v59, v42 offset:17436
	s_waitcnt lgkmcnt(4)
	v_fma_mix_f32 v42, v45, s33, v52 op_sel_hi:[0,0,1]
	s_delay_alu instid0(VALU_DEP_1)
	v_add_f32_e32 v52, 0x40051340, v42
	s_waitcnt vmcnt(0)
	v_lshl_add_u32 v41, v39, 1, v41
	v_fma_mix_f32 v39, v40, s33, v36 op_sel_hi:[0,0,1]
	v_fma_mix_f32 v40, v43, s33, v37 op_sel_hi:[0,0,1]
	ds_load_u16 v36, v41 offset:17408
	ds_load_u16 v37, v41 offset:17412
	;; [unrolled: 1-line block ×8, first 2 shown]
	v_fma_mix_f32 v41, v44, s33, v51 op_sel_hi:[0,0,1]
	v_add_f32_e32 v51, 0x40051340, v40
	v_add_f32_e32 v45, 0x40051340, v39
	s_waitcnt lgkmcnt(11)
	v_fma_mix_f32 v43, v46, s33, v55 op_sel_hi:[0,0,1]
	s_waitcnt lgkmcnt(10)
	v_fma_mix_f32 v44, v47, s33, v56 op_sel_hi:[0,0,1]
	v_add_f32_e32 v47, 0x40051340, v41
	s_waitcnt lgkmcnt(8)
	v_fma_mix_f32 v46, v38, s33, v59 op_sel_hi:[0,0,1]
	v_max3_f32 v51, v227, v45, v51
	v_fma_mix_f32 v45, v53, s33, v58 op_sel_hi:[0,0,1]
	v_add_f32_e32 v53, 0x40051340, v43
	s_delay_alu instid0(VALU_DEP_3)
	v_max3_f32 v51, v51, v47, v52
	s_waitcnt lgkmcnt(7)
	v_fma_mix_f32 v47, v32, s33, v36 op_sel_hi:[0,0,1]
	v_dual_add_f32 v32, 0x40051340, v45 :: v_dual_add_f32 v55, 0x40051340, v44
	s_waitcnt lgkmcnt(6)
	v_fma_mix_f32 v38, v33, s33, v37 op_sel_hi:[0,0,1]
	s_waitcnt lgkmcnt(5)
	v_fma_mix_f32 v37, v34, s33, v60 op_sel_hi:[0,0,1]
	v_dual_add_f32 v52, 0x40051340, v47 :: v_dual_add_f32 v33, 0x40051340, v46
	v_max3_f32 v51, v51, v53, v55
	s_waitcnt lgkmcnt(4)
	v_fma_mix_f32 v36, v35, s33, v61 op_sel_hi:[0,0,1]
	v_add_f32_e32 v53, 0x40051340, v38
	s_waitcnt lgkmcnt(3)
	v_fma_mix_f32 v35, v48, s33, v62 op_sel_hi:[0,0,1]
	v_add_f32_e32 v48, 0x40051340, v37
	v_max3_f32 v32, v51, v32, v33
	s_waitcnt lgkmcnt(2)
	v_fma_mix_f32 v34, v49, s33, v63 op_sel_hi:[0,0,1]
	v_add_f32_e32 v49, 0x40051340, v36
	s_waitcnt lgkmcnt(1)
	v_fma_mix_f32 v33, v50, s33, v64 op_sel_hi:[0,0,1]
	v_add_f32_e32 v50, 0x40051340, v35
	v_max3_f32 v51, v32, v52, v53
	v_add_f32_e32 v52, 0x40051340, v34
	s_waitcnt lgkmcnt(0)
	v_fma_mix_f32 v32, v54, s33, v65 op_sel_hi:[0,0,1]
	s_delay_alu instid0(VALU_DEP_3) | instskip(SKIP_2) | instid1(VALU_DEP_4)
	v_max3_f32 v48, v51, v48, v49
	v_cndmask_b32_e32 v49, v66, v57, vcc_lo
	v_add_f32_e32 v51, 0x40051340, v33
	v_add_f32_e32 v53, 0x40051340, v32
	s_delay_alu instid0(VALU_DEP_4) | instskip(NEXT) | instid1(VALU_DEP_4)
	v_max3_f32 v48, v48, v50, v52
	v_lshlrev_b32_e32 v104, 2, v49
	s_delay_alu instid0(VALU_DEP_2) | instskip(SKIP_3) | instid1(VALU_DEP_1)
	v_max3_f32 v48, v48, v51, v53
	ds_bpermute_b32 v49, v104, v48
	s_waitcnt lgkmcnt(0)
	v_max_f32_e32 v49, v49, v49
	v_max_f32_e32 v105, v48, v49
	v_mul_lo_u32 v48, v225, s10
	s_delay_alu instid0(VALU_DEP_2) | instskip(NEXT) | instid1(VALU_DEP_1)
	v_sub_f32_e32 v80, v45, v105
	v_mul_f32_e32 v52, 0x3fb8aa3b, v80
	v_sub_f32_e32 v40, v40, v105
	v_sub_f32_e32 v81, v46, v105
	;; [unrolled: 1-line block ×4, first 2 shown]
	v_rndne_f32_e32 v67, v52
	v_mul_f32_e32 v46, 0x3fb8aa3b, v40
	v_sub_f32_e32 v36, v36, v105
	v_sub_f32_e32 v34, v34, v105
	;; [unrolled: 1-line block ×3, first 2 shown]
	v_cvt_i32_f32_e32 v77, v67
	v_fma_f32 v56, 0x3fb8aa3b, v40, -v46
	v_sub_f32_e32 v39, v39, v105
	v_rndne_f32_e32 v57, v46
	s_delay_alu instid0(VALU_DEP_3) | instskip(NEXT) | instid1(VALU_DEP_3)
	v_fmac_f32_e32 v56, 0x32a5705f, v40
	v_dual_sub_f32 v42, v42, v105 :: v_dual_mul_f32 v45, 0x3fb8aa3b, v39
	s_delay_alu instid0(VALU_DEP_3) | instskip(SKIP_2) | instid1(VALU_DEP_4)
	v_sub_f32_e32 v46, v46, v57
	v_sub_f32_e32 v44, v44, v105
	v_cvt_i32_f32_e32 v57, v57
	v_mul_f32_e32 v49, 0x3fb8aa3b, v42
	v_fma_f32 v54, 0x3fb8aa3b, v39, -v45
	v_sub_f32_e32 v41, v41, v105
	v_rndne_f32_e32 v55, v45
	v_sub_f32_e32 v82, v47, v105
	v_add_f32_e32 v46, v46, v56
	v_fmac_f32_e32 v54, 0x32a5705f, v39
	v_mul_f32_e32 v47, 0x3fb8aa3b, v41
	v_sub_f32_e32 v45, v45, v55
	v_cvt_i32_f32_e32 v55, v55
	v_exp_f32_e32 v46, v46
	v_mul_f32_e32 v51, 0x3fb8aa3b, v44
	v_fma_f32 v58, 0x3fb8aa3b, v41, -v47
	v_rndne_f32_e32 v59, v47
	v_add_f32_e32 v45, v45, v54
	v_fma_f32 v60, 0x3fb8aa3b, v42, -v49
	v_sub_f32_e32 v43, v43, v105
	s_delay_alu instid0(VALU_DEP_4) | instskip(NEXT) | instid1(VALU_DEP_4)
	v_dual_fmac_f32 v58, 0x32a5705f, v41 :: v_dual_sub_f32 v47, v47, v59
	v_exp_f32_e32 v45, v45
	v_rndne_f32_e32 v61, v49
	v_fma_f32 v66, 0x3fb8aa3b, v80, -v52
	s_delay_alu instid0(VALU_DEP_3)
	v_dual_sub_f32 v52, v52, v67 :: v_dual_add_f32 v47, v47, v58
	v_cmp_ngt_f32_e32 vcc_lo, 0xc2ce8ed0, v39
	v_fma_f32 v64, 0x3fb8aa3b, v44, -v51
	v_cvt_i32_f32_e32 v59, v59
	v_fmac_f32_e32 v60, 0x32a5705f, v42
	v_exp_f32_e32 v47, v47
	s_delay_alu instid0(TRANS32_DEP_2) | instskip(SKIP_3) | instid1(VALU_DEP_4)
	v_ldexp_f32 v45, v45, v55
	v_dual_mul_f32 v50, 0x3fb8aa3b, v43 :: v_dual_sub_f32 v49, v49, v61
	v_fmac_f32_e32 v64, 0x32a5705f, v44
	v_ldexp_f32 v46, v46, v57
	v_cndmask_b32_e32 v45, 0, v45, vcc_lo
	v_cmp_ngt_f32_e32 vcc_lo, 0xc2ce8ed0, v40
	v_fma_f32 v62, 0x3fb8aa3b, v43, -v50
	v_rndne_f32_e32 v63, v50
	v_rndne_f32_e32 v65, v51
	v_dual_add_f32 v49, v49, v60 :: v_dual_cndmask_b32 v46, 0, v46
	v_ldexp_f32 v47, v47, v59
	v_cmp_ngt_f32_e32 vcc_lo, 0xc2ce8ed0, v41
	v_fmac_f32_e32 v62, 0x32a5705f, v43
	v_dual_sub_f32 v50, v50, v63 :: v_dual_mul_f32 v53, 0x3fb8aa3b, v81
	v_dual_sub_f32 v51, v51, v65 :: v_dual_fmac_f32 v66, 0x32a5705f, v80
	v_exp_f32_e32 v49, v49
	v_cndmask_b32_e32 v47, 0, v47, vcc_lo
	v_cmp_nlt_f32_e32 vcc_lo, 0x42b17218, v39
	v_cvt_i32_f32_e32 v61, v61
	v_add_f32_e32 v50, v50, v62
	v_fma_f32 v68, 0x3fb8aa3b, v81, -v53
	v_dual_add_f32 v51, v51, v64 :: v_dual_cndmask_b32 v84, 0x7f800000, v45
	v_cmp_nlt_f32_e32 vcc_lo, 0x42b17218, v40
	s_delay_alu instid0(VALU_DEP_4) | instskip(NEXT) | instid1(TRANS32_DEP_2)
	v_exp_f32_e32 v50, v50
	v_ldexp_f32 v49, v49, v61
	v_fmac_f32_e32 v68, 0x32a5705f, v81
	v_cvt_i32_f32_e32 v54, v63
	v_cndmask_b32_e32 v85, 0x7f800000, v46, vcc_lo
	v_cmp_ngt_f32_e32 vcc_lo, 0xc2ce8ed0, v42
	v_mul_f32_e32 v90, 0x3fb8aa3b, v82
	scratch_load_b32 v45, off, off offset:96 ; 4-byte Folded Reload
	v_exp_f32_e32 v51, v51
	v_add_f32_e32 v40, v84, v85
	v_cndmask_b32_e32 v39, 0, v49, vcc_lo
	v_cmp_nlt_f32_e32 vcc_lo, 0x42b17218, v41
	v_ldexp_f32 v50, v50, v54
	v_rndne_f32_e32 v94, v90
	v_cvt_i32_f32_e32 v56, v65
	v_rndne_f32_e32 v83, v53
	v_cndmask_b32_e32 v86, 0x7f800000, v47, vcc_lo
	v_cmp_ngt_f32_e32 vcc_lo, 0xc2ce8ed0, v43
	v_fma_f32 v93, 0x3fb8aa3b, v82, -v90
	v_ashrrev_i32_e32 v49, 31, v48
	v_cndmask_b32_e32 v41, 0, v50, vcc_lo
	v_cmp_nlt_f32_e32 vcc_lo, 0x42b17218, v42
	v_add_f32_e32 v42, v52, v66
	v_fmac_f32_e32 v93, 0x32a5705f, v82
	v_cndmask_b32_e32 v87, 0x7f800000, v39, vcc_lo
	v_cmp_nlt_f32_e32 vcc_lo, 0x42b17218, v43
	v_add_f32_e32 v39, v86, v40
	scratch_load_b32 v43, off, off offset:88 ; 4-byte Folded Reload
	v_ldexp_f32 v40, v51, v56
	v_exp_f32_e32 v76, v42
	v_dual_cndmask_b32 v88, 0x7f800000, v41 :: v_dual_add_f32 v39, v87, v39
	v_cmp_ngt_f32_e32 vcc_lo, 0xc2ce8ed0, v44
	v_sub_f32_e32 v41, v53, v83
	s_delay_alu instid0(VALU_DEP_3)
	v_add_f32_e32 v89, v88, v39
	scratch_load_b32 v39, off, off offset:80 ; 4-byte Folded Reload
	v_cndmask_b32_e32 v40, 0, v40, vcc_lo
	v_cmp_nlt_f32_e32 vcc_lo, 0x42b17218, v44
	v_add_f32_e32 v92, v41, v68
	v_lshlrev_b64 v[41:42], 2, v[48:49]
	s_delay_alu instid0(VALU_DEP_4) | instskip(NEXT) | instid1(VALU_DEP_2)
	v_cndmask_b32_e32 v91, 0x7f800000, v40, vcc_lo
	v_add_co_u32 v41, vcc_lo, s0, v41
	s_delay_alu instid0(VALU_DEP_3) | instskip(NEXT) | instid1(VALU_DEP_2)
	v_add_co_ci_u32_e32 v42, vcc_lo, s1, v42, vcc_lo
	v_add_co_u32 v41, vcc_lo, v41, v177
	s_delay_alu instid0(VALU_DEP_2) | instskip(SKIP_4) | instid1(VALU_DEP_1)
	v_add_co_ci_u32_e32 v42, vcc_lo, v42, v178, vcc_lo
	s_waitcnt vmcnt(2)
	v_mul_lo_u32 v45, v45, s10
	s_waitcnt vmcnt(1)
	v_mul_lo_u32 v43, v43, s10
	v_ashrrev_i32_e32 v44, 31, v43
	s_waitcnt vmcnt(0)
	v_mul_lo_u32 v39, v39, s10
	s_delay_alu instid0(VALU_DEP_1) | instskip(NEXT) | instid1(VALU_DEP_1)
	v_ashrrev_i32_e32 v40, 31, v39
	v_lshlrev_b64 v[39:40], 2, v[39:40]
	s_delay_alu instid0(VALU_DEP_1) | instskip(NEXT) | instid1(VALU_DEP_2)
	v_add_co_u32 v46, vcc_lo, s0, v39
	v_add_co_ci_u32_e32 v47, vcc_lo, s1, v40, vcc_lo
	v_lshlrev_b64 v[39:40], 2, v[43:44]
	s_delay_alu instid0(VALU_DEP_3) | instskip(NEXT) | instid1(VALU_DEP_3)
	v_add_co_u32 v43, vcc_lo, v46, v177
	v_add_co_ci_u32_e32 v44, vcc_lo, v47, v178, vcc_lo
	scratch_load_b32 v47, off, off offset:104 ; 4-byte Folded Reload
	v_ashrrev_i32_e32 v46, 31, v45
	v_add_co_u32 v48, vcc_lo, s0, v39
	v_add_co_ci_u32_e32 v49, vcc_lo, s1, v40, vcc_lo
	s_delay_alu instid0(VALU_DEP_3) | instskip(NEXT) | instid1(VALU_DEP_3)
	v_lshlrev_b64 v[39:40], 2, v[45:46]
	v_add_co_u32 v45, vcc_lo, v48, v177
	s_delay_alu instid0(VALU_DEP_3) | instskip(SKIP_3) | instid1(VALU_DEP_2)
	v_add_co_ci_u32_e32 v46, vcc_lo, v49, v178, vcc_lo
	scratch_load_b32 v49, off, off offset:112 ; 4-byte Folded Reload
	v_add_co_u32 v50, vcc_lo, s0, v39
	v_add_co_ci_u32_e32 v51, vcc_lo, s1, v40, vcc_lo
	v_add_co_u32 v60, vcc_lo, v50, v177
	s_delay_alu instid0(VALU_DEP_2) | instskip(SKIP_2) | instid1(VALU_DEP_1)
	v_add_co_ci_u32_e32 v61, vcc_lo, v51, v178, vcc_lo
	s_waitcnt vmcnt(1)
	v_mul_lo_u32 v47, v47, s10
	v_ashrrev_i32_e32 v48, 31, v47
	s_waitcnt vmcnt(0)
	v_mul_lo_u32 v49, v49, s10
	s_delay_alu instid0(VALU_DEP_2) | instskip(SKIP_4) | instid1(VALU_DEP_3)
	v_lshlrev_b64 v[39:40], 2, v[47:48]
	scratch_load_b32 v47, off, off offset:120 ; 4-byte Folded Reload
	v_ashrrev_i32_e32 v50, 31, v49
	v_add_co_u32 v48, vcc_lo, s0, v39
	v_add_co_ci_u32_e32 v51, vcc_lo, s1, v40, vcc_lo
	v_lshlrev_b64 v[39:40], 2, v[49:50]
	scratch_load_b32 v49, off, off offset:128 ; 4-byte Folded Reload
	v_add_co_u32 v64, vcc_lo, v48, v177
	v_add_co_ci_u32_e32 v65, vcc_lo, v51, v178, vcc_lo
	v_add_co_u32 v50, vcc_lo, s0, v39
	v_add_co_ci_u32_e32 v51, vcc_lo, s1, v40, vcc_lo
	s_delay_alu instid0(VALU_DEP_2) | instskip(NEXT) | instid1(VALU_DEP_2)
	v_add_co_u32 v68, vcc_lo, v50, v177
	v_add_co_ci_u32_e32 v69, vcc_lo, v51, v178, vcc_lo
	s_waitcnt vmcnt(1)
	v_mul_lo_u32 v47, v47, s10
	s_delay_alu instid0(VALU_DEP_1) | instskip(SKIP_2) | instid1(VALU_DEP_2)
	v_ashrrev_i32_e32 v48, 31, v47
	s_waitcnt vmcnt(0)
	v_mul_lo_u32 v49, v49, s10
	v_lshlrev_b64 v[39:40], 2, v[47:48]
	s_delay_alu instid0(VALU_DEP_1) | instskip(NEXT) | instid1(VALU_DEP_3)
	v_add_co_u32 v47, vcc_lo, s0, v39
	v_ashrrev_i32_e32 v50, 31, v49
	s_delay_alu instid0(VALU_DEP_3) | instskip(NEXT) | instid1(VALU_DEP_3)
	v_add_co_ci_u32_e32 v48, vcc_lo, s1, v40, vcc_lo
	v_add_co_u32 v72, vcc_lo, v47, v177
	s_delay_alu instid0(VALU_DEP_3) | instskip(NEXT) | instid1(VALU_DEP_3)
	v_lshlrev_b64 v[39:40], 2, v[49:50]
	v_add_co_ci_u32_e32 v73, vcc_lo, v48, v178, vcc_lo
	s_clause 0x6
	global_load_b128 v[48:51], v[41:42], off
	global_load_b128 v[52:55], v[43:44], off
	;; [unrolled: 1-line block ×7, first 2 shown]
	v_ldexp_f32 v41, v76, v77
	v_add_co_u32 v39, vcc_lo, s0, v39
	v_add_co_ci_u32_e32 v40, vcc_lo, s1, v40, vcc_lo
	v_cvt_i32_f32_e32 v43, v83
	s_delay_alu instid0(VALU_DEP_3) | instskip(NEXT) | instid1(VALU_DEP_3)
	v_add_co_u32 v39, vcc_lo, v39, v177
	v_add_co_ci_u32_e32 v40, vcc_lo, v40, v178, vcc_lo
	v_cmp_ngt_f32_e32 vcc_lo, 0xc2ce8ed0, v80
	v_add_f32_e32 v42, v91, v89
	v_cmp_eq_u32_e64 s1, 0, v215
	global_load_b128 v[76:79], v[39:40], off
	v_exp_f32_e32 v39, v92
	v_dual_cndmask_b32 v41, 0, v41 :: v_dual_sub_f32 v40, v90, v94
	v_cmp_nlt_f32_e32 vcc_lo, 0x42b17218, v80
	s_waitcnt vmcnt(7)
	ds_store_b128 v184, v[48:51]
	s_waitcnt vmcnt(6)
	ds_store_b128 v185, v[52:55]
	;; [unrolled: 2-line block ×3, first 2 shown]
	scratch_load_b32 v48, off, off offset:32 ; 4-byte Folded Reload
	s_waitcnt vmcnt(5)
	ds_store_b128 v180, v[60:63]
	s_waitcnt vmcnt(4)
	ds_store_b128 v181, v[64:67]
	;; [unrolled: 2-line block ×4, first 2 shown]
	v_add_f32_e32 v40, v40, v93
	scratch_load_b32 v132, off, off offset:24 ; 4-byte Folded Reload
	v_cndmask_b32_e32 v45, 0x7f800000, v41, vcc_lo
	v_ldexp_f32 v39, v39, v43
	v_mul_f32_e32 v41, 0x3fb8aa3b, v38
	v_exp_f32_e32 v40, v40
	v_cmp_ngt_f32_e32 vcc_lo, 0xc2ce8ed0, v81
	v_cvt_i32_f32_e32 v43, v94
	v_add_f32_e32 v42, v45, v42
	v_fma_f32 v44, 0x3fb8aa3b, v38, -v41
	v_rndne_f32_e32 v46, v41
	v_cndmask_b32_e32 v39, 0, v39, vcc_lo
	v_cmp_nlt_f32_e32 vcc_lo, 0x42b17218, v81
	s_waitcnt vmcnt(2)
	ds_store_b128 v176, v[76:79]
	v_fmac_f32_e32 v44, 0x32a5705f, v38
	v_ldexp_f32 v40, v40, v43
	s_waitcnt vmcnt(0) lgkmcnt(0)
	v_cndmask_b32_e32 v39, 0x7f800000, v39, vcc_lo
	v_cmp_ngt_f32_e32 vcc_lo, 0xc2ce8ed0, v82
	s_barrier
	buffer_gl0_inv
	v_add_f32_e32 v42, v39, v42
	v_cndmask_b32_e32 v40, 0, v40, vcc_lo
	v_cmp_nlt_f32_e32 vcc_lo, 0x42b17218, v82
	v_sub_f32_e32 v41, v41, v46
	v_cvt_i32_f32_e32 v46, v46
	s_delay_alu instid0(VALU_DEP_4) | instskip(NEXT) | instid1(VALU_DEP_3)
	v_cndmask_b32_e32 v80, 0x7f800000, v40, vcc_lo
	v_add_f32_e32 v41, v41, v44
	v_cmp_ngt_f32_e32 vcc_lo, 0xc2ce8ed0, v38
	s_delay_alu instid0(VALU_DEP_3) | instskip(NEXT) | instid1(VALU_DEP_3)
	v_add_f32_e32 v42, v80, v42
	v_exp_f32_e32 v40, v41
	s_waitcnt_depctr 0xfff
	v_ldexp_f32 v40, v40, v46
	s_delay_alu instid0(VALU_DEP_1) | instskip(NEXT) | instid1(VALU_DEP_1)
	v_dual_sub_f32 v35, v35, v105 :: v_dual_cndmask_b32 v40, 0, v40
	v_dual_mul_f32 v43, 0x3fb8aa3b, v37 :: v_dual_mul_f32 v46, 0x3fb8aa3b, v35
	v_cmp_nlt_f32_e32 vcc_lo, 0x42b17218, v38
	s_delay_alu instid0(VALU_DEP_2) | instskip(SKIP_1) | instid1(VALU_DEP_4)
	v_fma_f32 v44, 0x3fb8aa3b, v37, -v43
	v_rndne_f32_e32 v47, v43
	v_rndne_f32_e32 v82, v46
	v_cndmask_b32_e32 v38, 0x7f800000, v40, vcc_lo
	v_cmp_ngt_f32_e32 vcc_lo, 0xc2ce8ed0, v37
	s_delay_alu instid0(VALU_DEP_4) | instskip(NEXT) | instid1(VALU_DEP_3)
	v_dual_fmac_f32 v44, 0x32a5705f, v37 :: v_dual_sub_f32 v41, v43, v47
	v_dual_mul_f32 v43, 0x3fb8aa3b, v36 :: v_dual_add_f32 v42, v38, v42
	v_cvt_i32_f32_e32 v47, v47
	s_delay_alu instid0(VALU_DEP_3) | instskip(NEXT) | instid1(VALU_DEP_3)
	v_add_f32_e32 v41, v41, v44
	v_fma_f32 v44, 0x3fb8aa3b, v36, -v43
	v_rndne_f32_e32 v81, v43
	s_delay_alu instid0(VALU_DEP_1) | instskip(NEXT) | instid1(VALU_DEP_1)
	v_dual_fmac_f32 v44, 0x32a5705f, v36 :: v_dual_sub_f32 v43, v43, v81
	v_add_f32_e32 v43, v43, v44
	v_fma_f32 v44, 0x3fb8aa3b, v35, -v46
	s_delay_alu instid0(VALU_DEP_1)
	v_fmac_f32_e32 v44, 0x32a5705f, v35
	v_exp_f32_e32 v41, v41
	s_waitcnt_depctr 0xfff
	v_ldexp_f32 v40, v41, v47
	v_exp_f32_e32 v41, v43
	v_sub_f32_e32 v43, v46, v82
	v_cvt_i32_f32_e32 v46, v81
	s_delay_alu instid0(VALU_DEP_3) | instskip(SKIP_1) | instid1(VALU_DEP_2)
	v_cndmask_b32_e32 v40, 0, v40, vcc_lo
	v_cmp_nlt_f32_e32 vcc_lo, 0x42b17218, v37
	v_cndmask_b32_e32 v37, 0x7f800000, v40, vcc_lo
	v_add_f32_e32 v43, v43, v44
	s_delay_alu instid0(TRANS32_DEP_1)
	v_ldexp_f32 v40, v41, v46
	v_cmp_ngt_f32_e32 vcc_lo, 0xc2ce8ed0, v36
	v_cvt_i32_f32_e32 v44, v82
	v_add_f32_e32 v42, v37, v42
	v_exp_f32_e32 v41, v43
	v_dual_mul_f32 v43, 0x3fb8aa3b, v34 :: v_dual_cndmask_b32 v40, 0, v40
	v_cmp_nlt_f32_e32 vcc_lo, 0x42b17218, v36
	s_delay_alu instid0(VALU_DEP_2) | instskip(SKIP_1) | instid1(VALU_DEP_4)
	v_fma_f32 v46, 0x3fb8aa3b, v34, -v43
	v_rndne_f32_e32 v47, v43
	v_cndmask_b32_e32 v36, 0x7f800000, v40, vcc_lo
	v_cmp_ngt_f32_e32 vcc_lo, 0xc2ce8ed0, v35
	s_delay_alu instid0(TRANS32_DEP_1) | instskip(NEXT) | instid1(VALU_DEP_4)
	v_ldexp_f32 v40, v41, v44
	v_dual_fmac_f32 v46, 0x32a5705f, v34 :: v_dual_sub_f32 v41, v43, v47
	s_delay_alu instid0(VALU_DEP_4) | instskip(SKIP_1) | instid1(VALU_DEP_4)
	v_add_f32_e32 v42, v36, v42
	v_cvt_i32_f32_e32 v47, v47
	v_cndmask_b32_e32 v40, 0, v40, vcc_lo
	v_cmp_nlt_f32_e32 vcc_lo, 0x42b17218, v35
	v_add_f32_e32 v41, v41, v46
	s_delay_alu instid0(VALU_DEP_3) | instskip(SKIP_1) | instid1(VALU_DEP_3)
	v_dual_cndmask_b32 v35, 0x7f800000, v40 :: v_dual_sub_f32 v40, v227, v105
	v_sub_f32_e32 v32, v32, v105
	v_exp_f32_e32 v41, v41
	v_cmp_ngt_f32_e32 vcc_lo, 0xc2ce8ed0, v34
	s_delay_alu instid0(VALU_DEP_3) | instskip(NEXT) | instid1(VALU_DEP_3)
	v_dual_add_f32 v42, v35, v42 :: v_dual_mul_f32 v81, 0x3fb8aa3b, v40
	v_dual_mul_f32 v43, 0x3fb8aa3b, v33 :: v_dual_mul_f32 v82, 0x3fb8aa3b, v32
	s_delay_alu instid0(VALU_DEP_2) | instskip(NEXT) | instid1(VALU_DEP_2)
	v_fma_f32 v83, 0x3fb8aa3b, v40, -v81
	v_fma_f32 v44, 0x3fb8aa3b, v33, -v43
	v_rndne_f32_e32 v46, v43
	v_rndne_f32_e32 v89, v81
	;; [unrolled: 1-line block ×3, first 2 shown]
	s_delay_alu instid0(VALU_DEP_4) | instskip(NEXT) | instid1(VALU_DEP_4)
	v_dual_fmac_f32 v83, 0x32a5705f, v40 :: v_dual_fmac_f32 v44, 0x32a5705f, v33
	v_sub_f32_e32 v43, v43, v46
	v_fma_f32 v90, 0x3fb8aa3b, v32, -v82
	v_ldexp_f32 v41, v41, v47
	v_cvt_i32_f32_e32 v46, v46
	s_delay_alu instid0(VALU_DEP_4) | instskip(SKIP_1) | instid1(VALU_DEP_4)
	v_dual_add_f32 v43, v43, v44 :: v_dual_sub_f32 v44, v81, v89
	v_sub_f32_e32 v81, v82, v92
	v_dual_fmac_f32 v90, 0x32a5705f, v32 :: v_dual_cndmask_b32 v41, 0, v41
	s_delay_alu instid0(VALU_DEP_3) | instskip(NEXT) | instid1(VALU_DEP_3)
	v_exp_f32_e32 v43, v43
	v_add_f32_e32 v44, v44, v83
	v_cmp_nlt_f32_e32 vcc_lo, 0x42b17218, v34
	s_delay_alu instid0(VALU_DEP_3)
	v_add_f32_e32 v47, v81, v90
	ds_bpermute_b32 v90, v104, v35
	v_exp_f32_e32 v44, v44
	v_cndmask_b32_e32 v34, 0x7f800000, v41, vcc_lo
	v_cvt_i32_f32_e32 v41, v89
	v_cmp_ngt_f32_e32 vcc_lo, 0xc2ce8ed0, v33
	v_ldexp_f32 v43, v43, v46
	v_exp_f32_e32 v47, v47
	v_add_f32_e32 v42, v34, v42
	v_cvt_i32_f32_e32 v46, v92
	s_delay_alu instid0(VALU_DEP_3) | instskip(NEXT) | instid1(TRANS32_DEP_2)
	v_cndmask_b32_e32 v43, 0, v43, vcc_lo
	v_ldexp_f32 v41, v44, v41
	v_cmp_ngt_f32_e32 vcc_lo, 0xc2ce8ed0, v40
	s_waitcnt_depctr 0xfff
	v_ldexp_f32 v44, v47, v46
	v_cndmask_b32_e32 v41, 0, v41, vcc_lo
	v_cmp_nlt_f32_e32 vcc_lo, 0x42b17218, v33
	ds_bpermute_b32 v46, v104, v87
	v_cndmask_b32_e32 v81, 0x7f800000, v43, vcc_lo
	v_cmp_ngt_f32_e32 vcc_lo, 0xc2ce8ed0, v32
	ds_bpermute_b32 v43, v104, v86
	v_dual_add_f32 v42, v81, v42 :: v_dual_cndmask_b32 v33, 0, v44
	v_cmp_nlt_f32_e32 vcc_lo, 0x42b17218, v40
	v_cndmask_b32_e32 v41, 0x7f800000, v41, vcc_lo
	v_cmp_nlt_f32_e32 vcc_lo, 0x42b17218, v32
	s_delay_alu instid0(VALU_DEP_4)
	v_cndmask_b32_e32 v82, 0x7f800000, v33, vcc_lo
	v_cmp_le_f32_e32 vcc_lo, 0xc1a00000, v40
	ds_bpermute_b32 v40, v104, v85
	v_add_f32_e32 v106, v82, v42
	v_cndmask_b32_e32 v32, 0, v41, vcc_lo
	v_xor_b32_e32 v41, 1, v215
	s_delay_alu instid0(VALU_DEP_2)
	v_fmac_f32_e32 v106, v228, v32
	v_cvt_f16_f32_e32 v33, v32
	ds_bpermute_b32 v32, v104, v84
	v_cmp_eq_u32_e32 vcc_lo, 0, v41
	v_cmp_eq_u32_e64 s0, 1, v41
	v_pk_mul_f16 v16, v33, v16 op_sel_hi:[0,1]
	v_pk_mul_f16 v17, v33, v17 op_sel_hi:[0,1]
	;; [unrolled: 1-line block ×16, first 2 shown]
	s_waitcnt lgkmcnt(0)
	v_cndmask_b32_e32 v42, v84, v32, vcc_lo
	v_cndmask_b32_e64 v32, v84, v32, s0
	ds_bpermute_b32 v84, v104, v88
	v_pk_mul_f16 v8, v33, v8 op_sel_hi:[0,1]
	v_pk_mul_f16 v9, v33, v9 op_sel_hi:[0,1]
	v_cndmask_b32_e64 v41, v42, v85, s1
	v_cndmask_b32_e64 v44, v32, v85, s2
	v_pk_mul_f16 v10, v33, v10 op_sel_hi:[0,1]
	v_pk_mul_f16 v11, v33, v11 op_sel_hi:[0,1]
	;; [unrolled: 1-line block ×3, first 2 shown]
	v_cndmask_b32_e32 v41, v41, v40, vcc_lo
	v_cndmask_b32_e64 v44, v44, v40, s0
	v_pk_mul_f16 v13, v33, v13 op_sel_hi:[0,1]
	v_pk_mul_f16 v14, v33, v14 op_sel_hi:[0,1]
	;; [unrolled: 1-line block ×3, first 2 shown]
	v_cndmask_b32_e64 v40, v41, v86, s1
	v_pk_mul_f16 v0, v33, v0 op_sel_hi:[0,1]
	v_pk_mul_f16 v1, v33, v1 op_sel_hi:[0,1]
	;; [unrolled: 1-line block ×4, first 2 shown]
	v_cndmask_b32_e32 v83, v40, v43, vcc_lo
	v_pk_mul_f16 v4, v33, v4 op_sel_hi:[0,1]
	v_pk_mul_f16 v5, v33, v5 op_sel_hi:[0,1]
	v_cndmask_b32_e64 v47, v44, v86, s2
	v_pk_mul_f16 v6, v33, v6 op_sel_hi:[0,1]
	v_pk_mul_f16 v7, v33, v7 op_sel_hi:[0,1]
	v_cndmask_b32_e64 v33, v83, v87, s1
	v_cvt_f16_f32_e32 v32, v32
	v_cndmask_b32_e64 v43, v47, v43, s0
	ds_bpermute_b32 v47, v104, v80
	ds_bpermute_b32 v86, v104, v38
	v_cndmask_b32_e32 v33, v33, v46, vcc_lo
	v_cvt_f16_f32_e32 v42, v42
	v_cvt_f16_f32_e32 v41, v41
	s_delay_alu instid0(VALU_DEP_2) | instskip(SKIP_3) | instid1(VALU_DEP_3)
	v_pack_b32_f16 v40, v42, v32
	v_cndmask_b32_e64 v32, v43, v87, s2
	v_cvt_f16_f32_e32 v42, v44
	v_cvt_f16_f32_e32 v43, v43
	v_cndmask_b32_e64 v32, v32, v46, s0
	v_cndmask_b32_e64 v46, v33, v88, s1
	v_cvt_f16_f32_e32 v33, v33
	v_pack_b32_f16 v41, v41, v42
	s_delay_alu instid0(VALU_DEP_4)
	v_cndmask_b32_e64 v85, v32, v88, s2
	s_waitcnt lgkmcnt(2)
	v_cndmask_b32_e32 v46, v46, v84, vcc_lo
	v_cvt_f16_f32_e32 v44, v83
	ds_bpermute_b32 v83, v104, v91
	v_cvt_f16_f32_e32 v32, v32
	v_cndmask_b32_e64 v84, v85, v84, s0
	ds_bpermute_b32 v85, v104, v45
	s_waitcnt lgkmcnt(3)
	v_cndmask_b32_e64 v87, v80, v47, s0
	ds_bpermute_b32 v88, v104, v37
	v_cndmask_b32_e32 v47, v80, v47, vcc_lo
	v_pack_b32_f16 v42, v44, v43
	v_pack_b32_f16 v43, v33, v32
	v_cvt_f16_f32_e32 v32, v46
	v_cvt_f16_f32_e32 v33, v84
	v_cndmask_b32_e64 v46, v46, v91, s1
	v_cndmask_b32_e64 v80, v87, v38, s2
	;; [unrolled: 1-line block ×4, first 2 shown]
	v_pack_b32_f16 v44, v32, v33
	ds_bpermute_b32 v91, v104, v81
	s_waitcnt lgkmcnt(4)
	v_cndmask_b32_e64 v80, v80, v86, s0
	v_cndmask_b32_e32 v38, v38, v86, vcc_lo
	v_cvt_f16_f32_e32 v87, v87
	s_waitcnt lgkmcnt(3)
	v_cndmask_b32_e32 v32, v46, v83, vcc_lo
	ds_bpermute_b32 v46, v104, v36
	v_cndmask_b32_e64 v33, v84, v83, s0
	v_cndmask_b32_e64 v86, v80, v37, s2
	;; [unrolled: 1-line block ×3, first 2 shown]
	v_cvt_f16_f32_e32 v83, v32
	v_cndmask_b32_e64 v32, v32, v45, s1
	ds_bpermute_b32 v84, v104, v39
	v_cvt_f16_f32_e32 v89, v33
	s_waitcnt lgkmcnt(3)
	v_cndmask_b32_e64 v86, v86, v88, s0
	v_dual_cndmask_b32 v37, v37, v88 :: v_dual_cndmask_b32 v32, v32, v85
	v_cndmask_b32_e64 v33, v33, v45, s2
	v_pack_b32_f16 v45, v83, v89
	s_delay_alu instid0(VALU_DEP_4) | instskip(NEXT) | instid1(VALU_DEP_4)
	v_cndmask_b32_e64 v83, v86, v36, s2
	v_cndmask_b32_e64 v36, v37, v36, s1
	ds_bpermute_b32 v88, v104, v34
	v_cndmask_b32_e64 v33, v33, v85, s0
	v_cvt_f16_f32_e32 v85, v32
	v_cndmask_b32_e64 v32, v32, v39, s1
	v_mul_u32_u24_e32 v127, 0x220, v48
	s_waitcnt lgkmcnt(2)
	v_cndmask_b32_e64 v83, v83, v46, s0
	v_cndmask_b32_e32 v36, v36, v46, vcc_lo
	v_cndmask_b32_e64 v39, v33, v39, s2
	v_cvt_f16_f32_e32 v33, v33
	v_add3_u32 v133, 0, v127, v132
	v_cndmask_b32_e64 v46, v83, v35, s2
	v_cndmask_b32_e64 v35, v36, v35, s1
	s_waitcnt lgkmcnt(1)
	v_cndmask_b32_e32 v32, v32, v84, vcc_lo
	v_cndmask_b32_e64 v39, v39, v84, s0
	v_cvt_f16_f32_e32 v84, v47
	v_cndmask_b32_e64 v89, v46, v90, s0
	v_pack_b32_f16 v46, v85, v33
	v_cndmask_b32_e32 v85, v35, v90, vcc_lo
	v_cvt_f16_f32_e32 v32, v32
	v_cvt_f16_f32_e32 v39, v39
	v_cndmask_b32_e64 v33, v89, v34, s2
	v_cvt_f16_f32_e32 v35, v38
	v_cndmask_b32_e64 v34, v85, v34, s1
	v_cvt_f16_f32_e32 v37, v37
	v_pack_b32_f16 v47, v32, v39
	v_pack_b32_f16 v32, v84, v87
	s_waitcnt lgkmcnt(0)
	v_cndmask_b32_e64 v38, v33, v88, s0
	ds_bpermute_b32 v39, v104, v82
	v_dual_cndmask_b32 v84, v34, v88 :: v_dual_add_nc_u32 v131, 0x800, v133
	v_cvt_f16_f32_e32 v33, v80
	v_cvt_f16_f32_e32 v80, v86
	v_cndmask_b32_e64 v34, v38, v81, s2
	s_delay_alu instid0(VALU_DEP_4)
	v_cndmask_b32_e64 v81, v84, v81, s1
	v_cvt_f16_f32_e32 v83, v83
	ds_load_2addr_b32 v[64:65], v133 offset1:16
	ds_load_2addr_b32 v[66:67], v133 offset0:68 offset1:84
	ds_load_2addr_b32 v[68:69], v133 offset0:136 offset1:152
	ds_load_2addr_b32 v[70:71], v133 offset0:204 offset1:220
	v_cndmask_b32_e64 v97, v34, v91, s0
	v_pack_b32_f16 v34, v37, v80
	v_cndmask_b32_e32 v37, v81, v91, vcc_lo
	v_cvt_f16_f32_e32 v36, v36
	v_pack_b32_f16 v33, v35, v33
	v_cndmask_b32_e64 v80, v97, v82, s2
	v_cvt_f16_f32_e32 v125, v84
	v_cndmask_b32_e64 v93, v37, v82, s1
	v_add_nc_u32_e32 v128, 0x400, v133
	v_pack_b32_f16 v35, v36, v83
	s_waitcnt lgkmcnt(4)
	v_cndmask_b32_e64 v98, v80, v39, s0
	v_cvt_f16_f32_e32 v36, v85
	v_cndmask_b32_e32 v39, v93, v39, vcc_lo
	ds_load_2addr_b32 v[73:74], v128 offset0:16 offset1:32
	ds_load_2addr_b32 v[75:76], v128 offset0:84 offset1:100
	;; [unrolled: 1-line block ×8, first 2 shown]
	v_add_nc_u32_e32 v139, 0xc00, v133
	v_add_nc_u32_e32 v48, 0xe00, v133
	v_cvt_f16_f32_e32 v103, v89
	ds_load_2addr_b32 v[89:90], v139 offset0:48 offset1:64
	ds_load_2addr_b32 v[91:92], v139 offset0:116 offset1:132
	;; [unrolled: 1-line block ×4, first 2 shown]
	v_cvt_f16_f32_e64 v129, v97
	v_cvt_f16_f32_e64 v130, v98
	s_waitcnt lgkmcnt(14)
	v_perm_b32 v48, v66, v64, 0x5040100
	s_waitcnt lgkmcnt(12)
	v_perm_b32 v49, v70, v68, 0x5040100
	v_perm_b32 v56, v66, v64, 0x7060302
	;; [unrolled: 1-line block ×3, first 2 shown]
	s_add_i32 s0, 0, 64
	v_cvt_f16_f32_e32 v38, v38
	s_waitcnt lgkmcnt(10)
	v_perm_b32 v50, v75, v73, 0x5040100
	v_perm_b32 v58, v75, v73, 0x7060302
	s_waitcnt lgkmcnt(8)
	v_perm_b32 v51, v79, v77, 0x5040100
	s_waitcnt lgkmcnt(6)
	v_perm_b32 v52, v83, v81, 0x5040100
	v_perm_b32 v60, v83, v81, 0x7060302
	v_add_nc_u32_e32 v83, 0x2000, v133
	s_waitcnt lgkmcnt(4)
	v_perm_b32 v53, v87, v85, 0x5040100
	v_perm_b32 v61, v87, v85, 0x7060302
	v_add_nc_u32_e32 v85, 0x2400, v133
	v_add_nc_u32_e32 v81, 0x2800, v133
	ds_load_2addr_b32 v[97:98], v83 offset0:128 offset1:144
	ds_load_2addr_b32 v[99:100], v83 offset0:196 offset1:212
	;; [unrolled: 1-line block ×6, first 2 shown]
	s_waitcnt lgkmcnt(8)
	v_perm_b32 v54, v91, v89, 0x5040100
	s_waitcnt lgkmcnt(6)
	v_perm_b32 v55, v95, v93, 0x5040100
	v_perm_b32 v59, v79, v77, 0x7060302
	;; [unrolled: 1-line block ×4, first 2 shown]
	v_cvt_f16_f32_e32 v126, v37
	v_wmma_f16_16x16x16_f16 v[16:23], v[48:55], v[40:47], v[16:23]
	v_add_nc_u32_e32 v91, 0x2c00, v133
	v_perm_b32 v64, v67, v65, 0x5040100
	v_perm_b32 v66, v76, v74, 0x5040100
	;; [unrolled: 1-line block ×3, first 2 shown]
	v_wmma_f16_16x16x16_f16 v[16:23], v[56:63], v[40:47], v[16:23] op_sel:[0,0,1]
	v_perm_b32 v68, v84, v82, 0x5040100
	v_perm_b32 v70, v92, v90, 0x5040100
	v_add_nc_u32_e32 v87, 0x3000, v133
	ds_load_2addr_b32 v[117:118], v81 offset0:72 offset1:92
	ds_load_2addr_b32 v[119:120], v81 offset0:140 offset1:160
	;; [unrolled: 1-line block ×8, first 2 shown]
	s_waitcnt lgkmcnt(9)
	v_perm_b32 v58, v73, v72, 0x5040100
	v_perm_b32 v50, v73, v72, 0x7060302
	;; [unrolled: 1-line block ×8, first 2 shown]
	v_add3_u32 v80, s0, v127, v132
	v_pack_b32_f16 v37, v125, v38
	v_pack_b32_f16 v38, v126, v129
	v_perm_b32 v79, v96, v94, 0x7060302
	v_wmma_f16_16x16x16_f16 v[24:31], v[64:71], v[40:47], v[24:31]
	ds_load_2addr_b32 v[93:94], v85 offset0:228 offset1:244
	ds_load_b32 v66, v80 offset:9792
	ds_load_2addr_b32 v[95:96], v81 offset0:40 offset1:56
	ds_load_2addr_b32 v[125:126], v81 offset0:108 offset1:124
	ds_load_b32 v68, v80 offset:10880
	s_add_i32 s0, 0, 0x80
	v_cvt_f16_f32_e32 v39, v39
	v_perm_b32 v74, v76, v74, 0x7060302
	v_perm_b32 v76, v84, v82, 0x7060302
	;; [unrolled: 1-line block ×4, first 2 shown]
	v_add3_u32 v67, s0, v127, v132
	s_add_i32 s0, 0, 0xc0
	v_pack_b32_f16 v36, v36, v103
	v_add3_u32 v103, s0, v127, v132
	v_add_nc_u32_e32 v69, 0x600, v133
	v_pack_b32_f16 v39, v39, v130
	v_perm_b32 v56, v99, v97, 0x5040100
	v_perm_b32 v48, v99, v97, 0x7060302
	;; [unrolled: 1-line block ×4, first 2 shown]
	s_waitcnt lgkmcnt(12)
	v_perm_b32 v59, v118, v116, 0x5040100
	v_perm_b32 v51, v118, v116, 0x7060302
	s_waitcnt lgkmcnt(10)
	v_perm_b32 v60, v109, v120, 0x5040100
	v_perm_b32 v52, v109, v120, 0x7060302
	;; [unrolled: 3-line block ×5, first 2 shown]
	v_wmma_f16_16x16x16_f16 v[24:31], v[72:79], v[40:47], v[24:31] op_sel:[0,0,1]
	v_perm_b32 v72, v100, v98, 0x5040100
	v_perm_b32 v64, v100, v98, 0x7060302
	;; [unrolled: 1-line block ×4, first 2 shown]
	ds_load_b32 v70, v80 offset:11968
	ds_load_b32 v116, v67 offset:9792
	;; [unrolled: 1-line block ×6, first 2 shown]
	s_waitcnt lgkmcnt(7)
	v_perm_b32 v75, v125, v95, 0x5040100
	v_perm_b32 v67, v125, v95, 0x7060302
	s_waitcnt lgkmcnt(6)
	v_perm_b32 v76, v110, v68, 0x5040100
	v_perm_b32 v68, v110, v68, 0x7060302
	;; [unrolled: 1-line block ×3, first 2 shown]
	ds_load_2addr_b32 v[97:98], v133 offset0:32 offset1:48
	ds_load_2addr_b32 v[99:100], v133 offset0:100 offset1:116
	;; [unrolled: 1-line block ×8, first 2 shown]
	v_perm_b32 v69, v114, v112, 0x7060302
	ds_load_2addr_b32 v[111:112], v131 offset0:64 offset1:80
	ds_load_2addr_b32 v[113:114], v131 offset0:132 offset1:148
	;; [unrolled: 1-line block ×3, first 2 shown]
	v_add_nc_u32_e32 v71, 0x1000, v133
	ds_load_2addr_b32 v[133:134], v139 offset0:12 offset1:28
	ds_load_2addr_b32 v[135:136], v139 offset0:80 offset1:96
	;; [unrolled: 1-line block ×12, first 2 shown]
	v_perm_b32 v74, v93, v66, 0x5040100
	v_perm_b32 v66, v93, v66, 0x7060302
	ds_load_2addr_b32 v[157:158], v91 offset0:4 offset1:20
	ds_load_2addr_b32 v[159:160], v91 offset0:72 offset1:88
	;; [unrolled: 1-line block ×3, first 2 shown]
	s_waitcnt lgkmcnt(24)
	v_perm_b32 v78, v99, v97, 0x5040100
	s_waitcnt lgkmcnt(22)
	v_perm_b32 v79, v107, v101, 0x5040100
	;; [unrolled: 2-line block ×8, first 2 shown]
	v_perm_b32 v86, v99, v97, 0x7060302
	v_perm_b32 v87, v107, v101, 0x7060302
	;; [unrolled: 1-line block ×8, first 2 shown]
	v_wmma_f16_16x16x16_f16 v[8:15], v[78:85], v[40:47], v[8:15]
	v_perm_b32 v82, v94, v116, 0x7060302
	v_perm_b32 v83, v126, v96, 0x7060302
	;; [unrolled: 1-line block ×4, first 2 shown]
	v_wmma_f16_16x16x16_f16 v[8:15], v[86:93], v[40:47], v[8:15] op_sel:[0,0,1]
	v_perm_b32 v90, v94, v116, 0x5040100
	v_perm_b32 v91, v126, v96, 0x5040100
	v_perm_b32 v94, v100, v98, 0x5040100
	v_perm_b32 v96, v125, v110, 0x5040100
	v_perm_b32 v97, v130, v128, 0x5040100
	v_perm_b32 v98, v114, v112, 0x5040100
	v_perm_b32 v99, v134, v132, 0x5040100
	v_perm_b32 v100, v138, v136, 0x5040100
	v_perm_b32 v101, v142, v140, 0x5040100
	v_perm_b32 v108, v108, v102, 0x7060302
	v_perm_b32 v109, v125, v110, 0x7060302
	v_perm_b32 v110, v130, v128, 0x7060302
	v_perm_b32 v111, v114, v112, 0x7060302
	v_perm_b32 v112, v134, v132, 0x7060302
	v_perm_b32 v113, v138, v136, 0x7060302
	v_perm_b32 v114, v142, v140, 0x7060302
	v_wmma_f16_16x16x16_f16 v[0:7], v[94:101], v[40:47], v[0:7]
	ds_load_b32 v102, v103 offset:10880
	ds_load_b32 v103, v103 offset:11968
	s_waitcnt lgkmcnt(11)
	v_perm_b32 v78, v143, v70, 0x5040100
	v_perm_b32 v70, v143, v70, 0x7060302
	v_wmma_f16_16x16x16_f16 v[0:7], v[107:114], v[40:47], v[0:7] op_sel:[0,0,1]
	scratch_load_b32 v109, off, off offset:20 ; 4-byte Folded Reload
	ds_bpermute_b32 v107, v104, v106
	s_waitcnt lgkmcnt(10)
	v_perm_b32 v79, v147, v145, 0x5040100
	v_perm_b32 v71, v147, v145, 0x7060302
	s_waitcnt lgkmcnt(8)
	v_perm_b32 v88, v151, v149, 0x5040100
	v_perm_b32 v80, v151, v149, 0x7060302
	s_waitcnt lgkmcnt(6)
	v_perm_b32 v89, v155, v153, 0x5040100
	v_perm_b32 v81, v155, v153, 0x7060302
	s_waitcnt lgkmcnt(5)
	v_perm_b32 v92, v157, v118, 0x5040100
	v_perm_b32 v84, v157, v118, 0x7060302
	s_waitcnt lgkmcnt(3)
	v_perm_b32 v93, v161, v159, 0x5040100
	v_perm_b32 v85, v161, v159, 0x7060302
	v_perm_b32 v94, v144, v120, 0x5040100
	v_perm_b32 v86, v144, v120, 0x7060302
	;; [unrolled: 1-line block ×12, first 2 shown]
	s_waitcnt lgkmcnt(2)
	v_perm_b32 v100, v158, v102, 0x5040100
	v_perm_b32 v44, v158, v102, 0x7060302
	;; [unrolled: 1-line block ×4, first 2 shown]
	s_waitcnt lgkmcnt(1)
	v_perm_b32 v102, v121, v103, 0x5040100
	v_perm_b32 v46, v121, v103, 0x7060302
	;; [unrolled: 1-line block ×4, first 2 shown]
	s_waitcnt vmcnt(0) lgkmcnt(0)
	s_barrier
	buffer_gl0_inv
	v_cmp_gt_u32_e32 vcc_lo, 16, v109
	s_and_saveexec_b32 s0, vcc_lo
	s_cbranch_execz .LBB25_700
; %bb.699:
	v_or_b32_e32 v108, v192, v109
	v_add_f32_e32 v106, v106, v107
	s_delay_alu instid0(VALU_DEP_2)
	v_mad_i32_i24 v108, 0x110, v108, 0
	ds_store_2addr_b32 v108, v105, v106 offset0:64 offset1:65
.LBB25_700:
	s_or_b32 exec_lo, exec_lo, s0
	v_wmma_f16_16x16x16_f16 v[16:23], v[56:63], v[32:39], v[16:23]
	scratch_load_b32 v56, off, off offset:480 ; 4-byte Folded Reload
	v_wmma_f16_16x16x16_f16 v[24:31], v[72:79], v[32:39], v[24:31]
	v_wmma_f16_16x16x16_f16 v[8:15], v[88:95], v[32:39], v[8:15]
	v_wmma_f16_16x16x16_f16 v[0:7], v[96:103], v[32:39], v[0:7]
	s_waitcnt vmcnt(0) lgkmcnt(0)
	s_barrier
	buffer_gl0_inv
	v_cmp_eq_u32_e64 s0, 0, v56
	v_cmp_eq_u32_e64 s1, 1, v56
	s_delay_alu instid0(VALU_DEP_1) | instskip(NEXT) | instid1(SALU_CYCLE_1)
	s_and_saveexec_b32 s2, s1
	s_xor_b32 s1, exec_lo, s2
	s_cbranch_execz .LBB25_702
; %bb.701:
	s_barrier
	buffer_gl0_inv
                                        ; implicit-def: $vgpr104
                                        ; implicit-def: $vgpr56
                                        ; kill: killed $vgpr56
.LBB25_702:
	s_or_saveexec_b32 s4, s1
	v_wmma_f16_16x16x16_f16 v[16:23], v[48:55], v[32:39], v[16:23] op_sel:[0,0,1]
	v_wmma_f16_16x16x16_f16 v[24:31], v[64:71], v[32:39], v[24:31] op_sel:[0,0,1]
	;; [unrolled: 1-line block ×4, first 2 shown]
	s_xor_b32 exec_lo, exec_lo, s4
	s_cbranch_execz .LBB25_706
; %bb.703:
	v_add_nc_u32_e32 v32, v192, v109
	s_mov_b32 s3, 0
	s_delay_alu instid0(VALU_DEP_1)
	v_mad_i32_i24 v36, 0x110, v32, 0
	ds_load_b64 v[34:35], v36 offset:256
	s_waitcnt lgkmcnt(0)
	s_barrier
	buffer_gl0_inv
	v_max_f32_e32 v33, v34, v34
	ds_bpermute_b32 v32, v104, v34
	s_waitcnt lgkmcnt(0)
	v_max_f32_e32 v32, v32, v32
	s_delay_alu instid0(VALU_DEP_1) | instskip(NEXT) | instid1(VALU_DEP_1)
	v_max_f32_e32 v32, v33, v32
	v_sub_f32_e32 v33, v34, v32
	s_delay_alu instid0(VALU_DEP_1) | instskip(SKIP_1) | instid1(VALU_DEP_2)
	v_mul_f32_e32 v34, 0x3fb8aa3b, v33
	v_cmp_ngt_f32_e64 s1, 0xc2ce8ed0, v33
	v_fma_f32 v37, 0x3fb8aa3b, v33, -v34
	v_rndne_f32_e32 v38, v34
	s_delay_alu instid0(VALU_DEP_1) | instskip(NEXT) | instid1(VALU_DEP_1)
	v_dual_fmamk_f32 v37, v33, 0x32a5705f, v37 :: v_dual_sub_f32 v34, v34, v38
	v_add_f32_e32 v34, v34, v37
	v_cvt_i32_f32_e32 v37, v38
	s_delay_alu instid0(VALU_DEP_2) | instskip(SKIP_2) | instid1(VALU_DEP_1)
	v_exp_f32_e32 v34, v34
	s_waitcnt_depctr 0xfff
	v_ldexp_f32 v34, v34, v37
	v_cndmask_b32_e64 v34, 0, v34, s1
	v_cmp_nlt_f32_e64 s1, 0x42b17218, v33
	s_delay_alu instid0(VALU_DEP_1) | instskip(NEXT) | instid1(VALU_DEP_1)
	v_cndmask_b32_e64 v33, 0x7f800000, v34, s1
	v_mul_f32_e32 v34, v35, v33
	ds_bpermute_b32 v34, v104, v34
	s_waitcnt lgkmcnt(0)
	v_fmac_f32_e32 v34, v35, v33
	ds_store_b64 v36, v[33:34] offset:256
	s_and_saveexec_b32 s1, vcc_lo
	s_cbranch_execz .LBB25_705
; %bb.704:
	scratch_load_b32 v33, off, off offset:476 ; 4-byte Folded Reload
	s_add_i32 s2, s37, s36
	s_delay_alu instid0(SALU_CYCLE_1) | instskip(NEXT) | instid1(SALU_CYCLE_1)
	s_lshl_b32 s2, s2, 5
	s_lshl_b64 s[2:3], s[2:3], 3
	s_delay_alu instid0(SALU_CYCLE_1) | instskip(SKIP_3) | instid1(VALU_DEP_1)
	s_add_u32 s2, s30, s2
	s_addc_u32 s3, s31, s3
	s_waitcnt vmcnt(0)
	v_or_b32_e32 v33, v33, v109
	v_lshlrev_b32_e32 v35, 3, v33
	v_mov_b32_e32 v33, v34
	global_store_b64 v35, v[32:33], s[2:3]
.LBB25_705:
	s_or_b32 exec_lo, exec_lo, s1
.LBB25_706:
	s_delay_alu instid0(SALU_CYCLE_1) | instskip(SKIP_4) | instid1(VALU_DEP_1)
	s_or_b32 exec_lo, exec_lo, s4
	scratch_load_b32 v32, off, off offset:64 ; 4-byte Folded Reload
	s_mov_b32 s1, 0
	s_waitcnt vmcnt(0)
	v_or_b32_e32 v32, v192, v32
	v_mad_i32_i24 v32, 0x44, v32, v215
	s_delay_alu instid0(VALU_DEP_1)
	v_lshl_add_u32 v32, v32, 2, 0
	ds_store_2addr_b32 v32, v16, v17 offset1:2
	ds_store_2addr_b32 v32, v18, v19 offset0:4 offset1:6
	ds_store_2addr_b32 v32, v20, v21 offset0:8 offset1:10
	;; [unrolled: 1-line block ×15, first 2 shown]
	s_waitcnt lgkmcnt(0)
	s_waitcnt_vscnt null, 0x0
	s_barrier
	buffer_gl0_inv
	s_and_saveexec_b32 s2, s0
	s_cbranch_execz .LBB25_708
; %bb.707:
	v_lshrrev_b32_e32 v0, 1, v216
	v_bfe_u32 v18, v216, 1, 4
	v_lshlrev_b32_e32 v1, 2, v109
	v_lshlrev_b32_e32 v12, 5, v216
	s_lshl_b32 s0, s37, 6
	v_add_nc_u32_e32 v14, 2, v0
	v_and_or_b32 v2, 0x3e0, v216, v18
	v_add_nc_u32_e32 v19, 4, v0
	v_add_lshl_u32 v20, v109, v12, 3
	s_lshl_b64 s[4:5], s[0:1], 3
	v_lshlrev_b32_e32 v4, 1, v14
	v_and_b32_e32 v5, 15, v14
	v_mul_u32_u24_e32 v3, 0x44, v2
	v_mad_u32_u24 v2, 0x110, v2, 0
	v_lshlrev_b32_e32 v9, 1, v19
	v_and_b32_e32 v10, 15, v19
	v_and_or_b32 v7, 0x7e0, v4, v5
	v_lshl_add_u32 v6, v3, 2, v179
	v_lshlrev_b32_e32 v21, 6, v14
	ds_load_2addr_stride64_b32 v[2:3], v2 offset0:1 offset1:18
	ds_load_2addr_b32 v[4:5], v6 offset1:32
	v_mad_u32_u24 v8, 0x110, v7, 0
	v_add_nc_u32_e32 v6, 0x1000, v6
	v_and_or_b32 v15, 0x7e0, v9, v10
	s_add_u32 s3, s30, s4
	s_addc_u32 s4, s31, s5
	v_add_nc_u32_e32 v13, v8, v1
	ds_load_2addr_b32 v[6:7], v6 offset0:64 offset1:96
	ds_load_2addr_stride64_b32 v[8:9], v8 offset0:1 offset1:18
	ds_load_2addr_b32 v[10:11], v13 offset1:32
	v_add_nc_u32_e32 v13, 0x1000, v13
	v_mad_u32_u24 v16, 0x110, v15, 0
	s_lshl_b32 s0, s36, 11
	v_lshlrev_b32_e32 v19, 6, v19
	s_lshl_b64 s[0:1], s[0:1], 3
	ds_load_2addr_b32 v[12:13], v13 offset0:64 offset1:96
	ds_load_2addr_stride64_b32 v[14:15], v16 offset0:1 offset1:18
	v_add_nc_u32_e32 v22, v16, v1
	s_add_u32 s0, s3, s0
	s_waitcnt lgkmcnt(5)
	v_fma_mix_f32 v16, v2, v4, 0 op_sel_hi:[0,1,0]
	v_fma_mix_f32 v17, v2, v4, 0 op_sel:[0,1,0] op_sel_hi:[0,1,0]
	v_fma_mix_f32 v23, v2, v5, 0 op_sel_hi:[0,1,0]
	v_fma_mix_f32 v24, v2, v5, 0 op_sel:[0,1,0] op_sel_hi:[0,1,0]
	s_addc_u32 s1, s4, s1
	ds_load_2addr_b32 v[4:5], v22 offset1:32
	v_add_nc_u32_e32 v22, 0x1000, v22
	s_waitcnt lgkmcnt(5)
	v_fma_mix_f32 v16, v3, v6, v16 op_sel_hi:[0,1,0]
	v_fma_mix_f32 v17, v3, v6, v17 op_sel:[0,1,0] op_sel_hi:[0,1,0]
	v_fma_mix_f32 v2, v3, v7, v23 op_sel_hi:[0,1,0]
	v_fma_mix_f32 v3, v3, v7, v24 op_sel:[0,1,0] op_sel_hi:[0,1,0]
	s_waitcnt lgkmcnt(3)
	v_fma_mix_f32 v6, v8, v10, 0 op_sel_hi:[0,1,0]
	v_fma_mix_f32 v7, v8, v10, 0 op_sel:[0,1,0] op_sel_hi:[0,1,0]
	s_clause 0x1
	global_store_b64 v20, v[16:17], s[0:1]
	global_store_b64 v20, v[2:3], s[0:1] offset:256
	v_add_nc_u32_e32 v20, 6, v0
	s_waitcnt lgkmcnt(2)
	v_fma_mix_f32 v2, v9, v12, v6 op_sel_hi:[0,1,0]
	v_add_co_u32 v6, s3, v109, v21
	v_fma_mix_f32 v10, v8, v11, 0 op_sel_hi:[0,1,0]
	v_fma_mix_f32 v3, v9, v12, v7 op_sel:[0,1,0] op_sel_hi:[0,1,0]
	v_add_co_ci_u32_e64 v7, null, 0, 0, s3
	ds_load_2addr_b32 v[16:17], v22 offset0:64 offset1:96
	v_lshlrev_b32_e32 v12, 1, v20
	v_and_b32_e32 v22, 15, v20
	v_fma_mix_f32 v11, v8, v11, 0 op_sel:[0,1,0] op_sel_hi:[0,1,0]
	v_lshlrev_b64 v[6:7], 3, v[6:7]
	v_fma_mix_f32 v8, v9, v13, v10 op_sel_hi:[0,1,0]
	v_add_lshl_u32 v21, v109, v21, 3
	v_and_or_b32 v10, 0x7e0, v12, v22
	v_fma_mix_f32 v9, v9, v13, v11 op_sel:[0,1,0] op_sel_hi:[0,1,0]
	v_add_co_u32 v6, vcc_lo, s0, v6
	s_delay_alu instid0(VALU_DEP_3)
	v_mad_u32_u24 v10, 0x110, v10, 0
	v_add_co_ci_u32_e32 v7, vcc_lo, s1, v7, vcc_lo
	global_store_b64 v21, v[2:3], s[0:1]
	s_waitcnt lgkmcnt(1)
	v_fma_mix_f32 v2, v14, v4, 0 op_sel_hi:[0,1,0]
	v_fma_mix_f32 v3, v14, v4, 0 op_sel:[0,1,0] op_sel_hi:[0,1,0]
	v_add_nc_u32_e32 v4, v10, v1
	global_store_b64 v[6:7], v[8:9], off offset:256
	ds_load_2addr_stride64_b32 v[6:7], v10 offset0:1 offset1:18
	ds_load_2addr_b32 v[8:9], v4 offset1:32
	v_add_nc_u32_e32 v21, 8, v0
	v_add_co_u32 v10, s3, v109, v19
	v_add_nc_u32_e32 v4, 0x1000, v4
	s_waitcnt lgkmcnt(2)
	v_fma_mix_f32 v2, v15, v16, v2 op_sel_hi:[0,1,0]
	v_fma_mix_f32 v3, v15, v16, v3 op_sel:[0,1,0] op_sel_hi:[0,1,0]
	v_fma_mix_f32 v16, v14, v5, 0 op_sel_hi:[0,1,0]
	v_add_co_ci_u32_e64 v11, null, 0, 0, s3
	v_fma_mix_f32 v14, v14, v5, 0 op_sel:[0,1,0] op_sel_hi:[0,1,0]
	v_lshlrev_b32_e32 v22, 1, v21
	v_and_b32_e32 v23, 15, v21
	ds_load_2addr_b32 v[12:13], v4 offset0:64 offset1:96
	v_lshlrev_b64 v[4:5], 3, v[10:11]
	v_fma_mix_f32 v11, v15, v17, v14 op_sel:[0,1,0] op_sel_hi:[0,1,0]
	v_add_lshl_u32 v19, v109, v19, 3
	v_and_or_b32 v14, 0x7e0, v22, v23
	v_fma_mix_f32 v10, v15, v17, v16 op_sel_hi:[0,1,0]
	v_add_co_u32 v4, vcc_lo, s0, v4
	s_delay_alu instid0(VALU_DEP_3)
	v_mad_u32_u24 v14, 0x110, v14, 0
	v_add_co_ci_u32_e32 v5, vcc_lo, s1, v5, vcc_lo
	global_store_b64 v19, v[2:3], s[0:1]
	s_waitcnt lgkmcnt(1)
	v_fma_mix_f32 v2, v6, v8, 0 op_sel_hi:[0,1,0]
	v_fma_mix_f32 v3, v6, v8, 0 op_sel:[0,1,0] op_sel_hi:[0,1,0]
	v_add_nc_u32_e32 v8, v14, v1
	v_lshlrev_b32_e32 v19, 6, v20
	global_store_b64 v[4:5], v[10:11], off offset:256
	ds_load_2addr_stride64_b32 v[4:5], v14 offset0:1 offset1:18
	ds_load_2addr_b32 v[10:11], v8 offset1:32
	v_add_nc_u32_e32 v20, 10, v0
	v_add_co_u32 v14, s3, v109, v19
	s_waitcnt lgkmcnt(2)
	v_fma_mix_f32 v2, v7, v12, v2 op_sel_hi:[0,1,0]
	v_fma_mix_f32 v3, v7, v12, v3 op_sel:[0,1,0] op_sel_hi:[0,1,0]
	v_fma_mix_f32 v12, v6, v9, 0 op_sel_hi:[0,1,0]
	v_add_nc_u32_e32 v8, 0x1000, v8
	v_add_co_ci_u32_e64 v15, null, 0, 0, s3
	v_lshlrev_b32_e32 v23, 1, v20
	v_and_b32_e32 v24, 15, v20
	ds_load_2addr_b32 v[16:17], v8 offset0:64 offset1:96
	v_fma_mix_f32 v22, v6, v9, 0 op_sel:[0,1,0] op_sel_hi:[0,1,0]
	v_lshlrev_b64 v[8:9], 3, v[14:15]
	v_fma_mix_f32 v6, v7, v13, v12 op_sel_hi:[0,1,0]
	v_and_or_b32 v12, 0x7e0, v23, v24
	v_add_lshl_u32 v14, v109, v19, 3
	v_fma_mix_f32 v7, v7, v13, v22 op_sel:[0,1,0] op_sel_hi:[0,1,0]
	v_lshlrev_b32_e32 v19, 6, v21
	v_add_co_u32 v8, vcc_lo, s0, v8
	v_mad_u32_u24 v12, 0x110, v12, 0
	v_add_co_ci_u32_e32 v9, vcc_lo, s1, v9, vcc_lo
	global_store_b64 v14, v[2:3], s[0:1]
	s_waitcnt lgkmcnt(1)
	v_fma_mix_f32 v2, v4, v10, 0 op_sel_hi:[0,1,0]
	v_fma_mix_f32 v3, v4, v10, 0 op_sel:[0,1,0] op_sel_hi:[0,1,0]
	v_add_nc_u32_e32 v10, v12, v1
	global_store_b64 v[8:9], v[6:7], off offset:256
	ds_load_2addr_stride64_b32 v[6:7], v12 offset0:1 offset1:18
	ds_load_2addr_b32 v[8:9], v10 offset1:32
	v_add_nc_u32_e32 v21, 12, v0
	v_add_co_u32 v12, s3, v109, v19
	v_add_nc_u32_e32 v10, 0x1000, v10
	v_add_co_ci_u32_e64 v13, null, 0, 0, s3
	s_delay_alu instid0(VALU_DEP_4)
	v_lshlrev_b32_e32 v23, 1, v21
	v_and_b32_e32 v24, 15, v21
	s_waitcnt lgkmcnt(2)
	v_fma_mix_f32 v2, v5, v16, v2 op_sel_hi:[0,1,0]
	v_fma_mix_f32 v3, v5, v16, v3 op_sel:[0,1,0] op_sel_hi:[0,1,0]
	v_fma_mix_f32 v16, v4, v11, 0 op_sel_hi:[0,1,0]
	ds_load_2addr_b32 v[14:15], v10 offset0:64 offset1:96
	v_fma_mix_f32 v22, v4, v11, 0 op_sel:[0,1,0] op_sel_hi:[0,1,0]
	v_lshlrev_b64 v[10:11], 3, v[12:13]
	v_add_lshl_u32 v12, v109, v19, 3
	v_and_or_b32 v13, 0x7e0, v23, v24
	v_fma_mix_f32 v4, v5, v17, v16 op_sel_hi:[0,1,0]
	v_fma_mix_f32 v5, v5, v17, v22 op_sel:[0,1,0] op_sel_hi:[0,1,0]
	v_lshlrev_b32_e32 v19, 6, v20
	global_store_b64 v12, v[2:3], s[0:1]
	v_mad_u32_u24 v12, 0x110, v13, 0
	v_add_co_u32 v10, vcc_lo, s0, v10
	v_add_co_ci_u32_e32 v11, vcc_lo, s1, v11, vcc_lo
	s_waitcnt lgkmcnt(1)
	v_fma_mix_f32 v2, v6, v8, 0 op_sel_hi:[0,1,0]
	v_fma_mix_f32 v3, v6, v8, 0 op_sel:[0,1,0] op_sel_hi:[0,1,0]
	v_add_nc_u32_e32 v8, v12, v1
	global_store_b64 v[10:11], v[4:5], off offset:256
	ds_load_2addr_stride64_b32 v[4:5], v12 offset0:1 offset1:18
	ds_load_2addr_b32 v[10:11], v8 offset1:32
	v_add_nc_u32_e32 v20, 14, v0
	v_add_co_u32 v12, s3, v109, v19
	v_add_nc_u32_e32 v8, 0x1000, v8
	v_add_co_ci_u32_e64 v13, null, 0, 0, s3
	s_delay_alu instid0(VALU_DEP_4)
	v_lshlrev_b32_e32 v23, 1, v20
	v_and_b32_e32 v24, 15, v20
	s_waitcnt lgkmcnt(2)
	v_fma_mix_f32 v2, v7, v14, v2 op_sel_hi:[0,1,0]
	v_fma_mix_f32 v3, v7, v14, v3 op_sel:[0,1,0] op_sel_hi:[0,1,0]
	v_fma_mix_f32 v14, v6, v9, 0 op_sel_hi:[0,1,0]
	ds_load_2addr_b32 v[16:17], v8 offset0:64 offset1:96
	v_fma_mix_f32 v22, v6, v9, 0 op_sel:[0,1,0] op_sel_hi:[0,1,0]
	v_lshlrev_b64 v[8:9], 3, v[12:13]
	v_and_or_b32 v13, 0x7e0, v23, v24
	v_add_lshl_u32 v12, v109, v19, 3
	v_fma_mix_f32 v6, v7, v15, v14 op_sel_hi:[0,1,0]
	v_fma_mix_f32 v7, v7, v15, v22 op_sel:[0,1,0] op_sel_hi:[0,1,0]
	v_lshlrev_b32_e32 v19, 6, v21
	v_mad_u32_u24 v13, 0x110, v13, 0
	v_add_co_u32 v8, vcc_lo, s0, v8
	v_add_co_ci_u32_e32 v9, vcc_lo, s1, v9, vcc_lo
	global_store_b64 v12, v[2:3], s[0:1]
	s_waitcnt lgkmcnt(1)
	v_fma_mix_f32 v2, v4, v10, 0 op_sel_hi:[0,1,0]
	v_fma_mix_f32 v3, v4, v10, 0 op_sel:[0,1,0] op_sel_hi:[0,1,0]
	v_add_nc_u32_e32 v10, v13, v1
	global_store_b64 v[8:9], v[6:7], off offset:256
	ds_load_2addr_stride64_b32 v[6:7], v13 offset0:1 offset1:18
	ds_load_2addr_b32 v[8:9], v10 offset1:32
	v_add_nc_u32_e32 v21, 16, v0
	v_add_co_u32 v12, s3, v109, v19
	v_add_nc_u32_e32 v10, 0x1000, v10
	v_add_co_ci_u32_e64 v13, null, 0, 0, s3
	s_delay_alu instid0(VALU_DEP_4)
	v_lshlrev_b32_e32 v23, 1, v21
	s_waitcnt lgkmcnt(2)
	v_fma_mix_f32 v2, v5, v16, v2 op_sel_hi:[0,1,0]
	v_fma_mix_f32 v3, v5, v16, v3 op_sel:[0,1,0] op_sel_hi:[0,1,0]
	ds_load_2addr_b32 v[14:15], v10 offset0:64 offset1:96
	v_fma_mix_f32 v16, v4, v11, 0 op_sel_hi:[0,1,0]
	v_fma_mix_f32 v22, v4, v11, 0 op_sel:[0,1,0] op_sel_hi:[0,1,0]
	v_lshlrev_b64 v[10:11], 3, v[12:13]
	v_add_lshl_u32 v12, v109, v19, 3
	v_and_or_b32 v13, 0x7e0, v23, v18
	v_fma_mix_f32 v4, v5, v17, v16 op_sel_hi:[0,1,0]
	v_fma_mix_f32 v5, v5, v17, v22 op_sel:[0,1,0] op_sel_hi:[0,1,0]
	v_lshlrev_b32_e32 v18, 6, v20
	global_store_b64 v12, v[2:3], s[0:1]
	v_mad_u32_u24 v12, 0x110, v13, 0
	v_add_co_u32 v10, vcc_lo, s0, v10
	v_add_co_ci_u32_e32 v11, vcc_lo, s1, v11, vcc_lo
	s_waitcnt lgkmcnt(1)
	v_fma_mix_f32 v2, v6, v8, 0 op_sel_hi:[0,1,0]
	v_fma_mix_f32 v3, v6, v8, 0 op_sel:[0,1,0] op_sel_hi:[0,1,0]
	v_add_nc_u32_e32 v8, v12, v1
	global_store_b64 v[10:11], v[4:5], off offset:256
	ds_load_2addr_stride64_b32 v[4:5], v12 offset0:1 offset1:18
	ds_load_2addr_b32 v[10:11], v8 offset1:32
	v_add_nc_u32_e32 v19, 18, v0
	v_add_co_u32 v12, s3, v109, v18
	v_add_nc_u32_e32 v8, 0x1000, v8
	v_add_co_ci_u32_e64 v13, null, 0, 0, s3
	s_delay_alu instid0(VALU_DEP_4)
	v_lshlrev_b32_e32 v22, 1, v19
	v_and_b32_e32 v23, 15, v19
	s_waitcnt lgkmcnt(2)
	v_fma_mix_f32 v2, v7, v14, v2 op_sel_hi:[0,1,0]
	v_fma_mix_f32 v3, v7, v14, v3 op_sel:[0,1,0] op_sel_hi:[0,1,0]
	v_fma_mix_f32 v14, v6, v9, 0 op_sel_hi:[0,1,0]
	ds_load_2addr_b32 v[16:17], v8 offset0:64 offset1:96
	v_fma_mix_f32 v20, v6, v9, 0 op_sel:[0,1,0] op_sel_hi:[0,1,0]
	v_lshlrev_b64 v[8:9], 3, v[12:13]
	v_add_lshl_u32 v12, v109, v18, 3
	v_and_or_b32 v13, 0x7e0, v22, v23
	v_fma_mix_f32 v6, v7, v15, v14 op_sel_hi:[0,1,0]
	v_fma_mix_f32 v7, v7, v15, v20 op_sel:[0,1,0] op_sel_hi:[0,1,0]
	v_lshlrev_b32_e32 v18, 6, v21
	global_store_b64 v12, v[2:3], s[0:1]
	v_mad_u32_u24 v12, 0x110, v13, 0
	v_add_co_u32 v8, vcc_lo, s0, v8
	v_add_co_ci_u32_e32 v9, vcc_lo, s1, v9, vcc_lo
	s_waitcnt lgkmcnt(1)
	v_fma_mix_f32 v2, v4, v10, 0 op_sel_hi:[0,1,0]
	v_fma_mix_f32 v3, v4, v10, 0 op_sel:[0,1,0] op_sel_hi:[0,1,0]
	v_add_nc_u32_e32 v10, v12, v1
	global_store_b64 v[8:9], v[6:7], off offset:256
	ds_load_2addr_stride64_b32 v[6:7], v12 offset0:1 offset1:18
	ds_load_2addr_b32 v[8:9], v10 offset1:32
	v_add_nc_u32_e32 v20, 20, v0
	v_add_co_u32 v12, s3, v109, v18
	v_add_nc_u32_e32 v10, 0x1000, v10
	v_add_co_ci_u32_e64 v13, null, 0, 0, s3
	s_delay_alu instid0(VALU_DEP_4)
	v_lshlrev_b32_e32 v22, 1, v20
	v_and_b32_e32 v23, 15, v20
	s_waitcnt lgkmcnt(2)
	v_fma_mix_f32 v2, v5, v16, v2 op_sel_hi:[0,1,0]
	v_fma_mix_f32 v3, v5, v16, v3 op_sel:[0,1,0] op_sel_hi:[0,1,0]
	v_fma_mix_f32 v16, v4, v11, 0 op_sel_hi:[0,1,0]
	ds_load_2addr_b32 v[14:15], v10 offset0:64 offset1:96
	;; [unrolled: 30-line block ×3, first 2 shown]
	v_fma_mix_f32 v21, v6, v9, 0 op_sel:[0,1,0] op_sel_hi:[0,1,0]
	v_lshlrev_b64 v[8:9], 3, v[12:13]
	v_and_or_b32 v13, 0x7e0, v22, v23
	v_add_lshl_u32 v12, v109, v18, 3
	v_fma_mix_f32 v6, v7, v15, v14 op_sel_hi:[0,1,0]
	v_fma_mix_f32 v7, v7, v15, v21 op_sel:[0,1,0] op_sel_hi:[0,1,0]
	v_lshlrev_b32_e32 v18, 6, v20
	v_mad_u32_u24 v13, 0x110, v13, 0
	v_add_co_u32 v8, vcc_lo, s0, v8
	v_add_co_ci_u32_e32 v9, vcc_lo, s1, v9, vcc_lo
	global_store_b64 v12, v[2:3], s[0:1]
	s_waitcnt lgkmcnt(1)
	v_fma_mix_f32 v2, v4, v10, 0 op_sel_hi:[0,1,0]
	v_fma_mix_f32 v3, v4, v10, 0 op_sel:[0,1,0] op_sel_hi:[0,1,0]
	v_add_nc_u32_e32 v10, v13, v1
	global_store_b64 v[8:9], v[6:7], off offset:256
	ds_load_2addr_stride64_b32 v[6:7], v13 offset0:1 offset1:18
	ds_load_2addr_b32 v[8:9], v10 offset1:32
	v_add_nc_u32_e32 v10, 0x1000, v10
	v_add_nc_u32_e32 v20, 24, v0
	v_add_co_u32 v12, s3, v109, v18
	s_delay_alu instid0(VALU_DEP_1)
	v_add_co_ci_u32_e64 v13, null, 0, 0, s3
	ds_load_2addr_b32 v[14:15], v10 offset0:64 offset1:96
	v_lshlrev_b32_e32 v22, 1, v20
	v_and_b32_e32 v23, 15, v20
	s_waitcnt lgkmcnt(3)
	v_fma_mix_f32 v2, v5, v16, v2 op_sel_hi:[0,1,0]
	v_fma_mix_f32 v3, v5, v16, v3 op_sel:[0,1,0] op_sel_hi:[0,1,0]
	v_fma_mix_f32 v16, v4, v11, 0 op_sel_hi:[0,1,0]
	v_fma_mix_f32 v21, v4, v11, 0 op_sel:[0,1,0] op_sel_hi:[0,1,0]
	v_lshlrev_b64 v[10:11], 3, v[12:13]
	v_add_lshl_u32 v12, v109, v18, 3
	v_and_or_b32 v13, 0x7e0, v22, v23
	v_fma_mix_f32 v4, v5, v17, v16 op_sel_hi:[0,1,0]
	v_fma_mix_f32 v5, v5, v17, v21 op_sel:[0,1,0] op_sel_hi:[0,1,0]
	global_store_b64 v12, v[2:3], s[0:1]
	s_waitcnt lgkmcnt(1)
	v_fma_mix_f32 v2, v6, v8, 0 op_sel_hi:[0,1,0]
	v_fma_mix_f32 v3, v6, v8, 0 op_sel:[0,1,0] op_sel_hi:[0,1,0]
	v_mad_u32_u24 v12, 0x110, v13, 0
	v_add_co_u32 v10, vcc_lo, s0, v10
	v_add_co_ci_u32_e32 v11, vcc_lo, s1, v11, vcc_lo
	v_lshlrev_b32_e32 v8, 6, v19
	s_waitcnt lgkmcnt(0)
	v_fma_mix_f32 v2, v7, v14, v2 op_sel_hi:[0,1,0]
	v_fma_mix_f32 v3, v7, v14, v3 op_sel:[0,1,0] op_sel_hi:[0,1,0]
	v_add_nc_u32_e32 v14, 26, v0
	v_add_nc_u32_e32 v13, v12, v1
	global_store_b64 v[10:11], v[4:5], off offset:256
	ds_load_2addr_stride64_b32 v[4:5], v12 offset0:1 offset1:18
	ds_load_2addr_b32 v[10:11], v13 offset1:32
	v_lshlrev_b32_e32 v19, 1, v14
	v_and_b32_e32 v21, 15, v14
	v_add_co_u32 v12, s3, v109, v8
	v_add_nc_u32_e32 v16, 0x1000, v13
	v_add_co_ci_u32_e64 v13, null, 0, 0, s3
	s_delay_alu instid0(VALU_DEP_4)
	v_and_or_b32 v19, 0x7e0, v19, v21
	v_add_lshl_u32 v18, v109, v8, 3
	ds_load_2addr_b32 v[16:17], v16 offset0:64 offset1:96
	v_fma_mix_f32 v22, v6, v9, 0 op_sel_hi:[0,1,0]
	v_fma_mix_f32 v6, v6, v9, 0 op_sel:[0,1,0] op_sel_hi:[0,1,0]
	v_lshlrev_b64 v[8:9], 3, v[12:13]
	v_mad_u32_u24 v12, 0x110, v19, 0
	global_store_b64 v18, v[2:3], s[0:1]
	v_fma_mix_f32 v2, v7, v15, v22 op_sel_hi:[0,1,0]
	v_fma_mix_f32 v3, v7, v15, v6 op_sel:[0,1,0] op_sel_hi:[0,1,0]
	v_lshlrev_b32_e32 v18, 6, v20
	v_add_co_u32 v6, vcc_lo, s0, v8
	v_add_co_ci_u32_e32 v7, vcc_lo, s1, v9, vcc_lo
	v_add_nc_u32_e32 v15, v12, v1
	ds_load_2addr_stride64_b32 v[8:9], v12 offset0:1 offset1:18
	ds_load_2addr_b32 v[12:13], v15 offset1:32
	global_store_b64 v[6:7], v[2:3], off offset:256
	v_add_nc_u32_e32 v6, 0x1000, v15
	s_waitcnt lgkmcnt(3)
	v_fma_mix_f32 v19, v4, v10, 0 op_sel_hi:[0,1,0]
	v_fma_mix_f32 v10, v4, v10, 0 op_sel:[0,1,0] op_sel_hi:[0,1,0]
	v_fma_mix_f32 v15, v4, v11, 0 op_sel_hi:[0,1,0]
	v_add_nc_u32_e32 v20, 28, v0
	ds_load_2addr_b32 v[6:7], v6 offset0:64 offset1:96
	s_waitcnt lgkmcnt(3)
	v_fma_mix_f32 v2, v5, v16, v19 op_sel_hi:[0,1,0]
	v_fma_mix_f32 v19, v4, v11, 0 op_sel:[0,1,0] op_sel_hi:[0,1,0]
	v_fma_mix_f32 v3, v5, v16, v10 op_sel:[0,1,0] op_sel_hi:[0,1,0]
	v_add_co_u32 v10, s3, v109, v18
	s_delay_alu instid0(VALU_DEP_1)
	v_add_co_ci_u32_e64 v11, null, 0, 0, s3
	v_fma_mix_f32 v4, v5, v17, v15 op_sel_hi:[0,1,0]
	v_fma_mix_f32 v5, v5, v17, v19 op_sel:[0,1,0] op_sel_hi:[0,1,0]
	v_lshlrev_b32_e32 v15, 1, v20
	v_and_b32_e32 v17, 15, v20
	v_lshlrev_b64 v[10:11], 3, v[10:11]
	v_add_lshl_u32 v16, v109, v18, 3
	v_lshlrev_b32_e32 v18, 6, v14
	s_waitcnt lgkmcnt(1)
	v_fma_mix_f32 v14, v8, v12, 0 op_sel_hi:[0,1,0]
	v_and_or_b32 v15, 0x7e0, v15, v17
	v_fma_mix_f32 v12, v8, v12, 0 op_sel:[0,1,0] op_sel_hi:[0,1,0]
	v_add_co_u32 v10, vcc_lo, s0, v10
	v_add_co_ci_u32_e32 v11, vcc_lo, s1, v11, vcc_lo
	s_delay_alu instid0(VALU_DEP_4)
	v_mad_u32_u24 v17, 0x110, v15, 0
	s_waitcnt lgkmcnt(0)
	v_fma_mix_f32 v14, v9, v6, v14 op_sel_hi:[0,1,0]
	v_fma_mix_f32 v15, v9, v6, v12 op_sel:[0,1,0] op_sel_hi:[0,1,0]
	v_add_lshl_u32 v6, v109, v18, 3
	v_add_nc_u32_e32 v19, 30, v0
	v_add_nc_u32_e32 v12, v17, v1
	s_clause 0x2
	global_store_b64 v16, v[2:3], s[0:1]
	global_store_b64 v[10:11], v[4:5], off offset:256
	global_store_b64 v6, v[14:15], s[0:1]
	ds_load_2addr_stride64_b32 v[2:3], v17 offset0:1 offset1:18
	ds_load_2addr_b32 v[4:5], v12 offset1:32
	v_lshlrev_b32_e32 v0, 1, v19
	v_and_b32_e32 v6, 15, v19
	v_add_co_u32 v10, s3, v109, v18
	s_delay_alu instid0(VALU_DEP_1) | instskip(NEXT) | instid1(VALU_DEP_3)
	v_add_co_ci_u32_e64 v11, null, 0, 0, s3
	v_and_or_b32 v0, 0x7e0, v0, v6
	v_add_nc_u32_e32 v12, 0x1000, v12
	v_fma_mix_f32 v14, v8, v13, 0 op_sel_hi:[0,1,0]
	v_fma_mix_f32 v8, v8, v13, 0 op_sel:[0,1,0] op_sel_hi:[0,1,0]
	v_lshlrev_b64 v[10:11], 3, v[10:11]
	v_mad_u32_u24 v0, 0x110, v0, 0
	ds_load_2addr_b32 v[12:13], v12 offset0:64 offset1:96
	v_fma_mix_f32 v6, v9, v7, v14 op_sel_hi:[0,1,0]
	v_lshlrev_b32_e32 v18, 6, v20
	v_fma_mix_f32 v7, v9, v7, v8 op_sel:[0,1,0] op_sel_hi:[0,1,0]
	v_add_nc_u32_e32 v14, v0, v1
	v_add_co_u32 v8, vcc_lo, s0, v10
	v_add_co_ci_u32_e32 v9, vcc_lo, s1, v11, vcc_lo
	s_waitcnt lgkmcnt(1)
	v_fma_mix_f32 v20, v2, v4, 0 op_sel_hi:[0,1,0]
	v_fma_mix_f32 v21, v2, v4, 0 op_sel:[0,1,0] op_sel_hi:[0,1,0]
	ds_load_2addr_stride64_b32 v[0:1], v0 offset0:1 offset1:18
	ds_load_2addr_b32 v[10:11], v14 offset1:32
	v_add_nc_u32_e32 v4, 0x1000, v14
	v_add_co_u32 v14, s3, v109, v18
	s_delay_alu instid0(VALU_DEP_1)
	v_add_co_ci_u32_e64 v15, null, 0, 0, s3
	ds_load_2addr_b32 v[16:17], v4 offset0:64 offset1:96
	v_lshlrev_b32_e32 v19, 6, v19
	v_fma_mix_f32 v22, v2, v5, 0 op_sel:[0,1,0] op_sel_hi:[0,1,0]
	v_lshlrev_b64 v[14:15], 3, v[14:15]
	s_waitcnt lgkmcnt(3)
	v_fma_mix_f32 v4, v3, v12, v20 op_sel_hi:[0,1,0]
	v_fma_mix_f32 v20, v2, v5, 0 op_sel_hi:[0,1,0]
	v_fma_mix_f32 v5, v3, v12, v21 op_sel:[0,1,0] op_sel_hi:[0,1,0]
	v_add_lshl_u32 v18, v109, v18, 3
	v_add_co_u32 v12, vcc_lo, s0, v14
	v_add_co_u32 v14, s3, v109, v19
	v_fma_mix_f32 v2, v3, v13, v20 op_sel_hi:[0,1,0]
	v_fma_mix_f32 v3, v3, v13, v22 op_sel:[0,1,0] op_sel_hi:[0,1,0]
	v_add_co_ci_u32_e32 v13, vcc_lo, s1, v15, vcc_lo
	v_add_co_ci_u32_e64 v15, null, 0, 0, s3
	s_waitcnt lgkmcnt(1)
	v_fma_mix_f32 v20, v0, v10, 0 op_sel_hi:[0,1,0]
	v_fma_mix_f32 v21, v0, v10, 0 op_sel:[0,1,0] op_sel_hi:[0,1,0]
	v_fma_mix_f32 v22, v0, v11, 0 op_sel:[0,1,0] op_sel_hi:[0,1,0]
	v_lshlrev_b64 v[14:15], 3, v[14:15]
	s_waitcnt lgkmcnt(0)
	v_fma_mix_f32 v10, v1, v16, v20 op_sel_hi:[0,1,0]
	v_fma_mix_f32 v20, v0, v11, 0 op_sel_hi:[0,1,0]
	v_fma_mix_f32 v11, v1, v16, v21 op_sel:[0,1,0] op_sel_hi:[0,1,0]
	v_add_lshl_u32 v16, v109, v19, 3
	v_add_co_u32 v14, vcc_lo, s0, v14
	s_delay_alu instid0(VALU_DEP_4)
	v_fma_mix_f32 v0, v1, v17, v20 op_sel_hi:[0,1,0]
	v_fma_mix_f32 v1, v1, v17, v22 op_sel:[0,1,0] op_sel_hi:[0,1,0]
	v_add_co_ci_u32_e32 v15, vcc_lo, s1, v15, vcc_lo
	s_clause 0x4
	global_store_b64 v[8:9], v[6:7], off offset:256
	global_store_b64 v18, v[4:5], s[0:1]
	global_store_b64 v[12:13], v[2:3], off offset:256
	global_store_b64 v16, v[10:11], s[0:1]
	global_store_b64 v[14:15], v[0:1], off offset:256
.LBB25_708:
	s_or_b32 exec_lo, exec_lo, s2
	s_waitcnt_vscnt null, 0x0
	s_barrier
	buffer_gl0_inv
	s_endpgm
	.section	.rodata,"a",@progbits
	.p2align	6, 0x0
	.amdhsa_kernel _ZL18flash_attn_ext_f16ILi128ELi128ELi8ELi4ELb1ELb0EEvPKcS1_S1_S1_S1_PKiPfP15HIP_vector_typeIfLj2EEffffjfiS5_IjLj3EEiiiiiiiiiiiliiliiiiil
		.amdhsa_group_segment_fixed_size 0
		.amdhsa_private_segment_fixed_size 780
		.amdhsa_kernarg_size 464
		.amdhsa_user_sgpr_count 15
		.amdhsa_user_sgpr_dispatch_ptr 0
		.amdhsa_user_sgpr_queue_ptr 0
		.amdhsa_user_sgpr_kernarg_segment_ptr 1
		.amdhsa_user_sgpr_dispatch_id 0
		.amdhsa_user_sgpr_private_segment_size 0
		.amdhsa_wavefront_size32 1
		.amdhsa_uses_dynamic_stack 0
		.amdhsa_enable_private_segment 1
		.amdhsa_system_sgpr_workgroup_id_x 1
		.amdhsa_system_sgpr_workgroup_id_y 0
		.amdhsa_system_sgpr_workgroup_id_z 0
		.amdhsa_system_sgpr_workgroup_info 0
		.amdhsa_system_vgpr_workitem_id 1
		.amdhsa_next_free_vgpr 256
		.amdhsa_next_free_sgpr 105
		.amdhsa_reserve_vcc 1
		.amdhsa_float_round_mode_32 0
		.amdhsa_float_round_mode_16_64 0
		.amdhsa_float_denorm_mode_32 3
		.amdhsa_float_denorm_mode_16_64 3
		.amdhsa_dx10_clamp 1
		.amdhsa_ieee_mode 1
		.amdhsa_fp16_overflow 0
		.amdhsa_workgroup_processor_mode 1
		.amdhsa_memory_ordered 1
		.amdhsa_forward_progress 0
		.amdhsa_shared_vgpr_count 0
		.amdhsa_exception_fp_ieee_invalid_op 0
		.amdhsa_exception_fp_denorm_src 0
		.amdhsa_exception_fp_ieee_div_zero 0
		.amdhsa_exception_fp_ieee_overflow 0
		.amdhsa_exception_fp_ieee_underflow 0
		.amdhsa_exception_fp_ieee_inexact 0
		.amdhsa_exception_int_div_zero 0
	.end_amdhsa_kernel
	.section	.text._ZL18flash_attn_ext_f16ILi128ELi128ELi8ELi4ELb1ELb0EEvPKcS1_S1_S1_S1_PKiPfP15HIP_vector_typeIfLj2EEffffjfiS5_IjLj3EEiiiiiiiiiiiliiliiiiil,"axG",@progbits,_ZL18flash_attn_ext_f16ILi128ELi128ELi8ELi4ELb1ELb0EEvPKcS1_S1_S1_S1_PKiPfP15HIP_vector_typeIfLj2EEffffjfiS5_IjLj3EEiiiiiiiiiiiliiliiiiil,comdat
.Lfunc_end25:
	.size	_ZL18flash_attn_ext_f16ILi128ELi128ELi8ELi4ELb1ELb0EEvPKcS1_S1_S1_S1_PKiPfP15HIP_vector_typeIfLj2EEffffjfiS5_IjLj3EEiiiiiiiiiiiliiliiiiil, .Lfunc_end25-_ZL18flash_attn_ext_f16ILi128ELi128ELi8ELi4ELb1ELb0EEvPKcS1_S1_S1_S1_PKiPfP15HIP_vector_typeIfLj2EEffffjfiS5_IjLj3EEiiiiiiiiiiiliiliiiiil
                                        ; -- End function
	.section	.AMDGPU.csdata,"",@progbits
; Kernel info:
; codeLenInByte = 116556
; NumSgprs: 107
; NumVgprs: 256
; ScratchSize: 780
; MemoryBound: 0
; FloatMode: 240
; IeeeMode: 1
; LDSByteSize: 0 bytes/workgroup (compile time only)
; SGPRBlocks: 13
; VGPRBlocks: 31
; NumSGPRsForWavesPerEU: 107
; NumVGPRsForWavesPerEU: 256
; Occupancy: 5
; WaveLimiterHint : 1
; COMPUTE_PGM_RSRC2:SCRATCH_EN: 1
; COMPUTE_PGM_RSRC2:USER_SGPR: 15
; COMPUTE_PGM_RSRC2:TRAP_HANDLER: 0
; COMPUTE_PGM_RSRC2:TGID_X_EN: 1
; COMPUTE_PGM_RSRC2:TGID_Y_EN: 0
; COMPUTE_PGM_RSRC2:TGID_Z_EN: 0
; COMPUTE_PGM_RSRC2:TIDIG_COMP_CNT: 1
	.section	.text._ZL33flash_attn_stream_k_fixup_uniformILi128ELi8ELi4EEvPfPK15HIP_vector_typeIfLj2EEiiiiiiS1_IjLj3EES5_S5_,"axG",@progbits,_ZL33flash_attn_stream_k_fixup_uniformILi128ELi8ELi4EEvPfPK15HIP_vector_typeIfLj2EEiiiiiiS1_IjLj3EES5_S5_,comdat
	.globl	_ZL33flash_attn_stream_k_fixup_uniformILi128ELi8ELi4EEvPfPK15HIP_vector_typeIfLj2EEiiiiiiS1_IjLj3EES5_S5_ ; -- Begin function _ZL33flash_attn_stream_k_fixup_uniformILi128ELi8ELi4EEvPfPK15HIP_vector_typeIfLj2EEiiiiiiS1_IjLj3EES5_S5_
	.p2align	8
	.type	_ZL33flash_attn_stream_k_fixup_uniformILi128ELi8ELi4EEvPfPK15HIP_vector_typeIfLj2EEiiiiiiS1_IjLj3EES5_S5_,@function
_ZL33flash_attn_stream_k_fixup_uniformILi128ELi8ELi4EEvPfPK15HIP_vector_typeIfLj2EEiiiiiiS1_IjLj3EES5_S5_: ; @_ZL33flash_attn_stream_k_fixup_uniformILi128ELi8ELi4EEvPfPK15HIP_vector_typeIfLj2EEiiiiiiS1_IjLj3EES5_S5_
; %bb.0:
	s_clause 0x1
	s_load_b256 s[4:11], s[0:1], 0x1c
	s_load_b128 s[16:19], s[0:1], 0x3c
	s_waitcnt lgkmcnt(0)
	s_mul_hi_u32 s2, s7, s13
	s_delay_alu instid0(SALU_CYCLE_1) | instskip(NEXT) | instid1(SALU_CYCLE_1)
	s_add_i32 s2, s13, s2
	s_lshr_b32 s2, s2, s8
	s_delay_alu instid0(SALU_CYCLE_1) | instskip(SKIP_2) | instid1(SALU_CYCLE_1)
	s_mul_i32 s3, s2, s9
	s_load_b64 s[8:9], s[0:1], 0x10
	s_sub_i32 s7, s13, s3
	s_mul_hi_u32 s3, s7, s10
	s_delay_alu instid0(SALU_CYCLE_1) | instskip(NEXT) | instid1(SALU_CYCLE_1)
	s_add_i32 s3, s7, s3
	s_lshr_b32 s3, s3, s11
	s_delay_alu instid0(SALU_CYCLE_1) | instskip(NEXT) | instid1(SALU_CYCLE_1)
	s_mul_i32 s10, s3, s16
	s_sub_i32 s7, s7, s10
	s_delay_alu instid0(SALU_CYCLE_1) | instskip(NEXT) | instid1(SALU_CYCLE_1)
	s_mul_hi_u32 s10, s7, s17
	s_add_i32 s10, s7, s10
	s_delay_alu instid0(SALU_CYCLE_1) | instskip(NEXT) | instid1(SALU_CYCLE_1)
	s_lshr_b32 s10, s10, s18
	s_mul_i32 s11, s10, s19
	s_lshl_b32 s10, s10, 2
	s_sub_i32 s7, s7, s11
	s_delay_alu instid0(SALU_CYCLE_1) | instskip(NEXT) | instid1(SALU_CYCLE_1)
	s_lshl_b32 s11, s7, 3
	s_add_i32 s11, s11, s14
	s_waitcnt lgkmcnt(0)
	s_cmp_lt_i32 s11, s8
	s_cselect_b32 s11, -1, 0
	s_add_i32 s12, s10, s15
	s_delay_alu instid0(SALU_CYCLE_1) | instskip(SKIP_1) | instid1(SALU_CYCLE_1)
	s_cmp_lt_i32 s12, s5
	s_cselect_b32 s12, -1, 0
	s_and_b32 s11, s11, s12
	s_delay_alu instid0(SALU_CYCLE_1)
	s_and_not1_b32 vcc_lo, exec_lo, s11
	s_cbranch_vccnz .LBB26_6
; %bb.1:
	s_mul_i32 s2, s2, s8
	s_mul_i32 s5, s3, s5
	s_add_i32 s2, s2, s14
	s_mul_i32 s7, s9, s7
	s_mul_i32 s2, s2, s9
	s_lshl_b32 s7, s7, 10
	s_add_i32 s8, s2, s15
	s_load_b128 s[0:3], s[0:1], 0x0
	s_add_i32 s5, s8, s5
	s_lshl_b32 s9, s14, 2
	s_add_i32 s5, s5, s10
	s_delay_alu instid0(SALU_CYCLE_1) | instskip(NEXT) | instid1(SALU_CYCLE_1)
	s_lshl_b32 s5, s5, 7
	s_add_i32 s7, s7, s5
	s_mul_i32 s5, s13, s6
	v_or_b32_e32 v1, s7, v0
	s_add_i32 s10, s5, s6
	s_delay_alu instid0(VALU_DEP_1) | instskip(NEXT) | instid1(VALU_DEP_1)
	v_ashrrev_i32_e32 v2, 31, v1
	v_lshlrev_b64 v[1:2], 2, v[1:2]
	s_waitcnt lgkmcnt(0)
	s_delay_alu instid0(VALU_DEP_1) | instskip(NEXT) | instid1(VALU_DEP_2)
	v_add_co_u32 v1, vcc_lo, s0, v1
	v_add_co_ci_u32_e32 v2, vcc_lo, s1, v2, vcc_lo
	s_add_i32 s0, s9, s15
	s_lshl_b32 s1, s10, 5
	s_delay_alu instid0(SALU_CYCLE_1) | instskip(SKIP_2) | instid1(SALU_CYCLE_1)
	s_add_i32 s0, s0, s1
	global_load_b32 v5, v[1:2], off
	s_sub_i32 s0, s0, 32
	s_ashr_i32 s1, s0, 31
	s_delay_alu instid0(SALU_CYCLE_1) | instskip(NEXT) | instid1(SALU_CYCLE_1)
	s_lshl_b64 s[0:1], s[0:1], 3
	s_add_u32 s0, s2, s0
	s_addc_u32 s1, s3, s1
	s_add_i32 s7, s10, -2
	s_load_b32 s11, s[0:1], 0x4
	s_cmp_lt_i32 s7, s5
	s_cbranch_scc1 .LBB26_4
; %bb.2:
	s_lshl_b32 s16, s4, 7
	s_load_b32 s12, s[0:1], 0x0
	s_ashr_i32 s17, s16, 31
	s_delay_alu instid0(SALU_CYCLE_1) | instskip(NEXT) | instid1(SALU_CYCLE_1)
	s_lshl_b64 s[0:1], s[16:17], 2
	s_add_u32 s7, s2, s0
	s_addc_u32 s8, s3, s1
	s_add_i32 s13, s13, 1
	s_lshl_b32 s0, s14, 9
	s_lshl_b32 s1, s15, 7
	s_mul_i32 s6, s6, s13
	s_add_i32 s0, s1, s0
	s_lshl_b32 s1, s6, 12
	s_delay_alu instid0(SALU_CYCLE_1)
	s_add_i32 s0, s0, s1
	s_lshl_b32 s1, s6, 5
	v_or_b32_e32 v0, s0, v0
	s_lshl_b32 s0, s4, 5
	s_add_i32 s1, s15, s1
	s_waitcnt lgkmcnt(0)
	v_mov_b32_e32 v6, s11
	s_add_i32 s0, s1, s0
	v_dual_mov_b32 v0, s12 :: v_dual_add_nc_u32 v3, 0xffffe000, v0
	s_add_i32 s0, s0, s9
	s_add_i32 s4, s10, -1
	s_sub_i32 s0, s0, 64
.LBB26_3:                               ; =>This Inner Loop Header: Depth=1
	s_delay_alu instid0(VALU_DEP_1) | instskip(SKIP_1) | instid1(SALU_CYCLE_1)
	v_ashrrev_i32_e32 v4, 31, v3
	s_ashr_i32 s1, s0, 31
	s_lshl_b64 s[10:11], s[0:1], 3
	s_delay_alu instid0(SALU_CYCLE_1) | instskip(NEXT) | instid1(VALU_DEP_1)
	s_add_u32 s10, s2, s10
	v_lshlrev_b64 v[7:8], 2, v[3:4]
	s_addc_u32 s11, s3, s11
	s_add_i32 s4, s4, -1
	s_sub_i32 s0, s0, 32
	s_cmp_le_i32 s4, s5
	s_load_b64 s[10:11], s[10:11], 0x0
	v_add_co_u32 v7, vcc_lo, s7, v7
	v_add_co_ci_u32_e32 v8, vcc_lo, s8, v8, vcc_lo
	global_load_b32 v4, v[7:8], off
	v_max_f32_e32 v7, v0, v0
	s_waitcnt lgkmcnt(0)
	v_max_f32_e64 v8, s10, s10
	s_delay_alu instid0(VALU_DEP_1) | instskip(NEXT) | instid1(VALU_DEP_1)
	v_max_f32_e32 v7, v7, v8
	v_sub_f32_e32 v8, s10, v7
	s_delay_alu instid0(VALU_DEP_1) | instskip(NEXT) | instid1(VALU_DEP_1)
	v_dual_sub_f32 v0, v0, v7 :: v_dual_mul_f32 v9, 0x3fb8aa3b, v8
	v_fma_f32 v10, 0x3fb8aa3b, v8, -v9
	v_rndne_f32_e32 v11, v9
	s_delay_alu instid0(VALU_DEP_3) | instskip(NEXT) | instid1(VALU_DEP_2)
	v_mul_f32_e32 v12, 0x3fb8aa3b, v0
	v_dual_fmac_f32 v10, 0x32a5705f, v8 :: v_dual_sub_f32 v9, v9, v11
	v_cvt_i32_f32_e32 v11, v11
	s_delay_alu instid0(VALU_DEP_3) | instskip(SKIP_1) | instid1(VALU_DEP_4)
	v_fma_f32 v13, 0x3fb8aa3b, v0, -v12
	v_rndne_f32_e32 v14, v12
	v_add_f32_e32 v9, v9, v10
	v_cmp_ngt_f32_e32 vcc_lo, 0xc2ce8ed0, v8
	s_delay_alu instid0(VALU_DEP_3) | instskip(NEXT) | instid1(VALU_DEP_3)
	v_sub_f32_e32 v10, v12, v14
	v_exp_f32_e32 v9, v9
	s_waitcnt_depctr 0xfff
	v_ldexp_f32 v9, v9, v11
	v_cvt_i32_f32_e32 v11, v14
	s_delay_alu instid0(VALU_DEP_2) | instskip(SKIP_1) | instid1(VALU_DEP_2)
	v_cndmask_b32_e32 v9, 0, v9, vcc_lo
	v_cmp_nlt_f32_e32 vcc_lo, 0x42b17218, v8
	v_cndmask_b32_e32 v9, 0x7f800000, v9, vcc_lo
	v_cmp_ngt_f32_e32 vcc_lo, 0xc2ce8ed0, v0
	v_fmac_f32_e32 v13, 0x32a5705f, v0
	s_delay_alu instid0(VALU_DEP_1) | instskip(NEXT) | instid1(VALU_DEP_1)
	v_add_f32_e32 v10, v10, v13
	v_exp_f32_e32 v10, v10
	s_waitcnt_depctr 0xfff
	v_ldexp_f32 v10, v10, v11
	s_delay_alu instid0(VALU_DEP_1)
	v_dual_mov_b32 v11, v6 :: v_dual_cndmask_b32 v10, 0, v10
	v_cmp_le_f32_e32 vcc_lo, 0xc1a00000, v8
	s_waitcnt vmcnt(1)
	v_dual_cndmask_b32 v8, 0, v9 :: v_dual_mov_b32 v9, v5
	v_cmp_nlt_f32_e32 vcc_lo, 0x42b17218, v0
	v_cndmask_b32_e32 v5, 0x7f800000, v10, vcc_lo
	s_delay_alu instid0(VALU_DEP_3) | instskip(SKIP_2) | instid1(VALU_DEP_3)
	v_mul_f32_e32 v10, s11, v8
	v_cmp_le_f32_e32 vcc_lo, 0xc1a00000, v0
	v_mov_b32_e32 v0, v7
	v_mov_b32_e32 v6, v10
	s_waitcnt vmcnt(0)
	v_dual_cndmask_b32 v12, 0, v5 :: v_dual_mul_f32 v5, v4, v8
	s_delay_alu instid0(VALU_DEP_1) | instskip(NEXT) | instid1(VALU_DEP_2)
	v_dual_fmac_f32 v6, v11, v12 :: v_dual_add_nc_u32 v3, 0xfffff000, v3
	v_fmac_f32_e32 v5, v9, v12
	s_cbranch_scc0 .LBB26_3
	s_branch .LBB26_5
.LBB26_4:
	s_waitcnt lgkmcnt(0)
	v_mov_b32_e32 v6, s11
.LBB26_5:
	s_waitcnt vmcnt(0)
	s_delay_alu instid0(VALU_DEP_1) | instskip(NEXT) | instid1(VALU_DEP_1)
	v_div_scale_f32 v0, null, v6, v6, v5
	v_rcp_f32_e32 v3, v0
	s_waitcnt_depctr 0xfff
	v_fma_f32 v4, -v0, v3, 1.0
	s_delay_alu instid0(VALU_DEP_1) | instskip(SKIP_1) | instid1(VALU_DEP_1)
	v_fmac_f32_e32 v3, v4, v3
	v_div_scale_f32 v4, vcc_lo, v5, v6, v5
	v_mul_f32_e32 v7, v4, v3
	s_delay_alu instid0(VALU_DEP_1) | instskip(NEXT) | instid1(VALU_DEP_1)
	v_fma_f32 v8, -v0, v7, v4
	v_fmac_f32_e32 v7, v8, v3
	s_delay_alu instid0(VALU_DEP_1) | instskip(NEXT) | instid1(VALU_DEP_1)
	v_fma_f32 v0, -v0, v7, v4
	v_div_fmas_f32 v0, v0, v3, v7
	s_delay_alu instid0(VALU_DEP_1)
	v_div_fixup_f32 v0, v0, v6, v5
	global_store_b32 v[1:2], v0, off
.LBB26_6:
	s_nop 0
	s_sendmsg sendmsg(MSG_DEALLOC_VGPRS)
	s_endpgm
	.section	.rodata,"a",@progbits
	.p2align	6, 0x0
	.amdhsa_kernel _ZL33flash_attn_stream_k_fixup_uniformILi128ELi8ELi4EEvPfPK15HIP_vector_typeIfLj2EEiiiiiiS1_IjLj3EES5_S5_
		.amdhsa_group_segment_fixed_size 0
		.amdhsa_private_segment_fixed_size 0
		.amdhsa_kernarg_size 76
		.amdhsa_user_sgpr_count 13
		.amdhsa_user_sgpr_dispatch_ptr 0
		.amdhsa_user_sgpr_queue_ptr 0
		.amdhsa_user_sgpr_kernarg_segment_ptr 1
		.amdhsa_user_sgpr_dispatch_id 0
		.amdhsa_user_sgpr_private_segment_size 0
		.amdhsa_wavefront_size32 1
		.amdhsa_uses_dynamic_stack 0
		.amdhsa_enable_private_segment 0
		.amdhsa_system_sgpr_workgroup_id_x 1
		.amdhsa_system_sgpr_workgroup_id_y 1
		.amdhsa_system_sgpr_workgroup_id_z 1
		.amdhsa_system_sgpr_workgroup_info 0
		.amdhsa_system_vgpr_workitem_id 0
		.amdhsa_next_free_vgpr 15
		.amdhsa_next_free_sgpr 20
		.amdhsa_reserve_vcc 1
		.amdhsa_float_round_mode_32 0
		.amdhsa_float_round_mode_16_64 0
		.amdhsa_float_denorm_mode_32 3
		.amdhsa_float_denorm_mode_16_64 3
		.amdhsa_dx10_clamp 1
		.amdhsa_ieee_mode 1
		.amdhsa_fp16_overflow 0
		.amdhsa_workgroup_processor_mode 1
		.amdhsa_memory_ordered 1
		.amdhsa_forward_progress 0
		.amdhsa_shared_vgpr_count 0
		.amdhsa_exception_fp_ieee_invalid_op 0
		.amdhsa_exception_fp_denorm_src 0
		.amdhsa_exception_fp_ieee_div_zero 0
		.amdhsa_exception_fp_ieee_overflow 0
		.amdhsa_exception_fp_ieee_underflow 0
		.amdhsa_exception_fp_ieee_inexact 0
		.amdhsa_exception_int_div_zero 0
	.end_amdhsa_kernel
	.section	.text._ZL33flash_attn_stream_k_fixup_uniformILi128ELi8ELi4EEvPfPK15HIP_vector_typeIfLj2EEiiiiiiS1_IjLj3EES5_S5_,"axG",@progbits,_ZL33flash_attn_stream_k_fixup_uniformILi128ELi8ELi4EEvPfPK15HIP_vector_typeIfLj2EEiiiiiiS1_IjLj3EES5_S5_,comdat
.Lfunc_end26:
	.size	_ZL33flash_attn_stream_k_fixup_uniformILi128ELi8ELi4EEvPfPK15HIP_vector_typeIfLj2EEiiiiiiS1_IjLj3EES5_S5_, .Lfunc_end26-_ZL33flash_attn_stream_k_fixup_uniformILi128ELi8ELi4EEvPfPK15HIP_vector_typeIfLj2EEiiiiiiS1_IjLj3EES5_S5_
                                        ; -- End function
	.section	.AMDGPU.csdata,"",@progbits
; Kernel info:
; codeLenInByte = 996
; NumSgprs: 22
; NumVgprs: 15
; ScratchSize: 0
; MemoryBound: 0
; FloatMode: 240
; IeeeMode: 1
; LDSByteSize: 0 bytes/workgroup (compile time only)
; SGPRBlocks: 2
; VGPRBlocks: 1
; NumSGPRsForWavesPerEU: 22
; NumVGPRsForWavesPerEU: 15
; Occupancy: 16
; WaveLimiterHint : 0
; COMPUTE_PGM_RSRC2:SCRATCH_EN: 0
; COMPUTE_PGM_RSRC2:USER_SGPR: 13
; COMPUTE_PGM_RSRC2:TRAP_HANDLER: 0
; COMPUTE_PGM_RSRC2:TGID_X_EN: 1
; COMPUTE_PGM_RSRC2:TGID_Y_EN: 1
; COMPUTE_PGM_RSRC2:TGID_Z_EN: 1
; COMPUTE_PGM_RSRC2:TIDIG_COMP_CNT: 0
	.section	.text._ZL33flash_attn_stream_k_fixup_generalILi128ELi8ELi4EEvPfPK15HIP_vector_typeIfLj2EEiiiiS1_IjLj3EES5_S5_S5_,"axG",@progbits,_ZL33flash_attn_stream_k_fixup_generalILi128ELi8ELi4EEvPfPK15HIP_vector_typeIfLj2EEiiiiS1_IjLj3EES5_S5_S5_,comdat
	.globl	_ZL33flash_attn_stream_k_fixup_generalILi128ELi8ELi4EEvPfPK15HIP_vector_typeIfLj2EEiiiiS1_IjLj3EES5_S5_S5_ ; -- Begin function _ZL33flash_attn_stream_k_fixup_generalILi128ELi8ELi4EEvPfPK15HIP_vector_typeIfLj2EEiiiiS1_IjLj3EES5_S5_S5_
	.p2align	8
	.type	_ZL33flash_attn_stream_k_fixup_generalILi128ELi8ELi4EEvPfPK15HIP_vector_typeIfLj2EEiiiiS1_IjLj3EES5_S5_S5_,@function
_ZL33flash_attn_stream_k_fixup_generalILi128ELi8ELi4EEvPfPK15HIP_vector_typeIfLj2EEiiiiS1_IjLj3EES5_S5_S5_: ; @_ZL33flash_attn_stream_k_fixup_generalILi128ELi8ELi4EEvPfPK15HIP_vector_typeIfLj2EEiiiiS1_IjLj3EES5_S5_S5_
; %bb.0:
	s_clause 0x1
	s_load_b128 s[4:7], s[0:1], 0x10
	s_load_b32 s20, s[0:1], 0x50
	s_mov_b32 s2, 0
	s_waitcnt lgkmcnt(0)
	s_mul_hi_i32 s3, s7, s13
	s_mul_i32 s12, s7, s13
	s_cmp_lg_u64 s[2:3], 0
	s_cbranch_scc0 .LBB27_21
; %bb.1:
	v_cvt_f32_ubyte0_e32 v1, 0
	v_cvt_f32_u32_e32 v2, s20
	s_sub_u32 s10, 0, s20
	s_subb_u32 s11, 0, 0
	s_delay_alu instid0(VALU_DEP_1) | instskip(NEXT) | instid1(VALU_DEP_1)
	v_fmamk_f32 v1, v1, 0x4f800000, v2
	v_rcp_f32_e32 v1, v1
	s_waitcnt_depctr 0xfff
	v_mul_f32_e32 v1, 0x5f7ffffc, v1
	s_delay_alu instid0(VALU_DEP_1) | instskip(NEXT) | instid1(VALU_DEP_1)
	v_mul_f32_e32 v2, 0x2f800000, v1
	v_trunc_f32_e32 v2, v2
	s_delay_alu instid0(VALU_DEP_1) | instskip(SKIP_1) | instid1(VALU_DEP_2)
	v_fmamk_f32 v1, v2, 0xcf800000, v1
	v_cvt_u32_f32_e32 v2, v2
	v_cvt_u32_f32_e32 v1, v1
	s_delay_alu instid0(VALU_DEP_2) | instskip(NEXT) | instid1(VALU_DEP_2)
	v_readfirstlane_b32 s8, v2
	v_readfirstlane_b32 s9, v1
	s_delay_alu instid0(VALU_DEP_2) | instskip(NEXT) | instid1(VALU_DEP_1)
	s_mul_i32 s16, s10, s8
	s_mul_hi_u32 s18, s10, s9
	s_mul_i32 s17, s11, s9
	s_add_i32 s16, s18, s16
	s_mul_i32 s19, s10, s9
	s_add_i32 s16, s16, s17
	s_mul_hi_u32 s18, s9, s19
	s_mul_hi_u32 s21, s8, s19
	s_mul_i32 s17, s8, s19
	s_mul_hi_u32 s19, s9, s16
	s_mul_i32 s9, s9, s16
	s_mul_hi_u32 s22, s8, s16
	s_add_u32 s9, s18, s9
	s_addc_u32 s18, 0, s19
	s_add_u32 s9, s9, s17
	s_mul_i32 s16, s8, s16
	s_addc_u32 s9, s18, s21
	s_addc_u32 s17, s22, 0
	s_add_u32 s9, s9, s16
	s_addc_u32 s16, 0, s17
	v_add_co_u32 v1, s9, v1, s9
	s_delay_alu instid0(VALU_DEP_1) | instskip(SKIP_1) | instid1(VALU_DEP_1)
	s_cmp_lg_u32 s9, 0
	s_addc_u32 s8, s8, s16
	v_readfirstlane_b32 s9, v1
	s_mul_i32 s16, s10, s8
	s_delay_alu instid0(VALU_DEP_1)
	s_mul_hi_u32 s17, s10, s9
	s_mul_i32 s11, s11, s9
	s_add_i32 s16, s17, s16
	s_mul_i32 s10, s10, s9
	s_add_i32 s16, s16, s11
	s_mul_hi_u32 s17, s8, s10
	s_mul_i32 s18, s8, s10
	s_mul_hi_u32 s10, s9, s10
	s_mul_hi_u32 s19, s9, s16
	s_mul_i32 s9, s9, s16
	s_mul_hi_u32 s11, s8, s16
	s_add_u32 s9, s10, s9
	s_addc_u32 s10, 0, s19
	s_add_u32 s9, s9, s18
	s_mul_i32 s16, s8, s16
	s_addc_u32 s9, s10, s17
	s_addc_u32 s10, s11, 0
	s_add_u32 s9, s9, s16
	s_addc_u32 s10, 0, s10
	v_add_co_u32 v1, s9, v1, s9
	s_delay_alu instid0(VALU_DEP_1) | instskip(SKIP_2) | instid1(SALU_CYCLE_1)
	s_cmp_lg_u32 s9, 0
	s_addc_u32 s16, s8, s10
	s_ashr_i32 s8, s3, 31
	s_add_u32 s10, s12, s8
	s_addc_u32 s11, s3, s8
	v_readfirstlane_b32 s3, v1
	s_mov_b32 s9, s8
	s_delay_alu instid0(SALU_CYCLE_1) | instskip(NEXT) | instid1(SALU_CYCLE_1)
	s_xor_b64 s[10:11], s[10:11], s[8:9]
	s_mul_i32 s18, s10, s16
	s_delay_alu instid0(VALU_DEP_1)
	s_mul_hi_u32 s19, s10, s3
	s_mul_hi_u32 s17, s10, s16
	s_mul_hi_u32 s22, s11, s3
	s_mul_i32 s3, s11, s3
	s_add_u32 s18, s19, s18
	s_addc_u32 s17, 0, s17
	s_mul_hi_u32 s21, s11, s16
	s_add_u32 s3, s18, s3
	s_mul_i32 s16, s11, s16
	s_addc_u32 s3, s17, s22
	s_addc_u32 s17, s21, 0
	s_add_u32 s3, s3, s16
	s_addc_u32 s16, 0, s17
	s_mul_i32 s18, s20, s3
	s_add_u32 s17, s3, 1
	v_sub_co_u32 v1, s10, s10, s18
	s_mul_hi_u32 s18, s20, s3
	s_addc_u32 s19, s16, 0
	s_mul_i32 s21, s20, s16
	s_delay_alu instid0(VALU_DEP_1)
	v_sub_co_u32 v2, s22, v1, s20
	s_add_u32 s23, s3, 2
	s_addc_u32 s24, s16, 0
	s_add_i32 s18, s18, s21
	s_cmp_lg_u32 s10, 0
	v_readfirstlane_b32 s10, v2
	s_subb_u32 s11, s11, s18
	s_cmp_lg_u32 s22, 0
	s_subb_u32 s18, s11, 0
	s_delay_alu instid0(VALU_DEP_1) | instskip(SKIP_4) | instid1(SALU_CYCLE_1)
	s_cmp_ge_u32 s10, s20
	s_cselect_b32 s10, -1, 0
	s_cmp_eq_u32 s18, 0
	v_readfirstlane_b32 s18, v1
	s_cselect_b32 s10, s10, -1
	s_cmp_lg_u32 s10, 0
	s_cselect_b32 s10, s23, s17
	s_cselect_b32 s17, s24, s19
	s_cmp_ge_u32 s18, s20
	s_cselect_b32 s18, -1, 0
	s_cmp_eq_u32 s11, 0
	s_cselect_b32 s11, s18, -1
	s_delay_alu instid0(SALU_CYCLE_1) | instskip(SKIP_2) | instid1(SALU_CYCLE_1)
	s_cmp_lg_u32 s11, 0
	s_cselect_b32 s11, s17, s16
	s_cselect_b32 s10, s10, s3
	s_xor_b64 s[10:11], s[10:11], s[8:9]
	s_delay_alu instid0(SALU_CYCLE_1)
	s_sub_u32 s16, s10, s8
	s_load_b128 s[8:11], s[0:1], 0x44
	s_and_not1_b32 vcc_lo, exec_lo, s2
	s_cbranch_vccnz .LBB27_3
.LBB27_2:
	v_cvt_f32_u32_e32 v1, s20
	s_sub_i32 s3, 0, s20
	s_delay_alu instid0(VALU_DEP_1) | instskip(SKIP_2) | instid1(VALU_DEP_1)
	v_rcp_iflag_f32_e32 v1, v1
	s_waitcnt_depctr 0xfff
	v_mul_f32_e32 v1, 0x4f7ffffe, v1
	v_cvt_u32_f32_e32 v1, v1
	s_delay_alu instid0(VALU_DEP_1) | instskip(NEXT) | instid1(VALU_DEP_1)
	v_readfirstlane_b32 s2, v1
	s_mul_i32 s3, s3, s2
	s_delay_alu instid0(SALU_CYCLE_1) | instskip(NEXT) | instid1(SALU_CYCLE_1)
	s_mul_hi_u32 s3, s2, s3
	s_add_i32 s2, s2, s3
	s_delay_alu instid0(SALU_CYCLE_1) | instskip(NEXT) | instid1(SALU_CYCLE_1)
	s_mul_hi_u32 s2, s12, s2
	s_mul_i32 s3, s2, s20
	s_waitcnt lgkmcnt(0)
	s_add_i32 s11, s2, 1
	s_sub_i32 s3, s12, s3
	s_delay_alu instid0(SALU_CYCLE_1)
	s_sub_i32 s12, s3, s20
	s_cmp_ge_u32 s3, s20
	s_cselect_b32 s2, s11, s2
	s_cselect_b32 s3, s12, s3
	s_add_i32 s11, s2, 1
	s_cmp_ge_u32 s3, s20
	s_cselect_b32 s16, s11, s2
.LBB27_3:
	s_waitcnt lgkmcnt(0)
	s_add_i32 s11, s13, 1
	s_mov_b32 s2, 0
	s_mul_hi_i32 s3, s7, s11
	s_mul_i32 s11, s7, s11
	s_cmp_lg_u64 s[2:3], 0
	s_cbranch_scc0 .LBB27_22
; %bb.4:
	v_cvt_f32_ubyte0_e32 v1, 0
	v_cvt_f32_u32_e32 v2, s20
	s_sub_u32 s18, 0, s20
	s_subb_u32 s19, 0, 0
	s_delay_alu instid0(VALU_DEP_1) | instskip(NEXT) | instid1(VALU_DEP_1)
	v_fmamk_f32 v1, v1, 0x4f800000, v2
	v_rcp_f32_e32 v1, v1
	s_waitcnt_depctr 0xfff
	v_mul_f32_e32 v1, 0x5f7ffffc, v1
	s_delay_alu instid0(VALU_DEP_1) | instskip(NEXT) | instid1(VALU_DEP_1)
	v_mul_f32_e32 v2, 0x2f800000, v1
	v_trunc_f32_e32 v2, v2
	s_delay_alu instid0(VALU_DEP_1) | instskip(SKIP_1) | instid1(VALU_DEP_2)
	v_fmamk_f32 v1, v2, 0xcf800000, v1
	v_cvt_u32_f32_e32 v2, v2
	v_cvt_u32_f32_e32 v1, v1
	s_delay_alu instid0(VALU_DEP_2) | instskip(NEXT) | instid1(VALU_DEP_2)
	v_readfirstlane_b32 s12, v2
	v_readfirstlane_b32 s17, v1
	s_delay_alu instid0(VALU_DEP_2) | instskip(NEXT) | instid1(VALU_DEP_1)
	s_mul_i32 s21, s18, s12
	s_mul_hi_u32 s23, s18, s17
	s_mul_i32 s22, s19, s17
	s_add_i32 s21, s23, s21
	s_mul_i32 s24, s18, s17
	s_add_i32 s21, s21, s22
	s_mul_hi_u32 s23, s17, s24
	s_mul_hi_u32 s25, s12, s24
	s_mul_i32 s22, s12, s24
	s_mul_hi_u32 s24, s17, s21
	s_mul_i32 s17, s17, s21
	s_mul_hi_u32 s26, s12, s21
	s_add_u32 s17, s23, s17
	s_addc_u32 s23, 0, s24
	s_add_u32 s17, s17, s22
	s_mul_i32 s21, s12, s21
	s_addc_u32 s17, s23, s25
	s_addc_u32 s22, s26, 0
	s_add_u32 s17, s17, s21
	s_addc_u32 s21, 0, s22
	v_add_co_u32 v1, s17, v1, s17
	s_delay_alu instid0(VALU_DEP_1) | instskip(SKIP_1) | instid1(VALU_DEP_1)
	s_cmp_lg_u32 s17, 0
	s_addc_u32 s12, s12, s21
	v_readfirstlane_b32 s17, v1
	s_mul_i32 s21, s18, s12
	s_delay_alu instid0(VALU_DEP_1)
	s_mul_hi_u32 s22, s18, s17
	s_mul_i32 s19, s19, s17
	s_add_i32 s21, s22, s21
	s_mul_i32 s18, s18, s17
	s_add_i32 s21, s21, s19
	s_mul_hi_u32 s22, s12, s18
	s_mul_i32 s23, s12, s18
	s_mul_hi_u32 s18, s17, s18
	s_mul_hi_u32 s24, s17, s21
	s_mul_i32 s17, s17, s21
	s_mul_hi_u32 s19, s12, s21
	s_add_u32 s17, s18, s17
	s_addc_u32 s18, 0, s24
	s_add_u32 s17, s17, s23
	s_mul_i32 s21, s12, s21
	s_addc_u32 s17, s18, s22
	s_addc_u32 s18, s19, 0
	s_add_u32 s17, s17, s21
	s_addc_u32 s18, 0, s18
	v_add_co_u32 v1, s17, v1, s17
	s_delay_alu instid0(VALU_DEP_1) | instskip(SKIP_2) | instid1(SALU_CYCLE_1)
	s_cmp_lg_u32 s17, 0
	s_addc_u32 s12, s12, s18
	s_ashr_i32 s18, s3, 31
	s_add_u32 s22, s11, s18
	s_addc_u32 s23, s3, s18
	v_readfirstlane_b32 s3, v1
	s_mov_b32 s19, s18
	s_delay_alu instid0(SALU_CYCLE_1) | instskip(NEXT) | instid1(SALU_CYCLE_1)
	s_xor_b64 s[22:23], s[22:23], s[18:19]
	s_mul_i32 s21, s22, s12
	s_delay_alu instid0(VALU_DEP_1)
	s_mul_hi_u32 s24, s22, s3
	s_mul_hi_u32 s17, s22, s12
	;; [unrolled: 1-line block ×3, first 2 shown]
	s_mul_i32 s3, s23, s3
	s_add_u32 s21, s24, s21
	s_addc_u32 s17, 0, s17
	s_mul_hi_u32 s25, s23, s12
	s_add_u32 s3, s21, s3
	s_mul_i32 s12, s23, s12
	s_addc_u32 s3, s17, s26
	s_addc_u32 s17, s25, 0
	s_add_u32 s3, s3, s12
	s_addc_u32 s12, 0, s17
	s_mul_i32 s21, s20, s3
	s_add_u32 s17, s3, 1
	v_sub_co_u32 v1, s21, s22, s21
	s_mul_hi_u32 s22, s20, s3
	s_addc_u32 s24, s12, 0
	s_mul_i32 s25, s20, s12
	s_delay_alu instid0(VALU_DEP_1)
	v_sub_co_u32 v2, s26, v1, s20
	s_add_u32 s27, s3, 2
	s_addc_u32 s28, s12, 0
	s_add_i32 s22, s22, s25
	s_cmp_lg_u32 s21, 0
	v_readfirstlane_b32 s21, v2
	s_subb_u32 s22, s23, s22
	s_cmp_lg_u32 s26, 0
	s_subb_u32 s23, s22, 0
	s_delay_alu instid0(VALU_DEP_1) | instskip(SKIP_4) | instid1(SALU_CYCLE_1)
	s_cmp_ge_u32 s21, s20
	s_cselect_b32 s21, -1, 0
	s_cmp_eq_u32 s23, 0
	v_readfirstlane_b32 s23, v1
	s_cselect_b32 s21, s21, -1
	s_cmp_lg_u32 s21, 0
	s_cselect_b32 s17, s27, s17
	s_cselect_b32 s21, s28, s24
	s_cmp_ge_u32 s23, s20
	s_cselect_b32 s23, -1, 0
	s_cmp_eq_u32 s22, 0
	s_cselect_b32 s22, s23, -1
	s_delay_alu instid0(SALU_CYCLE_1) | instskip(SKIP_2) | instid1(SALU_CYCLE_1)
	s_cmp_lg_u32 s22, 0
	s_cselect_b32 s23, s21, s12
	s_cselect_b32 s22, s17, s3
	s_xor_b64 s[22:23], s[22:23], s[18:19]
	s_delay_alu instid0(SALU_CYCLE_1)
	s_sub_u32 s18, s22, s18
	s_and_not1_b32 vcc_lo, exec_lo, s2
	s_cbranch_vccnz .LBB27_6
.LBB27_5:
	v_cvt_f32_u32_e32 v1, s20
	s_sub_i32 s3, 0, s20
	s_delay_alu instid0(VALU_DEP_1) | instskip(SKIP_2) | instid1(VALU_DEP_1)
	v_rcp_iflag_f32_e32 v1, v1
	s_waitcnt_depctr 0xfff
	v_mul_f32_e32 v1, 0x4f7ffffe, v1
	v_cvt_u32_f32_e32 v1, v1
	s_delay_alu instid0(VALU_DEP_1) | instskip(NEXT) | instid1(VALU_DEP_1)
	v_readfirstlane_b32 s2, v1
	s_mul_i32 s3, s3, s2
	s_delay_alu instid0(SALU_CYCLE_1) | instskip(NEXT) | instid1(SALU_CYCLE_1)
	s_mul_hi_u32 s3, s2, s3
	s_add_i32 s2, s2, s3
	s_delay_alu instid0(SALU_CYCLE_1) | instskip(NEXT) | instid1(SALU_CYCLE_1)
	s_mul_hi_u32 s2, s11, s2
	s_mul_i32 s3, s2, s20
	s_delay_alu instid0(SALU_CYCLE_1)
	s_sub_i32 s3, s11, s3
	s_add_i32 s11, s2, 1
	s_sub_i32 s12, s3, s20
	s_cmp_ge_u32 s3, s20
	s_cselect_b32 s2, s11, s2
	s_cselect_b32 s3, s12, s3
	s_add_i32 s11, s2, 1
	s_cmp_ge_u32 s3, s20
	s_cselect_b32 s18, s11, s2
.LBB27_6:
	s_delay_alu instid0(SALU_CYCLE_1) | instskip(SKIP_3) | instid1(SALU_CYCLE_1)
	s_cmp_eq_u32 s16, s18
	s_mul_hi_u32 s2, s16, s8
	s_cselect_b32 s3, -1, 0
	s_add_i32 s2, s2, s16
	s_lshr_b32 s11, s2, s9
	s_delay_alu instid0(SALU_CYCLE_1) | instskip(NEXT) | instid1(SALU_CYCLE_1)
	s_mul_i32 s2, s11, s10
	s_cmp_eq_u32 s2, s16
	s_mul_hi_u32 s2, s18, s8
	s_cselect_b32 s12, -1, 0
	s_add_i32 s2, s2, s18
	s_delay_alu instid0(SALU_CYCLE_1) | instskip(NEXT) | instid1(SALU_CYCLE_1)
	s_lshr_b32 s2, s2, s9
	s_cmp_eq_u32 s11, s2
	s_mul_i32 s2, s2, s10
	s_cselect_b32 s17, -1, 0
	s_cmp_lg_u32 s2, s18
	s_cselect_b32 s2, -1, 0
	s_or_b32 s3, s3, s12
	s_and_b32 s2, s17, s2
	s_delay_alu instid0(SALU_CYCLE_1) | instskip(NEXT) | instid1(SALU_CYCLE_1)
	s_or_b32 s2, s3, s2
	s_and_b32 vcc_lo, exec_lo, s2
	s_cbranch_vccnz .LBB27_24
; %bb.7:
	s_load_b256 s[24:31], s[0:1], 0x20
	s_waitcnt lgkmcnt(0)
	s_mul_hi_u32 s2, s16, s24
	s_delay_alu instid0(SALU_CYCLE_1) | instskip(NEXT) | instid1(SALU_CYCLE_1)
	s_add_i32 s2, s2, s16
	s_lshr_b32 s17, s2, s25
	s_load_b32 s2, s[0:1], 0x40
	s_mul_i32 s3, s17, s26
	s_delay_alu instid0(SALU_CYCLE_1) | instskip(NEXT) | instid1(SALU_CYCLE_1)
	s_sub_i32 s3, s16, s3
	s_mul_hi_u32 s12, s3, s27
	s_delay_alu instid0(SALU_CYCLE_1) | instskip(NEXT) | instid1(SALU_CYCLE_1)
	s_add_i32 s12, s3, s12
	s_lshr_b32 s21, s12, s28
	s_delay_alu instid0(SALU_CYCLE_1) | instskip(NEXT) | instid1(SALU_CYCLE_1)
	s_mul_i32 s12, s21, s29
	s_sub_i32 s3, s3, s12
	s_delay_alu instid0(SALU_CYCLE_1) | instskip(NEXT) | instid1(SALU_CYCLE_1)
	s_mul_hi_u32 s12, s3, s30
	s_add_i32 s12, s3, s12
	s_delay_alu instid0(SALU_CYCLE_1)
	s_lshr_b32 s12, s12, s31
	s_waitcnt lgkmcnt(0)
	s_mul_i32 s2, s12, s2
	s_lshl_b32 s23, s12, 2
	s_sub_i32 s2, s3, s2
	s_mov_b32 s12, 0
	s_mul_hi_u32 s3, s2, s8
	s_delay_alu instid0(SALU_CYCLE_1) | instskip(NEXT) | instid1(SALU_CYCLE_1)
	s_add_i32 s2, s2, s3
	s_lshr_b32 s22, s2, s9
	s_delay_alu instid0(SALU_CYCLE_1) | instskip(NEXT) | instid1(SALU_CYCLE_1)
	s_lshl_b32 s2, s22, 3
	s_add_i32 s2, s2, s14
	s_delay_alu instid0(SALU_CYCLE_1) | instskip(SKIP_2) | instid1(SALU_CYCLE_1)
	s_cmp_lt_i32 s2, s4
	s_cselect_b32 s2, -1, 0
	s_add_i32 s3, s23, s15
	s_cmp_lt_i32 s3, s6
	s_cselect_b32 s3, -1, 0
	s_delay_alu instid0(SALU_CYCLE_1) | instskip(NEXT) | instid1(SALU_CYCLE_1)
	s_and_b32 s2, s2, s3
	s_and_not1_b32 vcc_lo, exec_lo, s2
	s_cbranch_vccnz .LBB27_24
; %bb.8:
	s_load_b128 s[0:3], s[0:1], 0x0
	s_lshl_b32 s18, s20, 7
	s_mov_b32 s19, s12
	s_lshl_b32 s24, s14, 2
	s_lshl_b64 s[18:19], s[18:19], 2
	s_mul_i32 s4, s17, s4
	s_add_i32 s17, s24, s15
	s_mul_i32 s21, s21, s6
	v_cvt_f32_ubyte0_e32 v4, 0
	v_cvt_f32_u32_e32 v5, s20
	s_waitcnt lgkmcnt(0)
	s_add_u32 s18, s2, s18
	s_addc_u32 s19, s3, s19
	s_add_i32 s4, s4, s14
	s_delay_alu instid0(SALU_CYCLE_1) | instskip(SKIP_4) | instid1(SALU_CYCLE_1)
	s_mul_i32 s4, s4, s5
	s_mul_i32 s5, s5, s22
	s_add_i32 s4, s4, s15
	s_lshl_b32 s5, s5, 10
	s_add_i32 s4, s4, s21
	s_add_i32 s4, s4, s23
	s_delay_alu instid0(SALU_CYCLE_1) | instskip(NEXT) | instid1(SALU_CYCLE_1)
	s_lshl_b32 s4, s4, 7
	s_add_i32 s5, s5, s4
	s_delay_alu instid0(SALU_CYCLE_1) | instskip(SKIP_1) | instid1(VALU_DEP_2)
	v_or_b32_e32 v1, s5, v0
	v_lshl_or_b32 v0, s17, 7, v0
	v_ashrrev_i32_e32 v2, 31, v1
	s_delay_alu instid0(VALU_DEP_1) | instskip(NEXT) | instid1(VALU_DEP_1)
	v_lshlrev_b64 v[1:2], 2, v[1:2]
	v_add_co_u32 v1, vcc_lo, s0, v1
	s_delay_alu instid0(VALU_DEP_2) | instskip(SKIP_1) | instid1(SALU_CYCLE_1)
	v_add_co_ci_u32_e32 v2, vcc_lo, s1, v2, vcc_lo
	s_lshl_b32 s0, s13, 5
	s_add_i32 s0, s17, s0
	global_load_b32 v3, v[1:2], off
	s_ashr_i32 s1, s0, 31
	s_delay_alu instid0(SALU_CYCLE_1) | instskip(NEXT) | instid1(SALU_CYCLE_1)
	s_lshl_b64 s[0:1], s[0:1], 3
	s_add_u32 s0, s2, s0
	s_addc_u32 s1, s3, s1
	s_add_i32 s14, s13, -1
	s_load_b64 s[0:1], s[0:1], 0x0
	v_fmac_f32_e32 v5, 0x4f800000, v4
	s_sub_i32 s6, 0, s20
	s_waitcnt lgkmcnt(0)
	v_mov_b32_e32 v8, s0
	s_delay_alu instid0(VALU_DEP_2) | instskip(SKIP_2) | instid1(VALU_DEP_2)
	v_rcp_f32_e32 v4, v5
	v_cvt_f32_u32_e32 v5, s20
	v_mov_b32_e32 v7, s1
	v_rcp_iflag_f32_e32 v5, v5
	s_waitcnt_depctr 0xfff
	v_mul_f32_e32 v4, 0x5f7ffffc, v4
	s_delay_alu instid0(VALU_DEP_1) | instskip(SKIP_1) | instid1(VALU_DEP_2)
	v_mul_f32_e32 v6, 0x2f800000, v4
	v_mul_f32_e32 v9, 0x4f7ffffe, v5
	v_trunc_f32_e32 v6, v6
	s_delay_alu instid0(VALU_DEP_1) | instskip(SKIP_1) | instid1(VALU_DEP_4)
	v_fmac_f32_e32 v4, 0xcf800000, v6
	v_cvt_u32_f32_e32 v5, v6
	v_cvt_u32_f32_e32 v6, v9
	s_delay_alu instid0(VALU_DEP_3)
	v_cvt_u32_f32_e32 v4, v4
.LBB27_9:                               ; =>This Inner Loop Header: Depth=1
	s_mul_hi_i32 s13, s14, s7
	s_mul_i32 s4, s14, s7
	s_cmp_lg_u64 s[12:13], 0
	s_mov_b32 s5, -1
                                        ; implicit-def: $sgpr0_sgpr1
	s_cbranch_scc0 .LBB27_11
; %bb.10:                               ;   in Loop: Header=BB27_9 Depth=1
	v_readfirstlane_b32 s0, v4
	v_readfirstlane_b32 s1, v5
	s_sub_u32 s5, 0, s20
	s_subb_u32 s15, 0, 0
	s_delay_alu instid0(VALU_DEP_2) | instskip(NEXT) | instid1(VALU_DEP_1)
	s_mul_hi_u32 s21, s5, s0
	s_mul_i32 s22, s5, s1
	s_mul_i32 s23, s15, s0
	s_add_i32 s21, s21, s22
	s_mul_i32 s22, s5, s0
	s_add_i32 s21, s21, s23
	s_mul_hi_u32 s23, s0, s22
	s_mul_i32 s24, s0, s21
	s_mul_hi_u32 s0, s0, s21
	s_add_u32 s23, s23, s24
	s_mul_i32 s25, s1, s22
	s_addc_u32 s0, 0, s0
	s_mul_hi_u32 s22, s1, s22
	s_mul_hi_u32 s24, s1, s21
	s_add_u32 s23, s23, s25
	s_addc_u32 s0, s0, s22
	s_mul_i32 s21, s1, s21
	s_addc_u32 s22, s24, 0
	s_add_u32 s0, s0, s21
	s_addc_u32 s21, 0, s22
	v_add_co_u32 v9, s0, v4, s0
	s_delay_alu instid0(VALU_DEP_1) | instskip(SKIP_1) | instid1(VALU_DEP_1)
	s_cmp_lg_u32 s0, 0
	s_addc_u32 s1, s1, s21
	v_readfirstlane_b32 s0, v9
	s_mul_i32 s21, s5, s1
	s_delay_alu instid0(VALU_DEP_1)
	s_mul_hi_u32 s22, s5, s0
	s_mul_i32 s15, s15, s0
	s_add_i32 s21, s22, s21
	s_mul_i32 s5, s5, s0
	s_add_i32 s21, s21, s15
	s_mul_hi_u32 s15, s1, s5
	s_mul_i32 s23, s1, s5
	s_mul_i32 s24, s0, s21
	s_mul_hi_u32 s5, s0, s5
	s_mul_hi_u32 s0, s0, s21
	s_add_u32 s5, s5, s24
	s_addc_u32 s0, 0, s0
	s_mul_hi_u32 s22, s1, s21
	s_add_u32 s5, s5, s23
	s_addc_u32 s0, s0, s15
	s_mul_i32 s5, s1, s21
	s_addc_u32 s15, s22, 0
	s_add_u32 s0, s0, s5
	s_addc_u32 s5, 0, s15
	v_add_co_u32 v9, s0, v9, s0
	s_delay_alu instid0(VALU_DEP_1) | instskip(SKIP_2) | instid1(SALU_CYCLE_1)
	s_cmp_lg_u32 s0, 0
	s_addc_u32 s5, s1, s5
	s_ashr_i32 s0, s13, 31
	s_add_u32 s22, s4, s0
	s_addc_u32 s23, s13, s0
	v_readfirstlane_b32 s13, v9
	s_mov_b32 s1, s0
	s_delay_alu instid0(SALU_CYCLE_1) | instskip(NEXT) | instid1(SALU_CYCLE_1)
	s_xor_b64 s[22:23], s[22:23], s[0:1]
	s_mul_i32 s15, s22, s5
	s_delay_alu instid0(VALU_DEP_1)
	s_mul_hi_u32 s21, s22, s13
	s_mul_hi_u32 s24, s22, s5
	s_add_u32 s15, s21, s15
	s_mul_i32 s25, s23, s13
	s_addc_u32 s21, 0, s24
	s_mul_hi_u32 s13, s23, s13
	s_mul_hi_u32 s24, s23, s5
	s_add_u32 s15, s15, s25
	s_addc_u32 s13, s21, s13
	s_mul_i32 s5, s23, s5
	s_addc_u32 s15, s24, 0
	s_add_u32 s5, s13, s5
	s_addc_u32 s13, 0, s15
	s_mul_i32 s21, s20, s5
	s_add_u32 s15, s5, 1
	v_sub_co_u32 v9, s21, s22, s21
	s_addc_u32 s22, s13, 0
	s_mul_i32 s25, s20, s13
	s_mul_hi_u32 s27, s20, s5
	s_delay_alu instid0(VALU_DEP_1)
	v_sub_co_u32 v10, s26, v9, s20
	s_add_u32 s24, s5, 2
	s_addc_u32 s28, s13, 0
	s_add_i32 s27, s27, s25
	s_cmp_lg_u32 s21, 0
	v_readfirstlane_b32 s21, v10
	s_subb_u32 s23, s23, s27
	s_cmp_lg_u32 s26, 0
	s_subb_u32 s25, s23, 0
	s_delay_alu instid0(VALU_DEP_1) | instskip(SKIP_4) | instid1(SALU_CYCLE_1)
	s_cmp_ge_u32 s21, s20
	s_cselect_b32 s21, -1, 0
	s_cmp_eq_u32 s25, 0
	v_readfirstlane_b32 s25, v9
	s_cselect_b32 s21, s21, -1
	s_cmp_lg_u32 s21, 0
	s_cselect_b32 s15, s24, s15
	s_cselect_b32 s21, s28, s22
	s_cmp_ge_u32 s25, s20
	s_cselect_b32 s22, -1, 0
	s_cmp_eq_u32 s23, 0
	s_cselect_b32 s22, s22, -1
	s_delay_alu instid0(SALU_CYCLE_1) | instskip(SKIP_4) | instid1(SALU_CYCLE_1)
	s_cmp_lg_u32 s22, 0
	s_cselect_b32 s23, s21, s13
	s_cselect_b32 s22, s15, s5
	s_mov_b32 s5, 0
	s_xor_b64 s[22:23], s[22:23], s[0:1]
	s_sub_u32 s0, s22, s0
.LBB27_11:                              ;   in Loop: Header=BB27_9 Depth=1
	s_and_not1_b32 vcc_lo, exec_lo, s5
	s_cbranch_vccnz .LBB27_13
; %bb.12:                               ;   in Loop: Header=BB27_9 Depth=1
	v_readfirstlane_b32 s0, v6
	s_delay_alu instid0(VALU_DEP_1) | instskip(NEXT) | instid1(SALU_CYCLE_1)
	s_mul_i32 s1, s6, s0
	s_mul_hi_u32 s1, s0, s1
	s_delay_alu instid0(SALU_CYCLE_1) | instskip(NEXT) | instid1(SALU_CYCLE_1)
	s_add_i32 s0, s0, s1
	s_mul_hi_u32 s0, s4, s0
	s_delay_alu instid0(SALU_CYCLE_1) | instskip(NEXT) | instid1(SALU_CYCLE_1)
	s_mul_i32 s1, s0, s20
	s_sub_i32 s1, s4, s1
	s_add_i32 s4, s0, 1
	s_sub_i32 s5, s1, s20
	s_cmp_ge_u32 s1, s20
	s_cselect_b32 s0, s4, s0
	s_cselect_b32 s1, s5, s1
	s_add_i32 s4, s0, 1
	s_cmp_ge_u32 s1, s20
	s_cselect_b32 s0, s4, s0
.LBB27_13:                              ;   in Loop: Header=BB27_9 Depth=1
	s_delay_alu instid0(SALU_CYCLE_1)
	s_cmp_lg_u32 s16, s0
	s_cbranch_scc0 .LBB27_17
; %bb.14:                               ;   in Loop: Header=BB27_9 Depth=1
	s_add_i32 s1, s14, s20
	s_mov_b32 s5, s12
	s_lshl_b32 s1, s1, 5
	s_mov_b32 s15, s16
	s_add_i32 s4, s1, s17
	s_mul_hi_u32 s1, s0, s8
	s_lshl_b64 s[4:5], s[4:5], 3
	s_delay_alu instid0(SALU_CYCLE_1) | instskip(SKIP_2) | instid1(SALU_CYCLE_1)
	s_add_u32 s4, s2, s4
	s_addc_u32 s5, s3, s5
	s_add_i32 s1, s1, s0
	s_lshr_b32 s1, s1, s9
	s_delay_alu instid0(SALU_CYCLE_1) | instskip(NEXT) | instid1(SALU_CYCLE_1)
	s_mul_i32 s13, s1, s10
	s_cmp_eq_u32 s13, s0
	s_cselect_b32 s13, -1, 0
	s_cmp_lt_u32 s1, s11
	s_cselect_b32 s1, -1, 0
	s_delay_alu instid0(SALU_CYCLE_1)
	s_or_b32 s1, s1, s13
	s_mov_b32 s13, -1
	s_and_b32 vcc_lo, exec_lo, s1
	s_mov_b32 s1, s14
	s_cbranch_vccnz .LBB27_16
; %bb.15:                               ;   in Loop: Header=BB27_9 Depth=1
	s_add_i32 s1, s14, -1
	s_mov_b32 s13, 0
	s_mov_b32 s15, s0
.LBB27_16:                              ;   in Loop: Header=BB27_9 Depth=1
	v_lshl_add_u32 v9, s14, 12, v0
	s_load_b64 s[4:5], s[4:5], 0x0
	s_delay_alu instid0(VALU_DEP_1) | instskip(NEXT) | instid1(VALU_DEP_1)
	v_ashrrev_i32_e32 v10, 31, v9
	v_lshlrev_b64 v[9:10], 2, v[9:10]
	s_delay_alu instid0(VALU_DEP_1) | instskip(NEXT) | instid1(VALU_DEP_2)
	v_add_co_u32 v9, vcc_lo, s18, v9
	v_add_co_ci_u32_e32 v10, vcc_lo, s19, v10, vcc_lo
	s_waitcnt lgkmcnt(0)
	v_max_f32_e64 v11, s4, s4
	global_load_b32 v10, v[9:10], off
	v_max_f32_e32 v9, v8, v8
	s_delay_alu instid0(VALU_DEP_1) | instskip(NEXT) | instid1(VALU_DEP_1)
	v_max_f32_e32 v9, v9, v11
	v_sub_f32_e32 v12, v8, v9
	s_delay_alu instid0(VALU_DEP_1) | instskip(NEXT) | instid1(VALU_DEP_1)
	v_dual_mul_f32 v14, 0x3fb8aa3b, v12 :: v_dual_sub_f32 v11, s4, v9
	v_rndne_f32_e32 v18, v14
	s_delay_alu instid0(VALU_DEP_2) | instskip(SKIP_2) | instid1(VALU_DEP_4)
	v_mul_f32_e32 v13, 0x3fb8aa3b, v11
	v_fma_f32 v17, 0x3fb8aa3b, v12, -v14
	v_cmp_ngt_f32_e32 vcc_lo, 0xc2ce8ed0, v11
	v_sub_f32_e32 v14, v14, v18
	s_delay_alu instid0(VALU_DEP_4) | instskip(SKIP_2) | instid1(VALU_DEP_3)
	v_fma_f32 v15, 0x3fb8aa3b, v11, -v13
	v_rndne_f32_e32 v16, v13
	v_fmac_f32_e32 v17, 0x32a5705f, v12
	v_fmac_f32_e32 v15, 0x32a5705f, v11
	s_delay_alu instid0(VALU_DEP_2) | instskip(NEXT) | instid1(VALU_DEP_1)
	v_dual_sub_f32 v13, v13, v16 :: v_dual_add_f32 v14, v14, v17
	v_add_f32_e32 v13, v13, v15
	s_delay_alu instid0(VALU_DEP_2) | instskip(SKIP_2) | instid1(VALU_DEP_3)
	v_exp_f32_e32 v14, v14
	v_cvt_i32_f32_e32 v15, v16
	v_cvt_i32_f32_e32 v16, v18
	v_exp_f32_e32 v13, v13
	s_waitcnt_depctr 0xfff
	v_ldexp_f32 v14, v14, v16
	v_ldexp_f32 v13, v13, v15
	s_delay_alu instid0(VALU_DEP_1) | instskip(SKIP_1) | instid1(VALU_DEP_4)
	v_cndmask_b32_e32 v13, 0, v13, vcc_lo
	v_cmp_ngt_f32_e32 vcc_lo, 0xc2ce8ed0, v12
	v_cndmask_b32_e32 v14, 0, v14, vcc_lo
	v_cmp_nlt_f32_e32 vcc_lo, 0x42b17218, v11
	s_delay_alu instid0(VALU_DEP_4) | instskip(SKIP_1) | instid1(VALU_DEP_4)
	v_cndmask_b32_e32 v13, 0x7f800000, v13, vcc_lo
	v_cmp_nlt_f32_e32 vcc_lo, 0x42b17218, v12
	v_cndmask_b32_e32 v14, 0x7f800000, v14, vcc_lo
	v_cmp_le_f32_e32 vcc_lo, 0xc1a00000, v11
	s_delay_alu instid0(VALU_DEP_4) | instskip(SKIP_1) | instid1(VALU_DEP_4)
	v_cndmask_b32_e32 v11, 0, v13, vcc_lo
	v_cmp_le_f32_e32 vcc_lo, 0xc1a00000, v12
	v_cndmask_b32_e32 v12, 0, v14, vcc_lo
	s_waitcnt vmcnt(0)
	s_delay_alu instid0(VALU_DEP_3) | instskip(NEXT) | instid1(VALU_DEP_1)
	v_mul_f32_e32 v10, v10, v11
	v_dual_mul_f32 v11, s5, v11 :: v_dual_fmac_f32 v10, v3, v12
	s_delay_alu instid0(VALU_DEP_1)
	v_fmac_f32_e32 v11, v7, v12
	s_cbranch_execz .LBB27_18
	s_branch .LBB27_19
.LBB27_17:                              ;   in Loop: Header=BB27_9 Depth=1
                                        ; implicit-def: $sgpr13
                                        ; implicit-def: $vgpr10
                                        ; implicit-def: $vgpr9
                                        ; implicit-def: $vgpr11
                                        ; implicit-def: $sgpr1
                                        ; implicit-def: $sgpr15
.LBB27_18:                              ;   in Loop: Header=BB27_9 Depth=1
	v_mov_b32_e32 v11, v7
	s_waitcnt vmcnt(0)
	v_dual_mov_b32 v9, v8 :: v_dual_mov_b32 v10, v3
	s_add_i32 s1, s14, -1
	s_mov_b32 s13, 0
	s_mov_b32 s15, s16
.LBB27_19:                              ;   in Loop: Header=BB27_9 Depth=1
	s_and_not1_b32 vcc_lo, exec_lo, s13
	s_cbranch_vccz .LBB27_23
; %bb.20:                               ;   in Loop: Header=BB27_9 Depth=1
	v_dual_mov_b32 v7, v11 :: v_dual_mov_b32 v8, v9
	s_waitcnt vmcnt(0)
	v_mov_b32_e32 v3, v10
	s_mov_b32 s16, s15
	s_mov_b32 s14, s1
	s_branch .LBB27_9
.LBB27_21:
                                        ; implicit-def: $sgpr16_sgpr17
	s_load_b128 s[8:11], s[0:1], 0x44
	s_branch .LBB27_2
.LBB27_22:
                                        ; implicit-def: $sgpr18_sgpr19
	s_branch .LBB27_5
.LBB27_23:
	v_div_scale_f32 v0, null, v11, v11, v10
	s_waitcnt vmcnt(0)
	s_delay_alu instid0(VALU_DEP_1) | instskip(SKIP_2) | instid1(VALU_DEP_1)
	v_rcp_f32_e32 v3, v0
	s_waitcnt_depctr 0xfff
	v_fma_f32 v4, -v0, v3, 1.0
	v_fmac_f32_e32 v3, v4, v3
	v_div_scale_f32 v4, vcc_lo, v10, v11, v10
	s_delay_alu instid0(VALU_DEP_1) | instskip(NEXT) | instid1(VALU_DEP_1)
	v_mul_f32_e32 v5, v4, v3
	v_fma_f32 v6, -v0, v5, v4
	s_delay_alu instid0(VALU_DEP_1) | instskip(NEXT) | instid1(VALU_DEP_1)
	v_fmac_f32_e32 v5, v6, v3
	v_fma_f32 v0, -v0, v5, v4
	s_delay_alu instid0(VALU_DEP_1) | instskip(NEXT) | instid1(VALU_DEP_1)
	v_div_fmas_f32 v0, v0, v3, v5
	v_div_fixup_f32 v0, v0, v11, v10
	global_store_b32 v[1:2], v0, off
.LBB27_24:
	s_nop 0
	s_sendmsg sendmsg(MSG_DEALLOC_VGPRS)
	s_endpgm
	.section	.rodata,"a",@progbits
	.p2align	6, 0x0
	.amdhsa_kernel _ZL33flash_attn_stream_k_fixup_generalILi128ELi8ELi4EEvPfPK15HIP_vector_typeIfLj2EEiiiiS1_IjLj3EES5_S5_S5_
		.amdhsa_group_segment_fixed_size 0
		.amdhsa_private_segment_fixed_size 0
		.amdhsa_kernarg_size 336
		.amdhsa_user_sgpr_count 13
		.amdhsa_user_sgpr_dispatch_ptr 0
		.amdhsa_user_sgpr_queue_ptr 0
		.amdhsa_user_sgpr_kernarg_segment_ptr 1
		.amdhsa_user_sgpr_dispatch_id 0
		.amdhsa_user_sgpr_private_segment_size 0
		.amdhsa_wavefront_size32 1
		.amdhsa_uses_dynamic_stack 0
		.amdhsa_enable_private_segment 0
		.amdhsa_system_sgpr_workgroup_id_x 1
		.amdhsa_system_sgpr_workgroup_id_y 1
		.amdhsa_system_sgpr_workgroup_id_z 1
		.amdhsa_system_sgpr_workgroup_info 0
		.amdhsa_system_vgpr_workitem_id 0
		.amdhsa_next_free_vgpr 19
		.amdhsa_next_free_sgpr 32
		.amdhsa_reserve_vcc 1
		.amdhsa_float_round_mode_32 0
		.amdhsa_float_round_mode_16_64 0
		.amdhsa_float_denorm_mode_32 3
		.amdhsa_float_denorm_mode_16_64 3
		.amdhsa_dx10_clamp 1
		.amdhsa_ieee_mode 1
		.amdhsa_fp16_overflow 0
		.amdhsa_workgroup_processor_mode 1
		.amdhsa_memory_ordered 1
		.amdhsa_forward_progress 0
		.amdhsa_shared_vgpr_count 0
		.amdhsa_exception_fp_ieee_invalid_op 0
		.amdhsa_exception_fp_denorm_src 0
		.amdhsa_exception_fp_ieee_div_zero 0
		.amdhsa_exception_fp_ieee_overflow 0
		.amdhsa_exception_fp_ieee_underflow 0
		.amdhsa_exception_fp_ieee_inexact 0
		.amdhsa_exception_int_div_zero 0
	.end_amdhsa_kernel
	.section	.text._ZL33flash_attn_stream_k_fixup_generalILi128ELi8ELi4EEvPfPK15HIP_vector_typeIfLj2EEiiiiS1_IjLj3EES5_S5_S5_,"axG",@progbits,_ZL33flash_attn_stream_k_fixup_generalILi128ELi8ELi4EEvPfPK15HIP_vector_typeIfLj2EEiiiiS1_IjLj3EES5_S5_S5_,comdat
.Lfunc_end27:
	.size	_ZL33flash_attn_stream_k_fixup_generalILi128ELi8ELi4EEvPfPK15HIP_vector_typeIfLj2EEiiiiS1_IjLj3EES5_S5_S5_, .Lfunc_end27-_ZL33flash_attn_stream_k_fixup_generalILi128ELi8ELi4EEvPfPK15HIP_vector_typeIfLj2EEiiiiS1_IjLj3EES5_S5_S5_
                                        ; -- End function
	.section	.AMDGPU.csdata,"",@progbits
; Kernel info:
; codeLenInByte = 3224
; NumSgprs: 34
; NumVgprs: 19
; ScratchSize: 0
; MemoryBound: 0
; FloatMode: 240
; IeeeMode: 1
; LDSByteSize: 0 bytes/workgroup (compile time only)
; SGPRBlocks: 4
; VGPRBlocks: 2
; NumSGPRsForWavesPerEU: 34
; NumVGPRsForWavesPerEU: 19
; Occupancy: 16
; WaveLimiterHint : 0
; COMPUTE_PGM_RSRC2:SCRATCH_EN: 0
; COMPUTE_PGM_RSRC2:USER_SGPR: 13
; COMPUTE_PGM_RSRC2:TRAP_HANDLER: 0
; COMPUTE_PGM_RSRC2:TGID_X_EN: 1
; COMPUTE_PGM_RSRC2:TGID_Y_EN: 1
; COMPUTE_PGM_RSRC2:TGID_Z_EN: 1
; COMPUTE_PGM_RSRC2:TIDIG_COMP_CNT: 0
	.section	.text._ZL26flash_attn_combine_resultsILi128EEvPKfPK15HIP_vector_typeIfLj2EEPfi,"axG",@progbits,_ZL26flash_attn_combine_resultsILi128EEvPKfPK15HIP_vector_typeIfLj2EEPfi,comdat
	.globl	_ZL26flash_attn_combine_resultsILi128EEvPKfPK15HIP_vector_typeIfLj2EEPfi ; -- Begin function _ZL26flash_attn_combine_resultsILi128EEvPKfPK15HIP_vector_typeIfLj2EEPfi
	.p2align	8
	.type	_ZL26flash_attn_combine_resultsILi128EEvPKfPK15HIP_vector_typeIfLj2EEPfi,@function
_ZL26flash_attn_combine_resultsILi128EEvPKfPK15HIP_vector_typeIfLj2EEPfi: ; @_ZL26flash_attn_combine_resultsILi128EEvPKfPK15HIP_vector_typeIfLj2EEPfi
; %bb.0:
	s_clause 0x3
	s_load_b64 s[2:3], s[0:1], 0x20
	s_load_b32 s11, s[0:1], 0x18
	s_load_b128 s[4:7], s[0:1], 0x0
	s_load_b64 s[8:9], s[0:1], 0x10
	v_lshlrev_b32_e32 v5, 2, v0
	s_mov_b32 s12, exec_lo
	s_waitcnt lgkmcnt(0)
	s_mul_i32 s0, s2, s15
	s_lshl_b32 s1, s11, 1
	s_add_i32 s0, s0, s13
	s_delay_alu instid0(SALU_CYCLE_1) | instskip(NEXT) | instid1(SALU_CYCLE_1)
	s_mul_i32 s10, s0, s3
	s_add_i32 s10, s10, s14
	s_delay_alu instid0(SALU_CYCLE_1)
	s_mul_i32 s2, s10, s11
	v_cmpx_gt_i32_e64 s1, v0
	s_cbranch_execz .LBB28_3
; %bb.1:
	s_ashr_i32 s3, s2, 31
	v_dual_mov_b32 v4, v0 :: v_dual_add_nc_u32 v3, 0, v5
	s_lshl_b64 s[14:15], s[2:3], 3
	s_delay_alu instid0(SALU_CYCLE_1) | instskip(SKIP_2) | instid1(VALU_DEP_1)
	s_add_u32 s0, s6, s14
	s_addc_u32 s3, s7, s15
	v_add_co_u32 v1, s0, s0, v5
	v_add_co_ci_u32_e64 v2, null, s3, 0, s0
	s_mov_b32 s3, 0
	.p2align	6
.LBB28_2:                               ; =>This Inner Loop Header: Depth=1
	global_load_b32 v6, v[1:2], off
	v_add_nc_u32_e32 v4, 0x80, v4
	v_add_co_u32 v1, vcc_lo, 0x200, v1
	v_add_co_ci_u32_e32 v2, vcc_lo, 0, v2, vcc_lo
	s_delay_alu instid0(VALU_DEP_3) | instskip(NEXT) | instid1(VALU_DEP_1)
	v_cmp_le_i32_e64 s0, s1, v4
	s_or_b32 s3, s0, s3
	s_waitcnt vmcnt(0)
	ds_store_b32 v3, v6
	v_add_nc_u32_e32 v3, 0x200, v3
	s_and_not1_b32 exec_lo, exec_lo, s3
	s_cbranch_execnz .LBB28_2
.LBB28_3:
	s_or_b32 exec_lo, exec_lo, s12
	v_mov_b32_e32 v1, 0
	s_waitcnt lgkmcnt(0)
	s_barrier
	buffer_gl0_inv
	s_cmp_lt_i32 s11, 2
	ds_load_b32 v6, v1
	s_cbranch_scc1 .LBB28_11
; %bb.4:
	s_add_i32 s1, s11, -2
	s_add_i32 s0, s11, -1
	s_cmp_lt_u32 s1, 7
	s_cbranch_scc1 .LBB28_8
; %bb.5:
	s_mov_b32 s3, 0
	s_add_i32 s1, 0, 8
	s_and_b32 s6, s0, -8
	.p2align	6
.LBB28_6:                               ; =>This Inner Loop Header: Depth=1
	v_mov_b32_e32 v9, s1
	s_mov_b32 s7, s3
	s_add_i32 s3, s3, 8
	s_add_i32 s1, s1, 64
	s_cmp_eq_u32 s6, s3
	ds_load_2addr_b32 v[1:2], v9 offset1:2
	ds_load_2addr_b32 v[3:4], v9 offset0:4 offset1:6
	ds_load_2addr_b32 v[7:8], v9 offset0:8 offset1:10
	;; [unrolled: 1-line block ×3, first 2 shown]
	s_waitcnt lgkmcnt(3)
	v_max3_f32 v1, v6, v1, v2
	s_waitcnt lgkmcnt(2)
	s_delay_alu instid0(VALU_DEP_1) | instskip(SKIP_1) | instid1(VALU_DEP_1)
	v_max3_f32 v1, v1, v3, v4
	s_waitcnt lgkmcnt(1)
	v_max3_f32 v1, v1, v7, v8
	s_waitcnt lgkmcnt(0)
	s_delay_alu instid0(VALU_DEP_1)
	v_max3_f32 v6, v1, v9, v10
	s_cbranch_scc0 .LBB28_6
; %bb.7:
	s_add_i32 s1, s7, 9
	s_and_b32 s0, s0, 7
	s_delay_alu instid0(SALU_CYCLE_1)
	s_cmp_eq_u32 s0, 0
	s_cbranch_scc0 .LBB28_9
	s_branch .LBB28_11
.LBB28_8:
	s_mov_b32 s1, 1
	s_and_b32 s0, s0, 7
	s_delay_alu instid0(SALU_CYCLE_1)
	s_cmp_eq_u32 s0, 0
	s_cbranch_scc1 .LBB28_11
.LBB28_9:
	s_lshl_b32 s1, s1, 3
	s_delay_alu instid0(SALU_CYCLE_1)
	s_add_i32 s1, s1, 0
.LBB28_10:                              ; =>This Inner Loop Header: Depth=1
	s_waitcnt lgkmcnt(0)
	s_delay_alu instid0(VALU_DEP_1)
	v_dual_mov_b32 v1, s1 :: v_dual_max_f32 v2, v6, v6
	s_add_i32 s0, s0, -1
	s_add_i32 s1, s1, 8
	s_cmp_lg_u32 s0, 0
	ds_load_b32 v1, v1
	s_waitcnt lgkmcnt(0)
	v_max_f32_e32 v1, v1, v1
	s_delay_alu instid0(VALU_DEP_1)
	v_max_f32_e32 v6, v2, v1
	s_cbranch_scc1 .LBB28_10
.LBB28_11:
	s_cmp_lt_i32 s11, 1
	s_cbranch_scc1 .LBB28_16
; %bb.12:
	s_lshl_b32 s0, s2, 7
	v_mov_b32_e32 v7, 0
	s_ashr_i32 s1, s0, 31
	s_mov_b32 s13, 0
	s_lshl_b64 s[0:1], s[0:1], 2
	s_delay_alu instid0(SALU_CYCLE_1)
	s_add_u32 s6, s4, s0
	s_addc_u32 s7, s5, s1
	s_cmp_lt_u32 s11, 8
	s_cbranch_scc1 .LBB28_17
; %bb.13:
	v_or_b32_e32 v1, 0x380, v0
	v_dual_mov_b32 v4, 0 :: v_dual_mov_b32 v7, 0
	v_mov_b32_e32 v8, 0
	s_and_b32 s12, s11, 0x7ffffff8
	s_mov_b32 s14, 0
.LBB28_14:                              ; =>This Inner Loop Header: Depth=1
	s_delay_alu instid0(VALU_DEP_2) | instskip(SKIP_3) | instid1(VALU_DEP_2)
	v_dual_mov_b32 v2, v4 :: v_dual_add_nc_u32 v3, 0xfffffc80, v1
	v_mov_b32_e32 v21, s13
	s_add_i32 s14, s14, 8
	s_add_i32 s13, s13, 64
	v_lshlrev_b64 v[9:10], 2, v[3:4]
	v_add_nc_u32_e32 v3, 0xfffffd00, v1
	v_lshlrev_b64 v[11:12], 2, v[1:2]
	s_cmp_eq_u32 s12, s14
	s_delay_alu instid0(VALU_DEP_2) | instskip(NEXT) | instid1(VALU_DEP_4)
	v_lshlrev_b64 v[13:14], 2, v[3:4]
	v_add_co_u32 v9, vcc_lo, s6, v9
	v_add_co_ci_u32_e32 v10, vcc_lo, s7, v10, vcc_lo
	v_add_nc_u32_e32 v3, 0xfffffd80, v1
	s_delay_alu instid0(VALU_DEP_4)
	v_add_co_u32 v13, vcc_lo, s6, v13
	global_load_b32 v25, v[9:10], off
	v_add_co_ci_u32_e32 v14, vcc_lo, s7, v14, vcc_lo
	v_lshlrev_b64 v[15:16], 2, v[3:4]
	v_add_nc_u32_e32 v3, 0xfffffe00, v1
	global_load_b32 v26, v[13:14], off
	v_add_co_u32 v13, vcc_lo, s6, v15
	v_add_co_ci_u32_e32 v14, vcc_lo, s7, v16, vcc_lo
	v_lshlrev_b64 v[9:10], 2, v[3:4]
	v_add_nc_u32_e32 v3, 0xfffffe80, v1
	global_load_b32 v27, v[13:14], off
	v_add_co_u32 v9, vcc_lo, s6, v9
	v_lshlrev_b64 v[15:16], 2, v[3:4]
	v_add_nc_u32_e32 v3, 0xffffff00, v1
	v_add_co_ci_u32_e32 v10, vcc_lo, s7, v10, vcc_lo
	global_load_b32 v28, v[9:10], off
	v_lshlrev_b64 v[13:14], 2, v[3:4]
	v_add_nc_u32_e32 v3, 0xffffff80, v1
	v_add_co_u32 v9, vcc_lo, s6, v15
	v_add_co_ci_u32_e32 v10, vcc_lo, s7, v16, vcc_lo
	s_delay_alu instid0(VALU_DEP_4) | instskip(NEXT) | instid1(VALU_DEP_4)
	v_add_co_u32 v13, vcc_lo, s6, v13
	v_lshlrev_b64 v[2:3], 2, v[3:4]
	v_add_co_ci_u32_e32 v14, vcc_lo, s7, v14, vcc_lo
	s_clause 0x1
	global_load_b32 v29, v[9:10], off
	global_load_b32 v30, v[13:14], off
	v_add_co_u32 v2, vcc_lo, s6, v2
	v_add_co_ci_u32_e32 v3, vcc_lo, s7, v3, vcc_lo
	v_add_co_u32 v9, vcc_lo, s6, v11
	v_add_co_ci_u32_e32 v10, vcc_lo, s7, v12, vcc_lo
	s_clause 0x1
	global_load_b32 v2, v[2:3], off
	global_load_b32 v3, v[9:10], off
	ds_load_2addr_b64 v[9:12], v21 offset1:1
	ds_load_2addr_b64 v[13:16], v21 offset0:2 offset1:3
	ds_load_2addr_b64 v[17:20], v21 offset0:4 offset1:5
	;; [unrolled: 1-line block ×3, first 2 shown]
	v_add_nc_u32_e32 v1, 0x400, v1
	s_waitcnt lgkmcnt(1)
	v_sub_f32_e32 v19, v19, v6
	v_sub_f32_e32 v11, v11, v6
	s_waitcnt lgkmcnt(0)
	v_sub_f32_e32 v23, v23, v6
	s_delay_alu instid0(VALU_DEP_3) | instskip(NEXT) | instid1(VALU_DEP_3)
	v_dual_sub_f32 v13, v13, v6 :: v_dual_mul_f32 v36, 0x3fb8aa3b, v19
	v_mul_f32_e32 v32, 0x3fb8aa3b, v11
	s_delay_alu instid0(VALU_DEP_2) | instskip(SKIP_1) | instid1(VALU_DEP_4)
	v_dual_mul_f32 v38, 0x3fb8aa3b, v23 :: v_dual_mul_f32 v33, 0x3fb8aa3b, v13
	v_cmp_ngt_f32_e32 vcc_lo, 0xc2ce8ed0, v13
	v_fma_f32 v49, 0x3fb8aa3b, v19, -v36
	s_delay_alu instid0(VALU_DEP_4) | instskip(SKIP_4) | instid1(VALU_DEP_4)
	v_fma_f32 v41, 0x3fb8aa3b, v11, -v32
	v_rndne_f32_e32 v42, v32
	v_fma_f32 v43, 0x3fb8aa3b, v13, -v33
	v_rndne_f32_e32 v44, v33
	v_rndne_f32_e32 v50, v36
	v_dual_fmac_f32 v41, 0x32a5705f, v11 :: v_dual_sub_f32 v32, v32, v42
	v_sub_f32_e32 v15, v15, v6
	v_fmac_f32_e32 v43, 0x32a5705f, v13
	v_sub_f32_e32 v33, v33, v44
	v_cvt_i32_f32_e32 v42, v42
	v_dual_add_f32 v32, v32, v41 :: v_dual_sub_f32 v9, v9, v6
	v_mul_f32_e32 v34, 0x3fb8aa3b, v15
	s_delay_alu instid0(VALU_DEP_4) | instskip(SKIP_1) | instid1(VALU_DEP_4)
	v_add_f32_e32 v33, v33, v43
	v_cvt_i32_f32_e32 v44, v44
	v_exp_f32_e32 v32, v32
	v_mul_f32_e32 v31, 0x3fb8aa3b, v9
	v_fma_f32 v45, 0x3fb8aa3b, v15, -v34
	v_rndne_f32_e32 v46, v34
	v_exp_f32_e32 v33, v33
	v_cmp_ngt_f32_e64 s5, 0xc2ce8ed0, v9
	v_fma_f32 v39, 0x3fb8aa3b, v9, -v31
	v_rndne_f32_e32 v40, v31
	v_dual_fmac_f32 v45, 0x32a5705f, v15 :: v_dual_sub_f32 v34, v34, v46
	v_sub_f32_e32 v17, v17, v6
	s_delay_alu instid0(VALU_DEP_4) | instskip(NEXT) | instid1(VALU_DEP_4)
	v_fmac_f32_e32 v39, 0x32a5705f, v9
	v_sub_f32_e32 v31, v31, v40
	v_cvt_i32_f32_e32 v40, v40
	v_add_f32_e32 v34, v34, v45
	v_ldexp_f32 v32, v32, v42
	v_ldexp_f32 v33, v33, v44
	v_add_f32_e32 v31, v31, v39
	v_cvt_i32_f32_e32 v46, v46
	v_exp_f32_e32 v34, v34
	v_cmp_ngt_f32_e64 s0, 0xc2ce8ed0, v15
	v_fmac_f32_e32 v49, 0x32a5705f, v19
	v_exp_f32_e32 v31, v31
	v_sub_f32_e32 v36, v36, v50
	v_cvt_i32_f32_e32 v50, v50
	v_cmp_ngt_f32_e64 s1, 0xc2ce8ed0, v17
	v_rndne_f32_e32 v54, v38
	s_delay_alu instid0(VALU_DEP_4) | instskip(NEXT) | instid1(TRANS32_DEP_2)
	v_add_f32_e32 v36, v36, v49
	v_ldexp_f32 v34, v34, v46
	v_cmp_ngt_f32_e64 s2, 0xc2ce8ed0, v19
	s_delay_alu instid0(TRANS32_DEP_1) | instskip(NEXT) | instid1(VALU_DEP_4)
	v_ldexp_f32 v31, v31, v40
	v_exp_f32_e32 v36, v36
	s_delay_alu instid0(VALU_DEP_1) | instskip(SKIP_1) | instid1(VALU_DEP_1)
	v_cndmask_b32_e64 v31, 0, v31, s5
	v_cmp_ngt_f32_e64 s5, 0xc2ce8ed0, v11
	v_cndmask_b32_e64 v32, 0, v32, s5
	v_cmp_nlt_f32_e64 s5, 0x42b17218, v9
	s_waitcnt_depctr 0xfff
	v_ldexp_f32 v36, v36, v50
	v_cndmask_b32_e64 v9, 0x7f800000, v31, s5
	v_cndmask_b32_e32 v31, 0, v33, vcc_lo
	v_cmp_nlt_f32_e32 vcc_lo, 0x42b17218, v11
	s_delay_alu instid0(VALU_DEP_3) | instskip(SKIP_1) | instid1(VALU_DEP_2)
	v_dual_fmac_f32 v8, v9, v10 :: v_dual_cndmask_b32 v11, 0x7f800000, v32
	v_cmp_nlt_f32_e32 vcc_lo, 0x42b17218, v13
	v_fmac_f32_e32 v8, v11, v12
	v_cndmask_b32_e32 v10, 0x7f800000, v31, vcc_lo
	v_cmp_nlt_f32_e32 vcc_lo, 0x42b17218, v15
	v_fma_f32 v53, 0x3fb8aa3b, v23, -v38
	v_sub_f32_e32 v38, v38, v54
	v_cvt_i32_f32_e32 v54, v54
	v_fmac_f32_e32 v8, v10, v14
	v_cmp_ngt_f32_e64 s4, 0xc2ce8ed0, v23
	v_fmac_f32_e32 v53, 0x32a5705f, v23
	s_delay_alu instid0(VALU_DEP_1) | instskip(NEXT) | instid1(VALU_DEP_1)
	v_dual_sub_f32 v21, v21, v6 :: v_dual_add_f32 v38, v38, v53
	v_cmp_ngt_f32_e64 s3, 0xc2ce8ed0, v21
	s_delay_alu instid0(VALU_DEP_2)
	v_exp_f32_e32 v38, v38
	s_waitcnt_depctr 0xfff
	v_ldexp_f32 v38, v38, v54
	s_waitcnt vmcnt(7)
	v_fmac_f32_e32 v7, v25, v9
	v_cndmask_b32_e64 v9, 0, v34, s0
	s_delay_alu instid0(VALU_DEP_1) | instskip(SKIP_1) | instid1(VALU_DEP_3)
	v_cndmask_b32_e32 v9, 0x7f800000, v9, vcc_lo
	s_waitcnt vmcnt(6)
	v_fmac_f32_e32 v7, v26, v11
	v_cmp_nlt_f32_e32 vcc_lo, 0x42b17218, v17
	s_delay_alu instid0(VALU_DEP_3) | instskip(SKIP_1) | instid1(VALU_DEP_3)
	v_dual_fmac_f32 v8, v9, v16 :: v_dual_mul_f32 v35, 0x3fb8aa3b, v17
	s_waitcnt vmcnt(5)
	v_fmac_f32_e32 v7, v27, v10
	s_delay_alu instid0(VALU_DEP_2) | instskip(SKIP_2) | instid1(VALU_DEP_3)
	v_fma_f32 v47, 0x3fb8aa3b, v17, -v35
	v_rndne_f32_e32 v48, v35
	v_cndmask_b32_e64 v10, 0, v36, s2
	v_fmac_f32_e32 v47, 0x32a5705f, v17
	s_delay_alu instid0(VALU_DEP_3) | instskip(SKIP_1) | instid1(VALU_DEP_2)
	v_sub_f32_e32 v35, v35, v48
	v_cvt_i32_f32_e32 v48, v48
	v_add_f32_e32 v35, v35, v47
	s_waitcnt vmcnt(4)
	v_fmac_f32_e32 v7, v28, v9
	s_delay_alu instid0(VALU_DEP_2) | instskip(SKIP_2) | instid1(VALU_DEP_1)
	v_exp_f32_e32 v35, v35
	s_waitcnt_depctr 0xfff
	v_ldexp_f32 v35, v35, v48
	v_cndmask_b32_e64 v11, 0, v35, s1
	s_delay_alu instid0(VALU_DEP_1) | instskip(SKIP_1) | instid1(VALU_DEP_2)
	v_cndmask_b32_e32 v11, 0x7f800000, v11, vcc_lo
	v_cmp_nlt_f32_e32 vcc_lo, 0x42b17218, v19
	v_fmac_f32_e32 v8, v11, v18
	v_cndmask_b32_e32 v10, 0x7f800000, v10, vcc_lo
	v_mul_f32_e32 v37, 0x3fb8aa3b, v21
	s_waitcnt vmcnt(3)
	v_fmac_f32_e32 v7, v29, v11
	v_cmp_nlt_f32_e32 vcc_lo, 0x42b17218, v21
	v_cndmask_b32_e64 v11, 0, v38, s4
	v_fmac_f32_e32 v8, v10, v20
	v_fma_f32 v51, 0x3fb8aa3b, v21, -v37
	v_rndne_f32_e32 v52, v37
	s_waitcnt vmcnt(2)
	v_fmac_f32_e32 v7, v30, v10
	s_delay_alu instid0(VALU_DEP_3) | instskip(NEXT) | instid1(VALU_DEP_3)
	v_fmac_f32_e32 v51, 0x32a5705f, v21
	v_sub_f32_e32 v37, v37, v52
	v_cvt_i32_f32_e32 v52, v52
	s_delay_alu instid0(VALU_DEP_2) | instskip(NEXT) | instid1(VALU_DEP_1)
	v_add_f32_e32 v37, v37, v51
	v_exp_f32_e32 v37, v37
	s_waitcnt_depctr 0xfff
	v_ldexp_f32 v37, v37, v52
	s_delay_alu instid0(VALU_DEP_1) | instskip(NEXT) | instid1(VALU_DEP_1)
	v_cndmask_b32_e64 v9, 0, v37, s3
	v_cndmask_b32_e32 v9, 0x7f800000, v9, vcc_lo
	v_cmp_nlt_f32_e32 vcc_lo, 0x42b17218, v23
	s_delay_alu instid0(VALU_DEP_2) | instskip(SKIP_3) | instid1(VALU_DEP_1)
	v_fmac_f32_e32 v8, v9, v22
	s_waitcnt vmcnt(1)
	v_dual_cndmask_b32 v10, 0x7f800000, v11 :: v_dual_fmac_f32 v7, v2, v9
	s_waitcnt vmcnt(0)
	v_dual_fmac_f32 v8, v10, v24 :: v_dual_fmac_f32 v7, v3, v10
	s_cbranch_scc0 .LBB28_14
; %bb.15:
	s_and_b32 s0, s11, 7
	s_delay_alu instid0(SALU_CYCLE_1)
	s_cmp_eq_u32 s0, 0
	s_cbranch_scc0 .LBB28_18
	s_branch .LBB28_20
.LBB28_16:
	v_mov_b32_e32 v0, 0x7fc00000
	s_branch .LBB28_21
.LBB28_17:
	v_mov_b32_e32 v8, 0
	s_mov_b32 s12, 0
	s_and_b32 s0, s11, 7
	s_delay_alu instid0(SALU_CYCLE_1)
	s_cmp_eq_u32 s0, 0
	s_cbranch_scc1 .LBB28_20
.LBB28_18:
	v_lshl_or_b32 v0, s12, 7, v0
	v_mov_b32_e32 v1, 0
	s_lshl_b32 s1, s12, 3
	s_delay_alu instid0(SALU_CYCLE_1)
	s_add_i32 s1, s1, 0
	s_set_inst_prefetch_distance 0x1
	.p2align	6
.LBB28_19:                              ; =>This Inner Loop Header: Depth=1
	s_delay_alu instid0(VALU_DEP_1) | instskip(SKIP_2) | instid1(VALU_DEP_2)
	v_lshlrev_b64 v[2:3], 2, v[0:1]
	s_add_i32 s0, s0, -1
	v_add_nc_u32_e32 v0, 0x80, v0
	v_add_co_u32 v2, vcc_lo, s6, v2
	s_delay_alu instid0(VALU_DEP_3)
	v_add_co_ci_u32_e32 v3, vcc_lo, s7, v3, vcc_lo
	global_load_b32 v4, v[2:3], off
	v_mov_b32_e32 v2, s1
	s_add_i32 s1, s1, 8
	s_cmp_lg_u32 s0, 0
	ds_load_b64 v[2:3], v2
	s_waitcnt lgkmcnt(0)
	v_sub_f32_e32 v2, v2, v6
	s_delay_alu instid0(VALU_DEP_1) | instskip(SKIP_1) | instid1(VALU_DEP_2)
	v_mul_f32_e32 v9, 0x3fb8aa3b, v2
	v_cmp_ngt_f32_e32 vcc_lo, 0xc2ce8ed0, v2
	v_fma_f32 v10, 0x3fb8aa3b, v2, -v9
	v_rndne_f32_e32 v11, v9
	s_delay_alu instid0(VALU_DEP_1) | instskip(NEXT) | instid1(VALU_DEP_1)
	v_dual_fmac_f32 v10, 0x32a5705f, v2 :: v_dual_sub_f32 v9, v9, v11
	v_add_f32_e32 v9, v9, v10
	v_cvt_i32_f32_e32 v10, v11
	s_delay_alu instid0(VALU_DEP_2) | instskip(SKIP_2) | instid1(VALU_DEP_1)
	v_exp_f32_e32 v9, v9
	s_waitcnt_depctr 0xfff
	v_ldexp_f32 v9, v9, v10
	v_cndmask_b32_e32 v9, 0, v9, vcc_lo
	v_cmp_nlt_f32_e32 vcc_lo, 0x42b17218, v2
	s_delay_alu instid0(VALU_DEP_2) | instskip(SKIP_1) | instid1(VALU_DEP_1)
	v_cndmask_b32_e32 v2, 0x7f800000, v9, vcc_lo
	s_waitcnt vmcnt(0)
	v_dual_fmac_f32 v8, v2, v3 :: v_dual_fmac_f32 v7, v4, v2
	s_cbranch_scc1 .LBB28_19
.LBB28_20:
	s_set_inst_prefetch_distance 0x2
	s_delay_alu instid0(VALU_DEP_1) | instskip(NEXT) | instid1(VALU_DEP_1)
	v_div_scale_f32 v0, null, v8, v8, v7
	v_rcp_f32_e32 v1, v0
	s_waitcnt_depctr 0xfff
	v_fma_f32 v2, -v0, v1, 1.0
	s_delay_alu instid0(VALU_DEP_1) | instskip(SKIP_1) | instid1(VALU_DEP_1)
	v_fmac_f32_e32 v1, v2, v1
	v_div_scale_f32 v2, vcc_lo, v7, v8, v7
	v_mul_f32_e32 v3, v2, v1
	s_delay_alu instid0(VALU_DEP_1) | instskip(NEXT) | instid1(VALU_DEP_1)
	v_fma_f32 v4, -v0, v3, v2
	v_fmac_f32_e32 v3, v4, v1
	s_delay_alu instid0(VALU_DEP_1) | instskip(NEXT) | instid1(VALU_DEP_1)
	v_fma_f32 v0, -v0, v3, v2
	v_div_fmas_f32 v0, v0, v1, v3
	s_delay_alu instid0(VALU_DEP_1)
	v_div_fixup_f32 v0, v0, v8, v7
.LBB28_21:
	s_lshl_b32 s0, s10, 7
	s_delay_alu instid0(SALU_CYCLE_1) | instskip(NEXT) | instid1(SALU_CYCLE_1)
	s_ashr_i32 s1, s0, 31
	s_lshl_b64 s[0:1], s[0:1], 2
	s_delay_alu instid0(SALU_CYCLE_1)
	s_add_u32 s0, s8, s0
	s_addc_u32 s1, s9, s1
	global_store_b32 v5, v0, s[0:1]
	s_nop 0
	s_sendmsg sendmsg(MSG_DEALLOC_VGPRS)
	s_endpgm
	.section	.rodata,"a",@progbits
	.p2align	6, 0x0
	.amdhsa_kernel _ZL26flash_attn_combine_resultsILi128EEvPKfPK15HIP_vector_typeIfLj2EEPfi
		.amdhsa_group_segment_fixed_size 0
		.amdhsa_private_segment_fixed_size 0
		.amdhsa_kernarg_size 288
		.amdhsa_user_sgpr_count 13
		.amdhsa_user_sgpr_dispatch_ptr 0
		.amdhsa_user_sgpr_queue_ptr 0
		.amdhsa_user_sgpr_kernarg_segment_ptr 1
		.amdhsa_user_sgpr_dispatch_id 0
		.amdhsa_user_sgpr_private_segment_size 0
		.amdhsa_wavefront_size32 1
		.amdhsa_uses_dynamic_stack 0
		.amdhsa_enable_private_segment 0
		.amdhsa_system_sgpr_workgroup_id_x 1
		.amdhsa_system_sgpr_workgroup_id_y 1
		.amdhsa_system_sgpr_workgroup_id_z 1
		.amdhsa_system_sgpr_workgroup_info 0
		.amdhsa_system_vgpr_workitem_id 0
		.amdhsa_next_free_vgpr 55
		.amdhsa_next_free_sgpr 16
		.amdhsa_reserve_vcc 1
		.amdhsa_float_round_mode_32 0
		.amdhsa_float_round_mode_16_64 0
		.amdhsa_float_denorm_mode_32 3
		.amdhsa_float_denorm_mode_16_64 3
		.amdhsa_dx10_clamp 1
		.amdhsa_ieee_mode 1
		.amdhsa_fp16_overflow 0
		.amdhsa_workgroup_processor_mode 1
		.amdhsa_memory_ordered 1
		.amdhsa_forward_progress 0
		.amdhsa_shared_vgpr_count 0
		.amdhsa_exception_fp_ieee_invalid_op 0
		.amdhsa_exception_fp_denorm_src 0
		.amdhsa_exception_fp_ieee_div_zero 0
		.amdhsa_exception_fp_ieee_overflow 0
		.amdhsa_exception_fp_ieee_underflow 0
		.amdhsa_exception_fp_ieee_inexact 0
		.amdhsa_exception_int_div_zero 0
	.end_amdhsa_kernel
	.section	.text._ZL26flash_attn_combine_resultsILi128EEvPKfPK15HIP_vector_typeIfLj2EEPfi,"axG",@progbits,_ZL26flash_attn_combine_resultsILi128EEvPKfPK15HIP_vector_typeIfLj2EEPfi,comdat
.Lfunc_end28:
	.size	_ZL26flash_attn_combine_resultsILi128EEvPKfPK15HIP_vector_typeIfLj2EEPfi, .Lfunc_end28-_ZL26flash_attn_combine_resultsILi128EEvPKfPK15HIP_vector_typeIfLj2EEPfi
                                        ; -- End function
	.section	.AMDGPU.csdata,"",@progbits
; Kernel info:
; codeLenInByte = 2352
; NumSgprs: 18
; NumVgprs: 55
; ScratchSize: 0
; MemoryBound: 0
; FloatMode: 240
; IeeeMode: 1
; LDSByteSize: 0 bytes/workgroup (compile time only)
; SGPRBlocks: 2
; VGPRBlocks: 6
; NumSGPRsForWavesPerEU: 18
; NumVGPRsForWavesPerEU: 55
; Occupancy: 16
; WaveLimiterHint : 0
; COMPUTE_PGM_RSRC2:SCRATCH_EN: 0
; COMPUTE_PGM_RSRC2:USER_SGPR: 13
; COMPUTE_PGM_RSRC2:TRAP_HANDLER: 0
; COMPUTE_PGM_RSRC2:TGID_X_EN: 1
; COMPUTE_PGM_RSRC2:TGID_Y_EN: 1
; COMPUTE_PGM_RSRC2:TGID_Z_EN: 1
; COMPUTE_PGM_RSRC2:TIDIG_COMP_CNT: 0
	.section	.text._ZL18flash_attn_ext_f16ILi256ELi256ELi8ELi4ELb0ELb0EEvPKcS1_S1_S1_S1_PKiPfP15HIP_vector_typeIfLj2EEffffjfiS5_IjLj3EEiiiiiiiiiiiliiliiiiil,"axG",@progbits,_ZL18flash_attn_ext_f16ILi256ELi256ELi8ELi4ELb0ELb0EEvPKcS1_S1_S1_S1_PKiPfP15HIP_vector_typeIfLj2EEffffjfiS5_IjLj3EEiiiiiiiiiiiliiliiiiil,comdat
	.globl	_ZL18flash_attn_ext_f16ILi256ELi256ELi8ELi4ELb0ELb0EEvPKcS1_S1_S1_S1_PKiPfP15HIP_vector_typeIfLj2EEffffjfiS5_IjLj3EEiiiiiiiiiiiliiliiiiil ; -- Begin function _ZL18flash_attn_ext_f16ILi256ELi256ELi8ELi4ELb0ELb0EEvPKcS1_S1_S1_S1_PKiPfP15HIP_vector_typeIfLj2EEffffjfiS5_IjLj3EEiiiiiiiiiiiliiliiiiil
	.p2align	8
	.type	_ZL18flash_attn_ext_f16ILi256ELi256ELi8ELi4ELb0ELb0EEvPKcS1_S1_S1_S1_PKiPfP15HIP_vector_typeIfLj2EEffffjfiS5_IjLj3EEiiiiiiiiiiiliiliiiiil,@function
_ZL18flash_attn_ext_f16ILi256ELi256ELi8ELi4ELb0ELb0EEvPKcS1_S1_S1_S1_PKiPfP15HIP_vector_typeIfLj2EEffffjfiS5_IjLj3EEiiiiiiiiiiiliiliiiiil: ; @_ZL18flash_attn_ext_f16ILi256ELi256ELi8ELi4ELb0ELb0EEvPKcS1_S1_S1_S1_PKiPfP15HIP_vector_typeIfLj2EEffffjfiS5_IjLj3EEiiiiiiiiiiiliiliiiiil
; %bb.0:
	v_mov_b32_e32 v0, 0x6e3
	s_add_u32 s8, s0, 0xd0
	s_addc_u32 s9, s1, 0
	s_mov_b32 s32, 0
	s_getpc_b64 s[0:1]
	s_add_u32 s0, s0, _ZL14no_device_codePKciS0_iS0_@rel32@lo+4
	s_addc_u32 s1, s1, _ZL14no_device_codePKciS0_iS0_@rel32@hi+12
	s_delay_alu instid0(SALU_CYCLE_1)
	s_swappc_b64 s[30:31], s[0:1]
	.section	.rodata,"a",@progbits
	.p2align	6, 0x0
	.amdhsa_kernel _ZL18flash_attn_ext_f16ILi256ELi256ELi8ELi4ELb0ELb0EEvPKcS1_S1_S1_S1_PKiPfP15HIP_vector_typeIfLj2EEffffjfiS5_IjLj3EEiiiiiiiiiiiliiliiiiil
		.amdhsa_group_segment_fixed_size 0
		.amdhsa_private_segment_fixed_size 16
		.amdhsa_kernarg_size 464
		.amdhsa_user_sgpr_count 15
		.amdhsa_user_sgpr_dispatch_ptr 0
		.amdhsa_user_sgpr_queue_ptr 0
		.amdhsa_user_sgpr_kernarg_segment_ptr 1
		.amdhsa_user_sgpr_dispatch_id 0
		.amdhsa_user_sgpr_private_segment_size 0
		.amdhsa_wavefront_size32 1
		.amdhsa_uses_dynamic_stack 0
		.amdhsa_enable_private_segment 1
		.amdhsa_system_sgpr_workgroup_id_x 1
		.amdhsa_system_sgpr_workgroup_id_y 0
		.amdhsa_system_sgpr_workgroup_id_z 0
		.amdhsa_system_sgpr_workgroup_info 0
		.amdhsa_system_vgpr_workitem_id 0
		.amdhsa_next_free_vgpr 37
		.amdhsa_next_free_sgpr 34
		.amdhsa_reserve_vcc 1
		.amdhsa_float_round_mode_32 0
		.amdhsa_float_round_mode_16_64 0
		.amdhsa_float_denorm_mode_32 3
		.amdhsa_float_denorm_mode_16_64 3
		.amdhsa_dx10_clamp 1
		.amdhsa_ieee_mode 1
		.amdhsa_fp16_overflow 0
		.amdhsa_workgroup_processor_mode 1
		.amdhsa_memory_ordered 1
		.amdhsa_forward_progress 0
		.amdhsa_shared_vgpr_count 0
		.amdhsa_exception_fp_ieee_invalid_op 0
		.amdhsa_exception_fp_denorm_src 0
		.amdhsa_exception_fp_ieee_div_zero 0
		.amdhsa_exception_fp_ieee_overflow 0
		.amdhsa_exception_fp_ieee_underflow 0
		.amdhsa_exception_fp_ieee_inexact 0
		.amdhsa_exception_int_div_zero 0
	.end_amdhsa_kernel
	.section	.text._ZL18flash_attn_ext_f16ILi256ELi256ELi8ELi4ELb0ELb0EEvPKcS1_S1_S1_S1_PKiPfP15HIP_vector_typeIfLj2EEffffjfiS5_IjLj3EEiiiiiiiiiiiliiliiiiil,"axG",@progbits,_ZL18flash_attn_ext_f16ILi256ELi256ELi8ELi4ELb0ELb0EEvPKcS1_S1_S1_S1_PKiPfP15HIP_vector_typeIfLj2EEffffjfiS5_IjLj3EEiiiiiiiiiiiliiliiiiil,comdat
.Lfunc_end29:
	.size	_ZL18flash_attn_ext_f16ILi256ELi256ELi8ELi4ELb0ELb0EEvPKcS1_S1_S1_S1_PKiPfP15HIP_vector_typeIfLj2EEffffjfiS5_IjLj3EEiiiiiiiiiiiliiliiiiil, .Lfunc_end29-_ZL18flash_attn_ext_f16ILi256ELi256ELi8ELi4ELb0ELb0EEvPKcS1_S1_S1_S1_PKiPfP15HIP_vector_typeIfLj2EEffffjfiS5_IjLj3EEiiiiiiiiiiiliiliiiiil
                                        ; -- End function
	.section	.AMDGPU.csdata,"",@progbits
; Kernel info:
; codeLenInByte = 52
; NumSgprs: 36
; NumVgprs: 37
; ScratchSize: 16
; MemoryBound: 0
; FloatMode: 240
; IeeeMode: 1
; LDSByteSize: 0 bytes/workgroup (compile time only)
; SGPRBlocks: 4
; VGPRBlocks: 4
; NumSGPRsForWavesPerEU: 36
; NumVGPRsForWavesPerEU: 37
; Occupancy: 16
; WaveLimiterHint : 1
; COMPUTE_PGM_RSRC2:SCRATCH_EN: 1
; COMPUTE_PGM_RSRC2:USER_SGPR: 15
; COMPUTE_PGM_RSRC2:TRAP_HANDLER: 0
; COMPUTE_PGM_RSRC2:TGID_X_EN: 1
; COMPUTE_PGM_RSRC2:TGID_Y_EN: 0
; COMPUTE_PGM_RSRC2:TGID_Z_EN: 0
; COMPUTE_PGM_RSRC2:TIDIG_COMP_CNT: 0
	.section	.text._ZL18flash_attn_ext_f16ILi256ELi256ELi8ELi4ELb1ELb0EEvPKcS1_S1_S1_S1_PKiPfP15HIP_vector_typeIfLj2EEffffjfiS5_IjLj3EEiiiiiiiiiiiliiliiiiil,"axG",@progbits,_ZL18flash_attn_ext_f16ILi256ELi256ELi8ELi4ELb1ELb0EEvPKcS1_S1_S1_S1_PKiPfP15HIP_vector_typeIfLj2EEffffjfiS5_IjLj3EEiiiiiiiiiiiliiliiiiil,comdat
	.globl	_ZL18flash_attn_ext_f16ILi256ELi256ELi8ELi4ELb1ELb0EEvPKcS1_S1_S1_S1_PKiPfP15HIP_vector_typeIfLj2EEffffjfiS5_IjLj3EEiiiiiiiiiiiliiliiiiil ; -- Begin function _ZL18flash_attn_ext_f16ILi256ELi256ELi8ELi4ELb1ELb0EEvPKcS1_S1_S1_S1_PKiPfP15HIP_vector_typeIfLj2EEffffjfiS5_IjLj3EEiiiiiiiiiiiliiliiiiil
	.p2align	8
	.type	_ZL18flash_attn_ext_f16ILi256ELi256ELi8ELi4ELb1ELb0EEvPKcS1_S1_S1_S1_PKiPfP15HIP_vector_typeIfLj2EEffffjfiS5_IjLj3EEiiiiiiiiiiiliiliiiiil,@function
_ZL18flash_attn_ext_f16ILi256ELi256ELi8ELi4ELb1ELb0EEvPKcS1_S1_S1_S1_PKiPfP15HIP_vector_typeIfLj2EEffffjfiS5_IjLj3EEiiiiiiiiiiiliiliiiiil: ; @_ZL18flash_attn_ext_f16ILi256ELi256ELi8ELi4ELb1ELb0EEvPKcS1_S1_S1_S1_PKiPfP15HIP_vector_typeIfLj2EEffffjfiS5_IjLj3EEiiiiiiiiiiiliiliiiiil
; %bb.0:
	v_mov_b32_e32 v0, 0x6e3
	s_add_u32 s8, s0, 0xd0
	s_addc_u32 s9, s1, 0
	s_mov_b32 s32, 0
	s_getpc_b64 s[0:1]
	s_add_u32 s0, s0, _ZL14no_device_codePKciS0_iS0_@rel32@lo+4
	s_addc_u32 s1, s1, _ZL14no_device_codePKciS0_iS0_@rel32@hi+12
	s_delay_alu instid0(SALU_CYCLE_1)
	s_swappc_b64 s[30:31], s[0:1]
	.section	.rodata,"a",@progbits
	.p2align	6, 0x0
	.amdhsa_kernel _ZL18flash_attn_ext_f16ILi256ELi256ELi8ELi4ELb1ELb0EEvPKcS1_S1_S1_S1_PKiPfP15HIP_vector_typeIfLj2EEffffjfiS5_IjLj3EEiiiiiiiiiiiliiliiiiil
		.amdhsa_group_segment_fixed_size 0
		.amdhsa_private_segment_fixed_size 16
		.amdhsa_kernarg_size 464
		.amdhsa_user_sgpr_count 15
		.amdhsa_user_sgpr_dispatch_ptr 0
		.amdhsa_user_sgpr_queue_ptr 0
		.amdhsa_user_sgpr_kernarg_segment_ptr 1
		.amdhsa_user_sgpr_dispatch_id 0
		.amdhsa_user_sgpr_private_segment_size 0
		.amdhsa_wavefront_size32 1
		.amdhsa_uses_dynamic_stack 0
		.amdhsa_enable_private_segment 1
		.amdhsa_system_sgpr_workgroup_id_x 1
		.amdhsa_system_sgpr_workgroup_id_y 0
		.amdhsa_system_sgpr_workgroup_id_z 0
		.amdhsa_system_sgpr_workgroup_info 0
		.amdhsa_system_vgpr_workitem_id 0
		.amdhsa_next_free_vgpr 37
		.amdhsa_next_free_sgpr 34
		.amdhsa_reserve_vcc 1
		.amdhsa_float_round_mode_32 0
		.amdhsa_float_round_mode_16_64 0
		.amdhsa_float_denorm_mode_32 3
		.amdhsa_float_denorm_mode_16_64 3
		.amdhsa_dx10_clamp 1
		.amdhsa_ieee_mode 1
		.amdhsa_fp16_overflow 0
		.amdhsa_workgroup_processor_mode 1
		.amdhsa_memory_ordered 1
		.amdhsa_forward_progress 0
		.amdhsa_shared_vgpr_count 0
		.amdhsa_exception_fp_ieee_invalid_op 0
		.amdhsa_exception_fp_denorm_src 0
		.amdhsa_exception_fp_ieee_div_zero 0
		.amdhsa_exception_fp_ieee_overflow 0
		.amdhsa_exception_fp_ieee_underflow 0
		.amdhsa_exception_fp_ieee_inexact 0
		.amdhsa_exception_int_div_zero 0
	.end_amdhsa_kernel
	.section	.text._ZL18flash_attn_ext_f16ILi256ELi256ELi8ELi4ELb1ELb0EEvPKcS1_S1_S1_S1_PKiPfP15HIP_vector_typeIfLj2EEffffjfiS5_IjLj3EEiiiiiiiiiiiliiliiiiil,"axG",@progbits,_ZL18flash_attn_ext_f16ILi256ELi256ELi8ELi4ELb1ELb0EEvPKcS1_S1_S1_S1_PKiPfP15HIP_vector_typeIfLj2EEffffjfiS5_IjLj3EEiiiiiiiiiiiliiliiiiil,comdat
.Lfunc_end30:
	.size	_ZL18flash_attn_ext_f16ILi256ELi256ELi8ELi4ELb1ELb0EEvPKcS1_S1_S1_S1_PKiPfP15HIP_vector_typeIfLj2EEffffjfiS5_IjLj3EEiiiiiiiiiiiliiliiiiil, .Lfunc_end30-_ZL18flash_attn_ext_f16ILi256ELi256ELi8ELi4ELb1ELb0EEvPKcS1_S1_S1_S1_PKiPfP15HIP_vector_typeIfLj2EEffffjfiS5_IjLj3EEiiiiiiiiiiiliiliiiiil
                                        ; -- End function
	.section	.AMDGPU.csdata,"",@progbits
; Kernel info:
; codeLenInByte = 52
; NumSgprs: 36
; NumVgprs: 37
; ScratchSize: 16
; MemoryBound: 0
; FloatMode: 240
; IeeeMode: 1
; LDSByteSize: 0 bytes/workgroup (compile time only)
; SGPRBlocks: 4
; VGPRBlocks: 4
; NumSGPRsForWavesPerEU: 36
; NumVGPRsForWavesPerEU: 37
; Occupancy: 16
; WaveLimiterHint : 1
; COMPUTE_PGM_RSRC2:SCRATCH_EN: 1
; COMPUTE_PGM_RSRC2:USER_SGPR: 15
; COMPUTE_PGM_RSRC2:TRAP_HANDLER: 0
; COMPUTE_PGM_RSRC2:TGID_X_EN: 1
; COMPUTE_PGM_RSRC2:TGID_Y_EN: 0
; COMPUTE_PGM_RSRC2:TGID_Z_EN: 0
; COMPUTE_PGM_RSRC2:TIDIG_COMP_CNT: 0
	.section	.text._ZL33flash_attn_stream_k_fixup_uniformILi256ELi8ELi4EEvPfPK15HIP_vector_typeIfLj2EEiiiiiiS1_IjLj3EES5_S5_,"axG",@progbits,_ZL33flash_attn_stream_k_fixup_uniformILi256ELi8ELi4EEvPfPK15HIP_vector_typeIfLj2EEiiiiiiS1_IjLj3EES5_S5_,comdat
	.globl	_ZL33flash_attn_stream_k_fixup_uniformILi256ELi8ELi4EEvPfPK15HIP_vector_typeIfLj2EEiiiiiiS1_IjLj3EES5_S5_ ; -- Begin function _ZL33flash_attn_stream_k_fixup_uniformILi256ELi8ELi4EEvPfPK15HIP_vector_typeIfLj2EEiiiiiiS1_IjLj3EES5_S5_
	.p2align	8
	.type	_ZL33flash_attn_stream_k_fixup_uniformILi256ELi8ELi4EEvPfPK15HIP_vector_typeIfLj2EEiiiiiiS1_IjLj3EES5_S5_,@function
_ZL33flash_attn_stream_k_fixup_uniformILi256ELi8ELi4EEvPfPK15HIP_vector_typeIfLj2EEiiiiiiS1_IjLj3EES5_S5_: ; @_ZL33flash_attn_stream_k_fixup_uniformILi256ELi8ELi4EEvPfPK15HIP_vector_typeIfLj2EEiiiiiiS1_IjLj3EES5_S5_
; %bb.0:
	s_clause 0x1
	s_load_b256 s[4:11], s[0:1], 0x1c
	s_load_b128 s[16:19], s[0:1], 0x3c
	s_waitcnt lgkmcnt(0)
	s_mul_hi_u32 s2, s7, s13
	s_delay_alu instid0(SALU_CYCLE_1) | instskip(NEXT) | instid1(SALU_CYCLE_1)
	s_add_i32 s2, s13, s2
	s_lshr_b32 s2, s2, s8
	s_delay_alu instid0(SALU_CYCLE_1) | instskip(SKIP_2) | instid1(SALU_CYCLE_1)
	s_mul_i32 s3, s2, s9
	s_load_b64 s[8:9], s[0:1], 0x10
	s_sub_i32 s7, s13, s3
	s_mul_hi_u32 s3, s7, s10
	s_delay_alu instid0(SALU_CYCLE_1) | instskip(NEXT) | instid1(SALU_CYCLE_1)
	s_add_i32 s3, s7, s3
	s_lshr_b32 s3, s3, s11
	s_delay_alu instid0(SALU_CYCLE_1) | instskip(NEXT) | instid1(SALU_CYCLE_1)
	s_mul_i32 s10, s3, s16
	s_sub_i32 s7, s7, s10
	s_delay_alu instid0(SALU_CYCLE_1) | instskip(NEXT) | instid1(SALU_CYCLE_1)
	s_mul_hi_u32 s10, s7, s17
	s_add_i32 s10, s7, s10
	s_delay_alu instid0(SALU_CYCLE_1) | instskip(NEXT) | instid1(SALU_CYCLE_1)
	s_lshr_b32 s10, s10, s18
	s_mul_i32 s11, s10, s19
	s_lshl_b32 s10, s10, 2
	s_sub_i32 s7, s7, s11
	s_delay_alu instid0(SALU_CYCLE_1) | instskip(NEXT) | instid1(SALU_CYCLE_1)
	s_lshl_b32 s11, s7, 3
	s_add_i32 s11, s11, s14
	s_waitcnt lgkmcnt(0)
	s_cmp_lt_i32 s11, s8
	s_cselect_b32 s11, -1, 0
	s_add_i32 s12, s10, s15
	s_delay_alu instid0(SALU_CYCLE_1) | instskip(SKIP_1) | instid1(SALU_CYCLE_1)
	s_cmp_lt_i32 s12, s5
	s_cselect_b32 s12, -1, 0
	s_and_b32 s11, s11, s12
	s_delay_alu instid0(SALU_CYCLE_1)
	s_and_not1_b32 vcc_lo, exec_lo, s11
	s_cbranch_vccnz .LBB31_6
; %bb.1:
	s_mul_i32 s2, s2, s8
	s_mul_i32 s5, s3, s5
	s_add_i32 s2, s2, s14
	s_mul_i32 s7, s9, s7
	s_mul_i32 s2, s2, s9
	s_lshl_b32 s7, s7, 11
	s_add_i32 s8, s2, s15
	s_load_b128 s[0:3], s[0:1], 0x0
	s_add_i32 s5, s8, s5
	s_lshl_b32 s9, s14, 2
	s_add_i32 s5, s5, s10
	s_delay_alu instid0(SALU_CYCLE_1) | instskip(NEXT) | instid1(SALU_CYCLE_1)
	s_lshl_b32 s5, s5, 8
	s_add_i32 s7, s7, s5
	s_mul_i32 s5, s13, s6
	v_or_b32_e32 v1, s7, v0
	s_add_i32 s10, s5, s6
	s_delay_alu instid0(VALU_DEP_1) | instskip(NEXT) | instid1(VALU_DEP_1)
	v_ashrrev_i32_e32 v2, 31, v1
	v_lshlrev_b64 v[1:2], 2, v[1:2]
	s_waitcnt lgkmcnt(0)
	s_delay_alu instid0(VALU_DEP_1) | instskip(NEXT) | instid1(VALU_DEP_2)
	v_add_co_u32 v1, vcc_lo, s0, v1
	v_add_co_ci_u32_e32 v2, vcc_lo, s1, v2, vcc_lo
	s_add_i32 s0, s9, s15
	s_lshl_b32 s1, s10, 5
	s_delay_alu instid0(SALU_CYCLE_1) | instskip(SKIP_2) | instid1(SALU_CYCLE_1)
	s_add_i32 s0, s0, s1
	global_load_b32 v5, v[1:2], off
	s_sub_i32 s0, s0, 32
	s_ashr_i32 s1, s0, 31
	s_delay_alu instid0(SALU_CYCLE_1) | instskip(NEXT) | instid1(SALU_CYCLE_1)
	s_lshl_b64 s[0:1], s[0:1], 3
	s_add_u32 s0, s2, s0
	s_addc_u32 s1, s3, s1
	s_add_i32 s7, s10, -2
	s_load_b32 s11, s[0:1], 0x4
	s_cmp_lt_i32 s7, s5
	s_cbranch_scc1 .LBB31_4
; %bb.2:
	s_lshl_b32 s16, s4, 7
	s_load_b32 s12, s[0:1], 0x0
	s_ashr_i32 s17, s16, 31
	s_delay_alu instid0(SALU_CYCLE_1) | instskip(NEXT) | instid1(SALU_CYCLE_1)
	s_lshl_b64 s[0:1], s[16:17], 2
	s_add_u32 s7, s2, s0
	s_addc_u32 s8, s3, s1
	s_add_i32 s13, s13, 1
	s_lshl_b32 s0, s14, 10
	s_lshl_b32 s1, s15, 8
	s_mul_i32 s6, s6, s13
	s_add_i32 s0, s1, s0
	s_lshl_b32 s1, s6, 13
	s_delay_alu instid0(SALU_CYCLE_1)
	s_add_i32 s0, s0, s1
	s_lshl_b32 s1, s6, 5
	v_or_b32_e32 v0, s0, v0
	s_lshl_b32 s0, s4, 5
	s_add_i32 s1, s15, s1
	s_waitcnt lgkmcnt(0)
	v_mov_b32_e32 v6, s11
	s_add_i32 s0, s1, s0
	v_dual_mov_b32 v0, s12 :: v_dual_add_nc_u32 v3, 0xffffc000, v0
	s_add_i32 s0, s0, s9
	s_add_i32 s4, s10, -1
	s_sub_i32 s0, s0, 64
.LBB31_3:                               ; =>This Inner Loop Header: Depth=1
	s_delay_alu instid0(VALU_DEP_1) | instskip(SKIP_1) | instid1(SALU_CYCLE_1)
	v_ashrrev_i32_e32 v4, 31, v3
	s_ashr_i32 s1, s0, 31
	s_lshl_b64 s[10:11], s[0:1], 3
	s_delay_alu instid0(SALU_CYCLE_1) | instskip(NEXT) | instid1(VALU_DEP_1)
	s_add_u32 s10, s2, s10
	v_lshlrev_b64 v[7:8], 2, v[3:4]
	s_addc_u32 s11, s3, s11
	s_add_i32 s4, s4, -1
	s_sub_i32 s0, s0, 32
	s_cmp_le_i32 s4, s5
	s_load_b64 s[10:11], s[10:11], 0x0
	v_add_co_u32 v7, vcc_lo, s7, v7
	v_add_co_ci_u32_e32 v8, vcc_lo, s8, v8, vcc_lo
	global_load_b32 v4, v[7:8], off
	v_max_f32_e32 v7, v0, v0
	s_waitcnt lgkmcnt(0)
	v_max_f32_e64 v8, s10, s10
	s_delay_alu instid0(VALU_DEP_1) | instskip(NEXT) | instid1(VALU_DEP_1)
	v_max_f32_e32 v7, v7, v8
	v_sub_f32_e32 v8, s10, v7
	s_delay_alu instid0(VALU_DEP_1) | instskip(NEXT) | instid1(VALU_DEP_1)
	v_dual_sub_f32 v0, v0, v7 :: v_dual_mul_f32 v9, 0x3fb8aa3b, v8
	v_fma_f32 v10, 0x3fb8aa3b, v8, -v9
	v_rndne_f32_e32 v11, v9
	s_delay_alu instid0(VALU_DEP_3) | instskip(NEXT) | instid1(VALU_DEP_2)
	v_mul_f32_e32 v12, 0x3fb8aa3b, v0
	v_dual_fmac_f32 v10, 0x32a5705f, v8 :: v_dual_sub_f32 v9, v9, v11
	v_cvt_i32_f32_e32 v11, v11
	s_delay_alu instid0(VALU_DEP_3) | instskip(SKIP_1) | instid1(VALU_DEP_4)
	v_fma_f32 v13, 0x3fb8aa3b, v0, -v12
	v_rndne_f32_e32 v14, v12
	v_add_f32_e32 v9, v9, v10
	v_cmp_ngt_f32_e32 vcc_lo, 0xc2ce8ed0, v8
	s_delay_alu instid0(VALU_DEP_3) | instskip(NEXT) | instid1(VALU_DEP_3)
	v_sub_f32_e32 v10, v12, v14
	v_exp_f32_e32 v9, v9
	s_waitcnt_depctr 0xfff
	v_ldexp_f32 v9, v9, v11
	v_cvt_i32_f32_e32 v11, v14
	s_delay_alu instid0(VALU_DEP_2) | instskip(SKIP_1) | instid1(VALU_DEP_2)
	v_cndmask_b32_e32 v9, 0, v9, vcc_lo
	v_cmp_nlt_f32_e32 vcc_lo, 0x42b17218, v8
	v_cndmask_b32_e32 v9, 0x7f800000, v9, vcc_lo
	v_cmp_ngt_f32_e32 vcc_lo, 0xc2ce8ed0, v0
	v_fmac_f32_e32 v13, 0x32a5705f, v0
	s_delay_alu instid0(VALU_DEP_1) | instskip(NEXT) | instid1(VALU_DEP_1)
	v_add_f32_e32 v10, v10, v13
	v_exp_f32_e32 v10, v10
	s_waitcnt_depctr 0xfff
	v_ldexp_f32 v10, v10, v11
	s_delay_alu instid0(VALU_DEP_1)
	v_dual_mov_b32 v11, v6 :: v_dual_cndmask_b32 v10, 0, v10
	v_cmp_le_f32_e32 vcc_lo, 0xc1a00000, v8
	s_waitcnt vmcnt(1)
	v_dual_cndmask_b32 v8, 0, v9 :: v_dual_mov_b32 v9, v5
	v_cmp_nlt_f32_e32 vcc_lo, 0x42b17218, v0
	v_cndmask_b32_e32 v5, 0x7f800000, v10, vcc_lo
	s_delay_alu instid0(VALU_DEP_3) | instskip(SKIP_2) | instid1(VALU_DEP_3)
	v_mul_f32_e32 v10, s11, v8
	v_cmp_le_f32_e32 vcc_lo, 0xc1a00000, v0
	v_mov_b32_e32 v0, v7
	v_mov_b32_e32 v6, v10
	s_waitcnt vmcnt(0)
	v_dual_cndmask_b32 v12, 0, v5 :: v_dual_mul_f32 v5, v4, v8
	s_delay_alu instid0(VALU_DEP_1) | instskip(NEXT) | instid1(VALU_DEP_2)
	v_dual_fmac_f32 v6, v11, v12 :: v_dual_add_nc_u32 v3, 0xffffe000, v3
	v_fmac_f32_e32 v5, v9, v12
	s_cbranch_scc0 .LBB31_3
	s_branch .LBB31_5
.LBB31_4:
	s_waitcnt lgkmcnt(0)
	v_mov_b32_e32 v6, s11
.LBB31_5:
	s_waitcnt vmcnt(0)
	s_delay_alu instid0(VALU_DEP_1) | instskip(NEXT) | instid1(VALU_DEP_1)
	v_div_scale_f32 v0, null, v6, v6, v5
	v_rcp_f32_e32 v3, v0
	s_waitcnt_depctr 0xfff
	v_fma_f32 v4, -v0, v3, 1.0
	s_delay_alu instid0(VALU_DEP_1) | instskip(SKIP_1) | instid1(VALU_DEP_1)
	v_fmac_f32_e32 v3, v4, v3
	v_div_scale_f32 v4, vcc_lo, v5, v6, v5
	v_mul_f32_e32 v7, v4, v3
	s_delay_alu instid0(VALU_DEP_1) | instskip(NEXT) | instid1(VALU_DEP_1)
	v_fma_f32 v8, -v0, v7, v4
	v_fmac_f32_e32 v7, v8, v3
	s_delay_alu instid0(VALU_DEP_1) | instskip(NEXT) | instid1(VALU_DEP_1)
	v_fma_f32 v0, -v0, v7, v4
	v_div_fmas_f32 v0, v0, v3, v7
	s_delay_alu instid0(VALU_DEP_1)
	v_div_fixup_f32 v0, v0, v6, v5
	global_store_b32 v[1:2], v0, off
.LBB31_6:
	s_nop 0
	s_sendmsg sendmsg(MSG_DEALLOC_VGPRS)
	s_endpgm
	.section	.rodata,"a",@progbits
	.p2align	6, 0x0
	.amdhsa_kernel _ZL33flash_attn_stream_k_fixup_uniformILi256ELi8ELi4EEvPfPK15HIP_vector_typeIfLj2EEiiiiiiS1_IjLj3EES5_S5_
		.amdhsa_group_segment_fixed_size 0
		.amdhsa_private_segment_fixed_size 0
		.amdhsa_kernarg_size 76
		.amdhsa_user_sgpr_count 13
		.amdhsa_user_sgpr_dispatch_ptr 0
		.amdhsa_user_sgpr_queue_ptr 0
		.amdhsa_user_sgpr_kernarg_segment_ptr 1
		.amdhsa_user_sgpr_dispatch_id 0
		.amdhsa_user_sgpr_private_segment_size 0
		.amdhsa_wavefront_size32 1
		.amdhsa_uses_dynamic_stack 0
		.amdhsa_enable_private_segment 0
		.amdhsa_system_sgpr_workgroup_id_x 1
		.amdhsa_system_sgpr_workgroup_id_y 1
		.amdhsa_system_sgpr_workgroup_id_z 1
		.amdhsa_system_sgpr_workgroup_info 0
		.amdhsa_system_vgpr_workitem_id 0
		.amdhsa_next_free_vgpr 15
		.amdhsa_next_free_sgpr 20
		.amdhsa_reserve_vcc 1
		.amdhsa_float_round_mode_32 0
		.amdhsa_float_round_mode_16_64 0
		.amdhsa_float_denorm_mode_32 3
		.amdhsa_float_denorm_mode_16_64 3
		.amdhsa_dx10_clamp 1
		.amdhsa_ieee_mode 1
		.amdhsa_fp16_overflow 0
		.amdhsa_workgroup_processor_mode 1
		.amdhsa_memory_ordered 1
		.amdhsa_forward_progress 0
		.amdhsa_shared_vgpr_count 0
		.amdhsa_exception_fp_ieee_invalid_op 0
		.amdhsa_exception_fp_denorm_src 0
		.amdhsa_exception_fp_ieee_div_zero 0
		.amdhsa_exception_fp_ieee_overflow 0
		.amdhsa_exception_fp_ieee_underflow 0
		.amdhsa_exception_fp_ieee_inexact 0
		.amdhsa_exception_int_div_zero 0
	.end_amdhsa_kernel
	.section	.text._ZL33flash_attn_stream_k_fixup_uniformILi256ELi8ELi4EEvPfPK15HIP_vector_typeIfLj2EEiiiiiiS1_IjLj3EES5_S5_,"axG",@progbits,_ZL33flash_attn_stream_k_fixup_uniformILi256ELi8ELi4EEvPfPK15HIP_vector_typeIfLj2EEiiiiiiS1_IjLj3EES5_S5_,comdat
.Lfunc_end31:
	.size	_ZL33flash_attn_stream_k_fixup_uniformILi256ELi8ELi4EEvPfPK15HIP_vector_typeIfLj2EEiiiiiiS1_IjLj3EES5_S5_, .Lfunc_end31-_ZL33flash_attn_stream_k_fixup_uniformILi256ELi8ELi4EEvPfPK15HIP_vector_typeIfLj2EEiiiiiiS1_IjLj3EES5_S5_
                                        ; -- End function
	.section	.AMDGPU.csdata,"",@progbits
; Kernel info:
; codeLenInByte = 996
; NumSgprs: 22
; NumVgprs: 15
; ScratchSize: 0
; MemoryBound: 0
; FloatMode: 240
; IeeeMode: 1
; LDSByteSize: 0 bytes/workgroup (compile time only)
; SGPRBlocks: 2
; VGPRBlocks: 1
; NumSGPRsForWavesPerEU: 22
; NumVGPRsForWavesPerEU: 15
; Occupancy: 16
; WaveLimiterHint : 0
; COMPUTE_PGM_RSRC2:SCRATCH_EN: 0
; COMPUTE_PGM_RSRC2:USER_SGPR: 13
; COMPUTE_PGM_RSRC2:TRAP_HANDLER: 0
; COMPUTE_PGM_RSRC2:TGID_X_EN: 1
; COMPUTE_PGM_RSRC2:TGID_Y_EN: 1
; COMPUTE_PGM_RSRC2:TGID_Z_EN: 1
; COMPUTE_PGM_RSRC2:TIDIG_COMP_CNT: 0
	.section	.text._ZL33flash_attn_stream_k_fixup_generalILi256ELi8ELi4EEvPfPK15HIP_vector_typeIfLj2EEiiiiS1_IjLj3EES5_S5_S5_,"axG",@progbits,_ZL33flash_attn_stream_k_fixup_generalILi256ELi8ELi4EEvPfPK15HIP_vector_typeIfLj2EEiiiiS1_IjLj3EES5_S5_S5_,comdat
	.globl	_ZL33flash_attn_stream_k_fixup_generalILi256ELi8ELi4EEvPfPK15HIP_vector_typeIfLj2EEiiiiS1_IjLj3EES5_S5_S5_ ; -- Begin function _ZL33flash_attn_stream_k_fixup_generalILi256ELi8ELi4EEvPfPK15HIP_vector_typeIfLj2EEiiiiS1_IjLj3EES5_S5_S5_
	.p2align	8
	.type	_ZL33flash_attn_stream_k_fixup_generalILi256ELi8ELi4EEvPfPK15HIP_vector_typeIfLj2EEiiiiS1_IjLj3EES5_S5_S5_,@function
_ZL33flash_attn_stream_k_fixup_generalILi256ELi8ELi4EEvPfPK15HIP_vector_typeIfLj2EEiiiiS1_IjLj3EES5_S5_S5_: ; @_ZL33flash_attn_stream_k_fixup_generalILi256ELi8ELi4EEvPfPK15HIP_vector_typeIfLj2EEiiiiS1_IjLj3EES5_S5_S5_
; %bb.0:
	s_clause 0x1
	s_load_b128 s[4:7], s[0:1], 0x10
	s_load_b32 s20, s[0:1], 0x50
	s_mov_b32 s2, 0
	s_waitcnt lgkmcnt(0)
	s_mul_hi_i32 s3, s7, s13
	s_mul_i32 s12, s7, s13
	s_cmp_lg_u64 s[2:3], 0
	s_cbranch_scc0 .LBB32_21
; %bb.1:
	v_cvt_f32_ubyte0_e32 v1, 0
	v_cvt_f32_u32_e32 v2, s20
	s_sub_u32 s10, 0, s20
	s_subb_u32 s11, 0, 0
	s_delay_alu instid0(VALU_DEP_1) | instskip(NEXT) | instid1(VALU_DEP_1)
	v_fmamk_f32 v1, v1, 0x4f800000, v2
	v_rcp_f32_e32 v1, v1
	s_waitcnt_depctr 0xfff
	v_mul_f32_e32 v1, 0x5f7ffffc, v1
	s_delay_alu instid0(VALU_DEP_1) | instskip(NEXT) | instid1(VALU_DEP_1)
	v_mul_f32_e32 v2, 0x2f800000, v1
	v_trunc_f32_e32 v2, v2
	s_delay_alu instid0(VALU_DEP_1) | instskip(SKIP_1) | instid1(VALU_DEP_2)
	v_fmamk_f32 v1, v2, 0xcf800000, v1
	v_cvt_u32_f32_e32 v2, v2
	v_cvt_u32_f32_e32 v1, v1
	s_delay_alu instid0(VALU_DEP_2) | instskip(NEXT) | instid1(VALU_DEP_2)
	v_readfirstlane_b32 s8, v2
	v_readfirstlane_b32 s9, v1
	s_delay_alu instid0(VALU_DEP_2) | instskip(NEXT) | instid1(VALU_DEP_1)
	s_mul_i32 s16, s10, s8
	s_mul_hi_u32 s18, s10, s9
	s_mul_i32 s17, s11, s9
	s_add_i32 s16, s18, s16
	s_mul_i32 s19, s10, s9
	s_add_i32 s16, s16, s17
	s_mul_hi_u32 s18, s9, s19
	s_mul_hi_u32 s21, s8, s19
	s_mul_i32 s17, s8, s19
	s_mul_hi_u32 s19, s9, s16
	s_mul_i32 s9, s9, s16
	s_mul_hi_u32 s22, s8, s16
	s_add_u32 s9, s18, s9
	s_addc_u32 s18, 0, s19
	s_add_u32 s9, s9, s17
	s_mul_i32 s16, s8, s16
	s_addc_u32 s9, s18, s21
	s_addc_u32 s17, s22, 0
	s_add_u32 s9, s9, s16
	s_addc_u32 s16, 0, s17
	v_add_co_u32 v1, s9, v1, s9
	s_delay_alu instid0(VALU_DEP_1) | instskip(SKIP_1) | instid1(VALU_DEP_1)
	s_cmp_lg_u32 s9, 0
	s_addc_u32 s8, s8, s16
	v_readfirstlane_b32 s9, v1
	s_mul_i32 s16, s10, s8
	s_delay_alu instid0(VALU_DEP_1)
	s_mul_hi_u32 s17, s10, s9
	s_mul_i32 s11, s11, s9
	s_add_i32 s16, s17, s16
	s_mul_i32 s10, s10, s9
	s_add_i32 s16, s16, s11
	s_mul_hi_u32 s17, s8, s10
	s_mul_i32 s18, s8, s10
	s_mul_hi_u32 s10, s9, s10
	s_mul_hi_u32 s19, s9, s16
	s_mul_i32 s9, s9, s16
	s_mul_hi_u32 s11, s8, s16
	s_add_u32 s9, s10, s9
	s_addc_u32 s10, 0, s19
	s_add_u32 s9, s9, s18
	s_mul_i32 s16, s8, s16
	s_addc_u32 s9, s10, s17
	s_addc_u32 s10, s11, 0
	s_add_u32 s9, s9, s16
	s_addc_u32 s10, 0, s10
	v_add_co_u32 v1, s9, v1, s9
	s_delay_alu instid0(VALU_DEP_1) | instskip(SKIP_2) | instid1(SALU_CYCLE_1)
	s_cmp_lg_u32 s9, 0
	s_addc_u32 s16, s8, s10
	s_ashr_i32 s8, s3, 31
	s_add_u32 s10, s12, s8
	s_addc_u32 s11, s3, s8
	v_readfirstlane_b32 s3, v1
	s_mov_b32 s9, s8
	s_delay_alu instid0(SALU_CYCLE_1) | instskip(NEXT) | instid1(SALU_CYCLE_1)
	s_xor_b64 s[10:11], s[10:11], s[8:9]
	s_mul_i32 s18, s10, s16
	s_delay_alu instid0(VALU_DEP_1)
	s_mul_hi_u32 s19, s10, s3
	s_mul_hi_u32 s17, s10, s16
	;; [unrolled: 1-line block ×3, first 2 shown]
	s_mul_i32 s3, s11, s3
	s_add_u32 s18, s19, s18
	s_addc_u32 s17, 0, s17
	s_mul_hi_u32 s21, s11, s16
	s_add_u32 s3, s18, s3
	s_mul_i32 s16, s11, s16
	s_addc_u32 s3, s17, s22
	s_addc_u32 s17, s21, 0
	s_add_u32 s3, s3, s16
	s_addc_u32 s16, 0, s17
	s_mul_i32 s18, s20, s3
	s_add_u32 s17, s3, 1
	v_sub_co_u32 v1, s10, s10, s18
	s_mul_hi_u32 s18, s20, s3
	s_addc_u32 s19, s16, 0
	s_mul_i32 s21, s20, s16
	s_delay_alu instid0(VALU_DEP_1)
	v_sub_co_u32 v2, s22, v1, s20
	s_add_u32 s23, s3, 2
	s_addc_u32 s24, s16, 0
	s_add_i32 s18, s18, s21
	s_cmp_lg_u32 s10, 0
	v_readfirstlane_b32 s10, v2
	s_subb_u32 s11, s11, s18
	s_cmp_lg_u32 s22, 0
	s_subb_u32 s18, s11, 0
	s_delay_alu instid0(VALU_DEP_1) | instskip(SKIP_4) | instid1(SALU_CYCLE_1)
	s_cmp_ge_u32 s10, s20
	s_cselect_b32 s10, -1, 0
	s_cmp_eq_u32 s18, 0
	v_readfirstlane_b32 s18, v1
	s_cselect_b32 s10, s10, -1
	s_cmp_lg_u32 s10, 0
	s_cselect_b32 s10, s23, s17
	s_cselect_b32 s17, s24, s19
	s_cmp_ge_u32 s18, s20
	s_cselect_b32 s18, -1, 0
	s_cmp_eq_u32 s11, 0
	s_cselect_b32 s11, s18, -1
	s_delay_alu instid0(SALU_CYCLE_1) | instskip(SKIP_2) | instid1(SALU_CYCLE_1)
	s_cmp_lg_u32 s11, 0
	s_cselect_b32 s11, s17, s16
	s_cselect_b32 s10, s10, s3
	s_xor_b64 s[10:11], s[10:11], s[8:9]
	s_delay_alu instid0(SALU_CYCLE_1)
	s_sub_u32 s16, s10, s8
	s_load_b128 s[8:11], s[0:1], 0x44
	s_and_not1_b32 vcc_lo, exec_lo, s2
	s_cbranch_vccnz .LBB32_3
.LBB32_2:
	v_cvt_f32_u32_e32 v1, s20
	s_sub_i32 s3, 0, s20
	s_delay_alu instid0(VALU_DEP_1) | instskip(SKIP_2) | instid1(VALU_DEP_1)
	v_rcp_iflag_f32_e32 v1, v1
	s_waitcnt_depctr 0xfff
	v_mul_f32_e32 v1, 0x4f7ffffe, v1
	v_cvt_u32_f32_e32 v1, v1
	s_delay_alu instid0(VALU_DEP_1) | instskip(NEXT) | instid1(VALU_DEP_1)
	v_readfirstlane_b32 s2, v1
	s_mul_i32 s3, s3, s2
	s_delay_alu instid0(SALU_CYCLE_1) | instskip(NEXT) | instid1(SALU_CYCLE_1)
	s_mul_hi_u32 s3, s2, s3
	s_add_i32 s2, s2, s3
	s_delay_alu instid0(SALU_CYCLE_1) | instskip(NEXT) | instid1(SALU_CYCLE_1)
	s_mul_hi_u32 s2, s12, s2
	s_mul_i32 s3, s2, s20
	s_waitcnt lgkmcnt(0)
	s_add_i32 s11, s2, 1
	s_sub_i32 s3, s12, s3
	s_delay_alu instid0(SALU_CYCLE_1)
	s_sub_i32 s12, s3, s20
	s_cmp_ge_u32 s3, s20
	s_cselect_b32 s2, s11, s2
	s_cselect_b32 s3, s12, s3
	s_add_i32 s11, s2, 1
	s_cmp_ge_u32 s3, s20
	s_cselect_b32 s16, s11, s2
.LBB32_3:
	s_waitcnt lgkmcnt(0)
	s_add_i32 s11, s13, 1
	s_mov_b32 s2, 0
	s_mul_hi_i32 s3, s7, s11
	s_mul_i32 s11, s7, s11
	s_cmp_lg_u64 s[2:3], 0
	s_cbranch_scc0 .LBB32_22
; %bb.4:
	v_cvt_f32_ubyte0_e32 v1, 0
	v_cvt_f32_u32_e32 v2, s20
	s_sub_u32 s18, 0, s20
	s_subb_u32 s19, 0, 0
	s_delay_alu instid0(VALU_DEP_1) | instskip(NEXT) | instid1(VALU_DEP_1)
	v_fmamk_f32 v1, v1, 0x4f800000, v2
	v_rcp_f32_e32 v1, v1
	s_waitcnt_depctr 0xfff
	v_mul_f32_e32 v1, 0x5f7ffffc, v1
	s_delay_alu instid0(VALU_DEP_1) | instskip(NEXT) | instid1(VALU_DEP_1)
	v_mul_f32_e32 v2, 0x2f800000, v1
	v_trunc_f32_e32 v2, v2
	s_delay_alu instid0(VALU_DEP_1) | instskip(SKIP_1) | instid1(VALU_DEP_2)
	v_fmamk_f32 v1, v2, 0xcf800000, v1
	v_cvt_u32_f32_e32 v2, v2
	v_cvt_u32_f32_e32 v1, v1
	s_delay_alu instid0(VALU_DEP_2) | instskip(NEXT) | instid1(VALU_DEP_2)
	v_readfirstlane_b32 s12, v2
	v_readfirstlane_b32 s17, v1
	s_delay_alu instid0(VALU_DEP_2) | instskip(NEXT) | instid1(VALU_DEP_1)
	s_mul_i32 s21, s18, s12
	s_mul_hi_u32 s23, s18, s17
	s_mul_i32 s22, s19, s17
	s_add_i32 s21, s23, s21
	s_mul_i32 s24, s18, s17
	s_add_i32 s21, s21, s22
	s_mul_hi_u32 s23, s17, s24
	s_mul_hi_u32 s25, s12, s24
	s_mul_i32 s22, s12, s24
	s_mul_hi_u32 s24, s17, s21
	s_mul_i32 s17, s17, s21
	s_mul_hi_u32 s26, s12, s21
	s_add_u32 s17, s23, s17
	s_addc_u32 s23, 0, s24
	s_add_u32 s17, s17, s22
	s_mul_i32 s21, s12, s21
	s_addc_u32 s17, s23, s25
	s_addc_u32 s22, s26, 0
	s_add_u32 s17, s17, s21
	s_addc_u32 s21, 0, s22
	v_add_co_u32 v1, s17, v1, s17
	s_delay_alu instid0(VALU_DEP_1) | instskip(SKIP_1) | instid1(VALU_DEP_1)
	s_cmp_lg_u32 s17, 0
	s_addc_u32 s12, s12, s21
	v_readfirstlane_b32 s17, v1
	s_mul_i32 s21, s18, s12
	s_delay_alu instid0(VALU_DEP_1)
	s_mul_hi_u32 s22, s18, s17
	s_mul_i32 s19, s19, s17
	s_add_i32 s21, s22, s21
	s_mul_i32 s18, s18, s17
	s_add_i32 s21, s21, s19
	s_mul_hi_u32 s22, s12, s18
	s_mul_i32 s23, s12, s18
	s_mul_hi_u32 s18, s17, s18
	s_mul_hi_u32 s24, s17, s21
	s_mul_i32 s17, s17, s21
	s_mul_hi_u32 s19, s12, s21
	s_add_u32 s17, s18, s17
	s_addc_u32 s18, 0, s24
	s_add_u32 s17, s17, s23
	s_mul_i32 s21, s12, s21
	s_addc_u32 s17, s18, s22
	s_addc_u32 s18, s19, 0
	s_add_u32 s17, s17, s21
	s_addc_u32 s18, 0, s18
	v_add_co_u32 v1, s17, v1, s17
	s_delay_alu instid0(VALU_DEP_1) | instskip(SKIP_2) | instid1(SALU_CYCLE_1)
	s_cmp_lg_u32 s17, 0
	s_addc_u32 s12, s12, s18
	s_ashr_i32 s18, s3, 31
	s_add_u32 s22, s11, s18
	s_addc_u32 s23, s3, s18
	v_readfirstlane_b32 s3, v1
	s_mov_b32 s19, s18
	s_delay_alu instid0(SALU_CYCLE_1) | instskip(NEXT) | instid1(SALU_CYCLE_1)
	s_xor_b64 s[22:23], s[22:23], s[18:19]
	s_mul_i32 s21, s22, s12
	s_delay_alu instid0(VALU_DEP_1)
	s_mul_hi_u32 s24, s22, s3
	s_mul_hi_u32 s17, s22, s12
	;; [unrolled: 1-line block ×3, first 2 shown]
	s_mul_i32 s3, s23, s3
	s_add_u32 s21, s24, s21
	s_addc_u32 s17, 0, s17
	s_mul_hi_u32 s25, s23, s12
	s_add_u32 s3, s21, s3
	s_mul_i32 s12, s23, s12
	s_addc_u32 s3, s17, s26
	s_addc_u32 s17, s25, 0
	s_add_u32 s3, s3, s12
	s_addc_u32 s12, 0, s17
	s_mul_i32 s21, s20, s3
	s_add_u32 s17, s3, 1
	v_sub_co_u32 v1, s21, s22, s21
	s_mul_hi_u32 s22, s20, s3
	s_addc_u32 s24, s12, 0
	s_mul_i32 s25, s20, s12
	s_delay_alu instid0(VALU_DEP_1)
	v_sub_co_u32 v2, s26, v1, s20
	s_add_u32 s27, s3, 2
	s_addc_u32 s28, s12, 0
	s_add_i32 s22, s22, s25
	s_cmp_lg_u32 s21, 0
	v_readfirstlane_b32 s21, v2
	s_subb_u32 s22, s23, s22
	s_cmp_lg_u32 s26, 0
	s_subb_u32 s23, s22, 0
	s_delay_alu instid0(VALU_DEP_1) | instskip(SKIP_4) | instid1(SALU_CYCLE_1)
	s_cmp_ge_u32 s21, s20
	s_cselect_b32 s21, -1, 0
	s_cmp_eq_u32 s23, 0
	v_readfirstlane_b32 s23, v1
	s_cselect_b32 s21, s21, -1
	s_cmp_lg_u32 s21, 0
	s_cselect_b32 s17, s27, s17
	s_cselect_b32 s21, s28, s24
	s_cmp_ge_u32 s23, s20
	s_cselect_b32 s23, -1, 0
	s_cmp_eq_u32 s22, 0
	s_cselect_b32 s22, s23, -1
	s_delay_alu instid0(SALU_CYCLE_1) | instskip(SKIP_2) | instid1(SALU_CYCLE_1)
	s_cmp_lg_u32 s22, 0
	s_cselect_b32 s23, s21, s12
	s_cselect_b32 s22, s17, s3
	s_xor_b64 s[22:23], s[22:23], s[18:19]
	s_delay_alu instid0(SALU_CYCLE_1)
	s_sub_u32 s18, s22, s18
	s_and_not1_b32 vcc_lo, exec_lo, s2
	s_cbranch_vccnz .LBB32_6
.LBB32_5:
	v_cvt_f32_u32_e32 v1, s20
	s_sub_i32 s3, 0, s20
	s_delay_alu instid0(VALU_DEP_1) | instskip(SKIP_2) | instid1(VALU_DEP_1)
	v_rcp_iflag_f32_e32 v1, v1
	s_waitcnt_depctr 0xfff
	v_mul_f32_e32 v1, 0x4f7ffffe, v1
	v_cvt_u32_f32_e32 v1, v1
	s_delay_alu instid0(VALU_DEP_1) | instskip(NEXT) | instid1(VALU_DEP_1)
	v_readfirstlane_b32 s2, v1
	s_mul_i32 s3, s3, s2
	s_delay_alu instid0(SALU_CYCLE_1) | instskip(NEXT) | instid1(SALU_CYCLE_1)
	s_mul_hi_u32 s3, s2, s3
	s_add_i32 s2, s2, s3
	s_delay_alu instid0(SALU_CYCLE_1) | instskip(NEXT) | instid1(SALU_CYCLE_1)
	s_mul_hi_u32 s2, s11, s2
	s_mul_i32 s3, s2, s20
	s_delay_alu instid0(SALU_CYCLE_1)
	s_sub_i32 s3, s11, s3
	s_add_i32 s11, s2, 1
	s_sub_i32 s12, s3, s20
	s_cmp_ge_u32 s3, s20
	s_cselect_b32 s2, s11, s2
	s_cselect_b32 s3, s12, s3
	s_add_i32 s11, s2, 1
	s_cmp_ge_u32 s3, s20
	s_cselect_b32 s18, s11, s2
.LBB32_6:
	s_delay_alu instid0(SALU_CYCLE_1) | instskip(SKIP_3) | instid1(SALU_CYCLE_1)
	s_cmp_eq_u32 s16, s18
	s_mul_hi_u32 s2, s16, s8
	s_cselect_b32 s3, -1, 0
	s_add_i32 s2, s2, s16
	s_lshr_b32 s11, s2, s9
	s_delay_alu instid0(SALU_CYCLE_1) | instskip(NEXT) | instid1(SALU_CYCLE_1)
	s_mul_i32 s2, s11, s10
	s_cmp_eq_u32 s2, s16
	s_mul_hi_u32 s2, s18, s8
	s_cselect_b32 s12, -1, 0
	s_add_i32 s2, s2, s18
	s_delay_alu instid0(SALU_CYCLE_1) | instskip(NEXT) | instid1(SALU_CYCLE_1)
	s_lshr_b32 s2, s2, s9
	s_cmp_eq_u32 s11, s2
	s_mul_i32 s2, s2, s10
	s_cselect_b32 s17, -1, 0
	s_cmp_lg_u32 s2, s18
	s_cselect_b32 s2, -1, 0
	s_or_b32 s3, s3, s12
	s_and_b32 s2, s17, s2
	s_delay_alu instid0(SALU_CYCLE_1) | instskip(NEXT) | instid1(SALU_CYCLE_1)
	s_or_b32 s2, s3, s2
	s_and_b32 vcc_lo, exec_lo, s2
	s_cbranch_vccnz .LBB32_24
; %bb.7:
	s_load_b256 s[24:31], s[0:1], 0x20
	s_waitcnt lgkmcnt(0)
	s_mul_hi_u32 s2, s16, s24
	s_delay_alu instid0(SALU_CYCLE_1) | instskip(NEXT) | instid1(SALU_CYCLE_1)
	s_add_i32 s2, s2, s16
	s_lshr_b32 s17, s2, s25
	s_load_b32 s2, s[0:1], 0x40
	s_mul_i32 s3, s17, s26
	s_delay_alu instid0(SALU_CYCLE_1) | instskip(NEXT) | instid1(SALU_CYCLE_1)
	s_sub_i32 s3, s16, s3
	s_mul_hi_u32 s12, s3, s27
	s_delay_alu instid0(SALU_CYCLE_1) | instskip(NEXT) | instid1(SALU_CYCLE_1)
	s_add_i32 s12, s3, s12
	s_lshr_b32 s21, s12, s28
	s_delay_alu instid0(SALU_CYCLE_1) | instskip(NEXT) | instid1(SALU_CYCLE_1)
	s_mul_i32 s12, s21, s29
	s_sub_i32 s3, s3, s12
	s_delay_alu instid0(SALU_CYCLE_1) | instskip(NEXT) | instid1(SALU_CYCLE_1)
	s_mul_hi_u32 s12, s3, s30
	s_add_i32 s12, s3, s12
	s_delay_alu instid0(SALU_CYCLE_1)
	s_lshr_b32 s12, s12, s31
	s_waitcnt lgkmcnt(0)
	s_mul_i32 s2, s12, s2
	s_lshl_b32 s23, s12, 2
	s_sub_i32 s2, s3, s2
	s_mov_b32 s12, 0
	s_mul_hi_u32 s3, s2, s8
	s_delay_alu instid0(SALU_CYCLE_1) | instskip(NEXT) | instid1(SALU_CYCLE_1)
	s_add_i32 s2, s2, s3
	s_lshr_b32 s22, s2, s9
	s_delay_alu instid0(SALU_CYCLE_1) | instskip(NEXT) | instid1(SALU_CYCLE_1)
	s_lshl_b32 s2, s22, 3
	s_add_i32 s2, s2, s14
	s_delay_alu instid0(SALU_CYCLE_1) | instskip(SKIP_2) | instid1(SALU_CYCLE_1)
	s_cmp_lt_i32 s2, s4
	s_cselect_b32 s2, -1, 0
	s_add_i32 s3, s23, s15
	s_cmp_lt_i32 s3, s6
	s_cselect_b32 s3, -1, 0
	s_delay_alu instid0(SALU_CYCLE_1) | instskip(NEXT) | instid1(SALU_CYCLE_1)
	s_and_b32 s2, s2, s3
	s_and_not1_b32 vcc_lo, exec_lo, s2
	s_cbranch_vccnz .LBB32_24
; %bb.8:
	s_load_b128 s[0:3], s[0:1], 0x0
	s_lshl_b32 s18, s20, 7
	s_mov_b32 s19, s12
	s_lshl_b32 s24, s14, 2
	s_lshl_b64 s[18:19], s[18:19], 2
	s_mul_i32 s4, s17, s4
	s_add_i32 s17, s24, s15
	s_mul_i32 s21, s21, s6
	v_cvt_f32_ubyte0_e32 v4, 0
	v_cvt_f32_u32_e32 v5, s20
	s_waitcnt lgkmcnt(0)
	s_add_u32 s18, s2, s18
	s_addc_u32 s19, s3, s19
	s_add_i32 s4, s4, s14
	s_delay_alu instid0(SALU_CYCLE_1) | instskip(SKIP_4) | instid1(SALU_CYCLE_1)
	s_mul_i32 s4, s4, s5
	s_mul_i32 s5, s5, s22
	s_add_i32 s4, s4, s15
	s_lshl_b32 s5, s5, 11
	s_add_i32 s4, s4, s21
	s_add_i32 s4, s4, s23
	s_delay_alu instid0(SALU_CYCLE_1) | instskip(NEXT) | instid1(SALU_CYCLE_1)
	s_lshl_b32 s4, s4, 8
	s_add_i32 s5, s5, s4
	s_delay_alu instid0(SALU_CYCLE_1) | instskip(SKIP_1) | instid1(VALU_DEP_2)
	v_or_b32_e32 v1, s5, v0
	v_lshl_or_b32 v0, s17, 8, v0
	v_ashrrev_i32_e32 v2, 31, v1
	s_delay_alu instid0(VALU_DEP_1) | instskip(NEXT) | instid1(VALU_DEP_1)
	v_lshlrev_b64 v[1:2], 2, v[1:2]
	v_add_co_u32 v1, vcc_lo, s0, v1
	s_delay_alu instid0(VALU_DEP_2) | instskip(SKIP_1) | instid1(SALU_CYCLE_1)
	v_add_co_ci_u32_e32 v2, vcc_lo, s1, v2, vcc_lo
	s_lshl_b32 s0, s13, 5
	s_add_i32 s0, s17, s0
	global_load_b32 v3, v[1:2], off
	s_ashr_i32 s1, s0, 31
	s_delay_alu instid0(SALU_CYCLE_1) | instskip(NEXT) | instid1(SALU_CYCLE_1)
	s_lshl_b64 s[0:1], s[0:1], 3
	s_add_u32 s0, s2, s0
	s_addc_u32 s1, s3, s1
	s_add_i32 s14, s13, -1
	s_load_b64 s[0:1], s[0:1], 0x0
	v_fmac_f32_e32 v5, 0x4f800000, v4
	s_sub_i32 s6, 0, s20
	s_waitcnt lgkmcnt(0)
	v_mov_b32_e32 v8, s0
	s_delay_alu instid0(VALU_DEP_2) | instskip(SKIP_2) | instid1(VALU_DEP_2)
	v_rcp_f32_e32 v4, v5
	v_cvt_f32_u32_e32 v5, s20
	v_mov_b32_e32 v7, s1
	v_rcp_iflag_f32_e32 v5, v5
	s_waitcnt_depctr 0xfff
	v_mul_f32_e32 v4, 0x5f7ffffc, v4
	s_delay_alu instid0(VALU_DEP_1) | instskip(SKIP_1) | instid1(VALU_DEP_2)
	v_mul_f32_e32 v6, 0x2f800000, v4
	v_mul_f32_e32 v9, 0x4f7ffffe, v5
	v_trunc_f32_e32 v6, v6
	s_delay_alu instid0(VALU_DEP_1) | instskip(SKIP_1) | instid1(VALU_DEP_4)
	v_fmac_f32_e32 v4, 0xcf800000, v6
	v_cvt_u32_f32_e32 v5, v6
	v_cvt_u32_f32_e32 v6, v9
	s_delay_alu instid0(VALU_DEP_3)
	v_cvt_u32_f32_e32 v4, v4
.LBB32_9:                               ; =>This Inner Loop Header: Depth=1
	s_mul_hi_i32 s13, s14, s7
	s_mul_i32 s4, s14, s7
	s_cmp_lg_u64 s[12:13], 0
	s_mov_b32 s5, -1
                                        ; implicit-def: $sgpr0_sgpr1
	s_cbranch_scc0 .LBB32_11
; %bb.10:                               ;   in Loop: Header=BB32_9 Depth=1
	v_readfirstlane_b32 s0, v4
	v_readfirstlane_b32 s1, v5
	s_sub_u32 s5, 0, s20
	s_subb_u32 s15, 0, 0
	s_delay_alu instid0(VALU_DEP_2) | instskip(NEXT) | instid1(VALU_DEP_1)
	s_mul_hi_u32 s21, s5, s0
	s_mul_i32 s22, s5, s1
	s_mul_i32 s23, s15, s0
	s_add_i32 s21, s21, s22
	s_mul_i32 s22, s5, s0
	s_add_i32 s21, s21, s23
	s_mul_hi_u32 s23, s0, s22
	s_mul_i32 s24, s0, s21
	s_mul_hi_u32 s0, s0, s21
	s_add_u32 s23, s23, s24
	s_mul_i32 s25, s1, s22
	s_addc_u32 s0, 0, s0
	s_mul_hi_u32 s22, s1, s22
	s_mul_hi_u32 s24, s1, s21
	s_add_u32 s23, s23, s25
	s_addc_u32 s0, s0, s22
	s_mul_i32 s21, s1, s21
	s_addc_u32 s22, s24, 0
	s_add_u32 s0, s0, s21
	s_addc_u32 s21, 0, s22
	v_add_co_u32 v9, s0, v4, s0
	s_delay_alu instid0(VALU_DEP_1) | instskip(SKIP_1) | instid1(VALU_DEP_1)
	s_cmp_lg_u32 s0, 0
	s_addc_u32 s1, s1, s21
	v_readfirstlane_b32 s0, v9
	s_mul_i32 s21, s5, s1
	s_delay_alu instid0(VALU_DEP_1)
	s_mul_hi_u32 s22, s5, s0
	s_mul_i32 s15, s15, s0
	s_add_i32 s21, s22, s21
	s_mul_i32 s5, s5, s0
	s_add_i32 s21, s21, s15
	s_mul_hi_u32 s15, s1, s5
	s_mul_i32 s23, s1, s5
	s_mul_i32 s24, s0, s21
	s_mul_hi_u32 s5, s0, s5
	s_mul_hi_u32 s0, s0, s21
	s_add_u32 s5, s5, s24
	s_addc_u32 s0, 0, s0
	s_mul_hi_u32 s22, s1, s21
	s_add_u32 s5, s5, s23
	s_addc_u32 s0, s0, s15
	s_mul_i32 s5, s1, s21
	s_addc_u32 s15, s22, 0
	s_add_u32 s0, s0, s5
	s_addc_u32 s5, 0, s15
	v_add_co_u32 v9, s0, v9, s0
	s_delay_alu instid0(VALU_DEP_1) | instskip(SKIP_2) | instid1(SALU_CYCLE_1)
	s_cmp_lg_u32 s0, 0
	s_addc_u32 s5, s1, s5
	s_ashr_i32 s0, s13, 31
	s_add_u32 s22, s4, s0
	s_addc_u32 s23, s13, s0
	v_readfirstlane_b32 s13, v9
	s_mov_b32 s1, s0
	s_delay_alu instid0(SALU_CYCLE_1) | instskip(NEXT) | instid1(SALU_CYCLE_1)
	s_xor_b64 s[22:23], s[22:23], s[0:1]
	s_mul_i32 s15, s22, s5
	s_delay_alu instid0(VALU_DEP_1)
	s_mul_hi_u32 s21, s22, s13
	s_mul_hi_u32 s24, s22, s5
	s_add_u32 s15, s21, s15
	s_mul_i32 s25, s23, s13
	s_addc_u32 s21, 0, s24
	s_mul_hi_u32 s13, s23, s13
	s_mul_hi_u32 s24, s23, s5
	s_add_u32 s15, s15, s25
	s_addc_u32 s13, s21, s13
	s_mul_i32 s5, s23, s5
	s_addc_u32 s15, s24, 0
	s_add_u32 s5, s13, s5
	s_addc_u32 s13, 0, s15
	s_mul_i32 s21, s20, s5
	s_add_u32 s15, s5, 1
	v_sub_co_u32 v9, s21, s22, s21
	s_addc_u32 s22, s13, 0
	s_mul_i32 s25, s20, s13
	s_mul_hi_u32 s27, s20, s5
	s_delay_alu instid0(VALU_DEP_1)
	v_sub_co_u32 v10, s26, v9, s20
	s_add_u32 s24, s5, 2
	s_addc_u32 s28, s13, 0
	s_add_i32 s27, s27, s25
	s_cmp_lg_u32 s21, 0
	v_readfirstlane_b32 s21, v10
	s_subb_u32 s23, s23, s27
	s_cmp_lg_u32 s26, 0
	s_subb_u32 s25, s23, 0
	s_delay_alu instid0(VALU_DEP_1) | instskip(SKIP_4) | instid1(SALU_CYCLE_1)
	s_cmp_ge_u32 s21, s20
	s_cselect_b32 s21, -1, 0
	s_cmp_eq_u32 s25, 0
	v_readfirstlane_b32 s25, v9
	s_cselect_b32 s21, s21, -1
	s_cmp_lg_u32 s21, 0
	s_cselect_b32 s15, s24, s15
	s_cselect_b32 s21, s28, s22
	s_cmp_ge_u32 s25, s20
	s_cselect_b32 s22, -1, 0
	s_cmp_eq_u32 s23, 0
	s_cselect_b32 s22, s22, -1
	s_delay_alu instid0(SALU_CYCLE_1) | instskip(SKIP_4) | instid1(SALU_CYCLE_1)
	s_cmp_lg_u32 s22, 0
	s_cselect_b32 s23, s21, s13
	s_cselect_b32 s22, s15, s5
	s_mov_b32 s5, 0
	s_xor_b64 s[22:23], s[22:23], s[0:1]
	s_sub_u32 s0, s22, s0
.LBB32_11:                              ;   in Loop: Header=BB32_9 Depth=1
	s_and_not1_b32 vcc_lo, exec_lo, s5
	s_cbranch_vccnz .LBB32_13
; %bb.12:                               ;   in Loop: Header=BB32_9 Depth=1
	v_readfirstlane_b32 s0, v6
	s_delay_alu instid0(VALU_DEP_1) | instskip(NEXT) | instid1(SALU_CYCLE_1)
	s_mul_i32 s1, s6, s0
	s_mul_hi_u32 s1, s0, s1
	s_delay_alu instid0(SALU_CYCLE_1) | instskip(NEXT) | instid1(SALU_CYCLE_1)
	s_add_i32 s0, s0, s1
	s_mul_hi_u32 s0, s4, s0
	s_delay_alu instid0(SALU_CYCLE_1) | instskip(NEXT) | instid1(SALU_CYCLE_1)
	s_mul_i32 s1, s0, s20
	s_sub_i32 s1, s4, s1
	s_add_i32 s4, s0, 1
	s_sub_i32 s5, s1, s20
	s_cmp_ge_u32 s1, s20
	s_cselect_b32 s0, s4, s0
	s_cselect_b32 s1, s5, s1
	s_add_i32 s4, s0, 1
	s_cmp_ge_u32 s1, s20
	s_cselect_b32 s0, s4, s0
.LBB32_13:                              ;   in Loop: Header=BB32_9 Depth=1
	s_delay_alu instid0(SALU_CYCLE_1)
	s_cmp_lg_u32 s16, s0
	s_cbranch_scc0 .LBB32_17
; %bb.14:                               ;   in Loop: Header=BB32_9 Depth=1
	s_add_i32 s1, s14, s20
	s_mov_b32 s5, s12
	s_lshl_b32 s1, s1, 5
	s_mov_b32 s15, s16
	s_add_i32 s4, s1, s17
	s_mul_hi_u32 s1, s0, s8
	s_lshl_b64 s[4:5], s[4:5], 3
	s_delay_alu instid0(SALU_CYCLE_1) | instskip(SKIP_2) | instid1(SALU_CYCLE_1)
	s_add_u32 s4, s2, s4
	s_addc_u32 s5, s3, s5
	s_add_i32 s1, s1, s0
	s_lshr_b32 s1, s1, s9
	s_delay_alu instid0(SALU_CYCLE_1) | instskip(NEXT) | instid1(SALU_CYCLE_1)
	s_mul_i32 s13, s1, s10
	s_cmp_eq_u32 s13, s0
	s_cselect_b32 s13, -1, 0
	s_cmp_lt_u32 s1, s11
	s_cselect_b32 s1, -1, 0
	s_delay_alu instid0(SALU_CYCLE_1)
	s_or_b32 s1, s1, s13
	s_mov_b32 s13, -1
	s_and_b32 vcc_lo, exec_lo, s1
	s_mov_b32 s1, s14
	s_cbranch_vccnz .LBB32_16
; %bb.15:                               ;   in Loop: Header=BB32_9 Depth=1
	s_add_i32 s1, s14, -1
	s_mov_b32 s13, 0
	s_mov_b32 s15, s0
.LBB32_16:                              ;   in Loop: Header=BB32_9 Depth=1
	v_lshl_add_u32 v9, s14, 13, v0
	s_load_b64 s[4:5], s[4:5], 0x0
	s_delay_alu instid0(VALU_DEP_1) | instskip(NEXT) | instid1(VALU_DEP_1)
	v_ashrrev_i32_e32 v10, 31, v9
	v_lshlrev_b64 v[9:10], 2, v[9:10]
	s_delay_alu instid0(VALU_DEP_1) | instskip(NEXT) | instid1(VALU_DEP_2)
	v_add_co_u32 v9, vcc_lo, s18, v9
	v_add_co_ci_u32_e32 v10, vcc_lo, s19, v10, vcc_lo
	s_waitcnt lgkmcnt(0)
	v_max_f32_e64 v11, s4, s4
	global_load_b32 v10, v[9:10], off
	v_max_f32_e32 v9, v8, v8
	s_delay_alu instid0(VALU_DEP_1) | instskip(NEXT) | instid1(VALU_DEP_1)
	v_max_f32_e32 v9, v9, v11
	v_sub_f32_e32 v12, v8, v9
	s_delay_alu instid0(VALU_DEP_1) | instskip(NEXT) | instid1(VALU_DEP_1)
	v_dual_mul_f32 v14, 0x3fb8aa3b, v12 :: v_dual_sub_f32 v11, s4, v9
	v_rndne_f32_e32 v18, v14
	s_delay_alu instid0(VALU_DEP_2) | instskip(SKIP_2) | instid1(VALU_DEP_4)
	v_mul_f32_e32 v13, 0x3fb8aa3b, v11
	v_fma_f32 v17, 0x3fb8aa3b, v12, -v14
	v_cmp_ngt_f32_e32 vcc_lo, 0xc2ce8ed0, v11
	v_sub_f32_e32 v14, v14, v18
	s_delay_alu instid0(VALU_DEP_4) | instskip(SKIP_2) | instid1(VALU_DEP_3)
	v_fma_f32 v15, 0x3fb8aa3b, v11, -v13
	v_rndne_f32_e32 v16, v13
	v_fmac_f32_e32 v17, 0x32a5705f, v12
	v_fmac_f32_e32 v15, 0x32a5705f, v11
	s_delay_alu instid0(VALU_DEP_2) | instskip(NEXT) | instid1(VALU_DEP_1)
	v_dual_sub_f32 v13, v13, v16 :: v_dual_add_f32 v14, v14, v17
	v_add_f32_e32 v13, v13, v15
	s_delay_alu instid0(VALU_DEP_2) | instskip(SKIP_2) | instid1(VALU_DEP_3)
	v_exp_f32_e32 v14, v14
	v_cvt_i32_f32_e32 v15, v16
	v_cvt_i32_f32_e32 v16, v18
	v_exp_f32_e32 v13, v13
	s_waitcnt_depctr 0xfff
	v_ldexp_f32 v14, v14, v16
	v_ldexp_f32 v13, v13, v15
	s_delay_alu instid0(VALU_DEP_1) | instskip(SKIP_1) | instid1(VALU_DEP_4)
	v_cndmask_b32_e32 v13, 0, v13, vcc_lo
	v_cmp_ngt_f32_e32 vcc_lo, 0xc2ce8ed0, v12
	v_cndmask_b32_e32 v14, 0, v14, vcc_lo
	v_cmp_nlt_f32_e32 vcc_lo, 0x42b17218, v11
	s_delay_alu instid0(VALU_DEP_4) | instskip(SKIP_1) | instid1(VALU_DEP_4)
	v_cndmask_b32_e32 v13, 0x7f800000, v13, vcc_lo
	v_cmp_nlt_f32_e32 vcc_lo, 0x42b17218, v12
	v_cndmask_b32_e32 v14, 0x7f800000, v14, vcc_lo
	v_cmp_le_f32_e32 vcc_lo, 0xc1a00000, v11
	s_delay_alu instid0(VALU_DEP_4) | instskip(SKIP_1) | instid1(VALU_DEP_4)
	v_cndmask_b32_e32 v11, 0, v13, vcc_lo
	v_cmp_le_f32_e32 vcc_lo, 0xc1a00000, v12
	v_cndmask_b32_e32 v12, 0, v14, vcc_lo
	s_waitcnt vmcnt(0)
	s_delay_alu instid0(VALU_DEP_3) | instskip(NEXT) | instid1(VALU_DEP_1)
	v_mul_f32_e32 v10, v10, v11
	v_dual_mul_f32 v11, s5, v11 :: v_dual_fmac_f32 v10, v3, v12
	s_delay_alu instid0(VALU_DEP_1)
	v_fmac_f32_e32 v11, v7, v12
	s_cbranch_execz .LBB32_18
	s_branch .LBB32_19
.LBB32_17:                              ;   in Loop: Header=BB32_9 Depth=1
                                        ; implicit-def: $sgpr13
                                        ; implicit-def: $vgpr10
                                        ; implicit-def: $vgpr9
                                        ; implicit-def: $vgpr11
                                        ; implicit-def: $sgpr1
                                        ; implicit-def: $sgpr15
.LBB32_18:                              ;   in Loop: Header=BB32_9 Depth=1
	v_mov_b32_e32 v11, v7
	s_waitcnt vmcnt(0)
	v_dual_mov_b32 v9, v8 :: v_dual_mov_b32 v10, v3
	s_add_i32 s1, s14, -1
	s_mov_b32 s13, 0
	s_mov_b32 s15, s16
.LBB32_19:                              ;   in Loop: Header=BB32_9 Depth=1
	s_and_not1_b32 vcc_lo, exec_lo, s13
	s_cbranch_vccz .LBB32_23
; %bb.20:                               ;   in Loop: Header=BB32_9 Depth=1
	v_dual_mov_b32 v7, v11 :: v_dual_mov_b32 v8, v9
	s_waitcnt vmcnt(0)
	v_mov_b32_e32 v3, v10
	s_mov_b32 s16, s15
	s_mov_b32 s14, s1
	s_branch .LBB32_9
.LBB32_21:
                                        ; implicit-def: $sgpr16_sgpr17
	s_load_b128 s[8:11], s[0:1], 0x44
	s_branch .LBB32_2
.LBB32_22:
                                        ; implicit-def: $sgpr18_sgpr19
	s_branch .LBB32_5
.LBB32_23:
	v_div_scale_f32 v0, null, v11, v11, v10
	s_waitcnt vmcnt(0)
	s_delay_alu instid0(VALU_DEP_1) | instskip(SKIP_2) | instid1(VALU_DEP_1)
	v_rcp_f32_e32 v3, v0
	s_waitcnt_depctr 0xfff
	v_fma_f32 v4, -v0, v3, 1.0
	v_fmac_f32_e32 v3, v4, v3
	v_div_scale_f32 v4, vcc_lo, v10, v11, v10
	s_delay_alu instid0(VALU_DEP_1) | instskip(NEXT) | instid1(VALU_DEP_1)
	v_mul_f32_e32 v5, v4, v3
	v_fma_f32 v6, -v0, v5, v4
	s_delay_alu instid0(VALU_DEP_1) | instskip(NEXT) | instid1(VALU_DEP_1)
	v_fmac_f32_e32 v5, v6, v3
	v_fma_f32 v0, -v0, v5, v4
	s_delay_alu instid0(VALU_DEP_1) | instskip(NEXT) | instid1(VALU_DEP_1)
	v_div_fmas_f32 v0, v0, v3, v5
	v_div_fixup_f32 v0, v0, v11, v10
	global_store_b32 v[1:2], v0, off
.LBB32_24:
	s_nop 0
	s_sendmsg sendmsg(MSG_DEALLOC_VGPRS)
	s_endpgm
	.section	.rodata,"a",@progbits
	.p2align	6, 0x0
	.amdhsa_kernel _ZL33flash_attn_stream_k_fixup_generalILi256ELi8ELi4EEvPfPK15HIP_vector_typeIfLj2EEiiiiS1_IjLj3EES5_S5_S5_
		.amdhsa_group_segment_fixed_size 0
		.amdhsa_private_segment_fixed_size 0
		.amdhsa_kernarg_size 336
		.amdhsa_user_sgpr_count 13
		.amdhsa_user_sgpr_dispatch_ptr 0
		.amdhsa_user_sgpr_queue_ptr 0
		.amdhsa_user_sgpr_kernarg_segment_ptr 1
		.amdhsa_user_sgpr_dispatch_id 0
		.amdhsa_user_sgpr_private_segment_size 0
		.amdhsa_wavefront_size32 1
		.amdhsa_uses_dynamic_stack 0
		.amdhsa_enable_private_segment 0
		.amdhsa_system_sgpr_workgroup_id_x 1
		.amdhsa_system_sgpr_workgroup_id_y 1
		.amdhsa_system_sgpr_workgroup_id_z 1
		.amdhsa_system_sgpr_workgroup_info 0
		.amdhsa_system_vgpr_workitem_id 0
		.amdhsa_next_free_vgpr 19
		.amdhsa_next_free_sgpr 32
		.amdhsa_reserve_vcc 1
		.amdhsa_float_round_mode_32 0
		.amdhsa_float_round_mode_16_64 0
		.amdhsa_float_denorm_mode_32 3
		.amdhsa_float_denorm_mode_16_64 3
		.amdhsa_dx10_clamp 1
		.amdhsa_ieee_mode 1
		.amdhsa_fp16_overflow 0
		.amdhsa_workgroup_processor_mode 1
		.amdhsa_memory_ordered 1
		.amdhsa_forward_progress 0
		.amdhsa_shared_vgpr_count 0
		.amdhsa_exception_fp_ieee_invalid_op 0
		.amdhsa_exception_fp_denorm_src 0
		.amdhsa_exception_fp_ieee_div_zero 0
		.amdhsa_exception_fp_ieee_overflow 0
		.amdhsa_exception_fp_ieee_underflow 0
		.amdhsa_exception_fp_ieee_inexact 0
		.amdhsa_exception_int_div_zero 0
	.end_amdhsa_kernel
	.section	.text._ZL33flash_attn_stream_k_fixup_generalILi256ELi8ELi4EEvPfPK15HIP_vector_typeIfLj2EEiiiiS1_IjLj3EES5_S5_S5_,"axG",@progbits,_ZL33flash_attn_stream_k_fixup_generalILi256ELi8ELi4EEvPfPK15HIP_vector_typeIfLj2EEiiiiS1_IjLj3EES5_S5_S5_,comdat
.Lfunc_end32:
	.size	_ZL33flash_attn_stream_k_fixup_generalILi256ELi8ELi4EEvPfPK15HIP_vector_typeIfLj2EEiiiiS1_IjLj3EES5_S5_S5_, .Lfunc_end32-_ZL33flash_attn_stream_k_fixup_generalILi256ELi8ELi4EEvPfPK15HIP_vector_typeIfLj2EEiiiiS1_IjLj3EES5_S5_S5_
                                        ; -- End function
	.section	.AMDGPU.csdata,"",@progbits
; Kernel info:
; codeLenInByte = 3224
; NumSgprs: 34
; NumVgprs: 19
; ScratchSize: 0
; MemoryBound: 0
; FloatMode: 240
; IeeeMode: 1
; LDSByteSize: 0 bytes/workgroup (compile time only)
; SGPRBlocks: 4
; VGPRBlocks: 2
; NumSGPRsForWavesPerEU: 34
; NumVGPRsForWavesPerEU: 19
; Occupancy: 16
; WaveLimiterHint : 0
; COMPUTE_PGM_RSRC2:SCRATCH_EN: 0
; COMPUTE_PGM_RSRC2:USER_SGPR: 13
; COMPUTE_PGM_RSRC2:TRAP_HANDLER: 0
; COMPUTE_PGM_RSRC2:TGID_X_EN: 1
; COMPUTE_PGM_RSRC2:TGID_Y_EN: 1
; COMPUTE_PGM_RSRC2:TGID_Z_EN: 1
; COMPUTE_PGM_RSRC2:TIDIG_COMP_CNT: 0
	.section	.text._ZL26flash_attn_combine_resultsILi256EEvPKfPK15HIP_vector_typeIfLj2EEPfi,"axG",@progbits,_ZL26flash_attn_combine_resultsILi256EEvPKfPK15HIP_vector_typeIfLj2EEPfi,comdat
	.globl	_ZL26flash_attn_combine_resultsILi256EEvPKfPK15HIP_vector_typeIfLj2EEPfi ; -- Begin function _ZL26flash_attn_combine_resultsILi256EEvPKfPK15HIP_vector_typeIfLj2EEPfi
	.p2align	8
	.type	_ZL26flash_attn_combine_resultsILi256EEvPKfPK15HIP_vector_typeIfLj2EEPfi,@function
_ZL26flash_attn_combine_resultsILi256EEvPKfPK15HIP_vector_typeIfLj2EEPfi: ; @_ZL26flash_attn_combine_resultsILi256EEvPKfPK15HIP_vector_typeIfLj2EEPfi
; %bb.0:
	s_clause 0x3
	s_load_b64 s[2:3], s[0:1], 0x20
	s_load_b32 s11, s[0:1], 0x18
	s_load_b128 s[4:7], s[0:1], 0x0
	s_load_b64 s[8:9], s[0:1], 0x10
	v_lshlrev_b32_e32 v5, 2, v0
	s_mov_b32 s12, exec_lo
	s_waitcnt lgkmcnt(0)
	s_mul_i32 s0, s2, s15
	s_lshl_b32 s1, s11, 1
	s_add_i32 s0, s0, s13
	s_delay_alu instid0(SALU_CYCLE_1) | instskip(NEXT) | instid1(SALU_CYCLE_1)
	s_mul_i32 s10, s0, s3
	s_add_i32 s10, s10, s14
	s_delay_alu instid0(SALU_CYCLE_1)
	s_mul_i32 s2, s10, s11
	v_cmpx_gt_i32_e64 s1, v0
	s_cbranch_execz .LBB33_3
; %bb.1:
	s_ashr_i32 s3, s2, 31
	v_dual_mov_b32 v4, v0 :: v_dual_add_nc_u32 v3, 0, v5
	s_lshl_b64 s[14:15], s[2:3], 3
	s_delay_alu instid0(SALU_CYCLE_1) | instskip(SKIP_2) | instid1(VALU_DEP_1)
	s_add_u32 s0, s6, s14
	s_addc_u32 s3, s7, s15
	v_add_co_u32 v1, s0, s0, v5
	v_add_co_ci_u32_e64 v2, null, s3, 0, s0
	s_mov_b32 s3, 0
	.p2align	6
.LBB33_2:                               ; =>This Inner Loop Header: Depth=1
	global_load_b32 v6, v[1:2], off
	v_add_nc_u32_e32 v4, 0x100, v4
	v_add_co_u32 v1, vcc_lo, 0x400, v1
	v_add_co_ci_u32_e32 v2, vcc_lo, 0, v2, vcc_lo
	s_delay_alu instid0(VALU_DEP_3) | instskip(NEXT) | instid1(VALU_DEP_1)
	v_cmp_le_i32_e64 s0, s1, v4
	s_or_b32 s3, s0, s3
	s_waitcnt vmcnt(0)
	ds_store_b32 v3, v6
	v_add_nc_u32_e32 v3, 0x400, v3
	s_and_not1_b32 exec_lo, exec_lo, s3
	s_cbranch_execnz .LBB33_2
.LBB33_3:
	s_or_b32 exec_lo, exec_lo, s12
	v_mov_b32_e32 v1, 0
	s_waitcnt lgkmcnt(0)
	s_barrier
	buffer_gl0_inv
	s_cmp_lt_i32 s11, 2
	ds_load_b32 v6, v1
	s_cbranch_scc1 .LBB33_11
; %bb.4:
	s_add_i32 s1, s11, -2
	s_add_i32 s0, s11, -1
	s_cmp_lt_u32 s1, 7
	s_cbranch_scc1 .LBB33_8
; %bb.5:
	s_mov_b32 s3, 0
	s_add_i32 s1, 0, 8
	s_and_b32 s6, s0, -8
	.p2align	6
.LBB33_6:                               ; =>This Inner Loop Header: Depth=1
	v_mov_b32_e32 v9, s1
	s_mov_b32 s7, s3
	s_add_i32 s3, s3, 8
	s_add_i32 s1, s1, 64
	s_cmp_eq_u32 s6, s3
	ds_load_2addr_b32 v[1:2], v9 offset1:2
	ds_load_2addr_b32 v[3:4], v9 offset0:4 offset1:6
	ds_load_2addr_b32 v[7:8], v9 offset0:8 offset1:10
	;; [unrolled: 1-line block ×3, first 2 shown]
	s_waitcnt lgkmcnt(3)
	v_max3_f32 v1, v6, v1, v2
	s_waitcnt lgkmcnt(2)
	s_delay_alu instid0(VALU_DEP_1) | instskip(SKIP_1) | instid1(VALU_DEP_1)
	v_max3_f32 v1, v1, v3, v4
	s_waitcnt lgkmcnt(1)
	v_max3_f32 v1, v1, v7, v8
	s_waitcnt lgkmcnt(0)
	s_delay_alu instid0(VALU_DEP_1)
	v_max3_f32 v6, v1, v9, v10
	s_cbranch_scc0 .LBB33_6
; %bb.7:
	s_add_i32 s1, s7, 9
	s_and_b32 s0, s0, 7
	s_delay_alu instid0(SALU_CYCLE_1)
	s_cmp_eq_u32 s0, 0
	s_cbranch_scc0 .LBB33_9
	s_branch .LBB33_11
.LBB33_8:
	s_mov_b32 s1, 1
	s_and_b32 s0, s0, 7
	s_delay_alu instid0(SALU_CYCLE_1)
	s_cmp_eq_u32 s0, 0
	s_cbranch_scc1 .LBB33_11
.LBB33_9:
	s_lshl_b32 s1, s1, 3
	s_delay_alu instid0(SALU_CYCLE_1)
	s_add_i32 s1, s1, 0
.LBB33_10:                              ; =>This Inner Loop Header: Depth=1
	s_waitcnt lgkmcnt(0)
	s_delay_alu instid0(VALU_DEP_1)
	v_dual_mov_b32 v1, s1 :: v_dual_max_f32 v2, v6, v6
	s_add_i32 s0, s0, -1
	s_add_i32 s1, s1, 8
	s_cmp_lg_u32 s0, 0
	ds_load_b32 v1, v1
	s_waitcnt lgkmcnt(0)
	v_max_f32_e32 v1, v1, v1
	s_delay_alu instid0(VALU_DEP_1)
	v_max_f32_e32 v6, v2, v1
	s_cbranch_scc1 .LBB33_10
.LBB33_11:
	s_cmp_lt_i32 s11, 1
	s_cbranch_scc1 .LBB33_16
; %bb.12:
	s_lshl_b32 s0, s2, 8
	v_mov_b32_e32 v7, 0
	s_ashr_i32 s1, s0, 31
	s_mov_b32 s13, 0
	s_lshl_b64 s[0:1], s[0:1], 2
	s_delay_alu instid0(SALU_CYCLE_1)
	s_add_u32 s6, s4, s0
	s_addc_u32 s7, s5, s1
	s_cmp_lt_u32 s11, 8
	s_cbranch_scc1 .LBB33_17
; %bb.13:
	v_or_b32_e32 v1, 0x700, v0
	v_dual_mov_b32 v4, 0 :: v_dual_mov_b32 v7, 0
	v_mov_b32_e32 v8, 0
	s_and_b32 s12, s11, 0x7ffffff8
	s_mov_b32 s14, 0
.LBB33_14:                              ; =>This Inner Loop Header: Depth=1
	s_delay_alu instid0(VALU_DEP_2) | instskip(SKIP_3) | instid1(VALU_DEP_2)
	v_dual_mov_b32 v2, v4 :: v_dual_add_nc_u32 v3, 0xfffff900, v1
	v_mov_b32_e32 v21, s13
	s_add_i32 s14, s14, 8
	s_add_i32 s13, s13, 64
	v_lshlrev_b64 v[9:10], 2, v[3:4]
	v_add_nc_u32_e32 v3, 0xfffffa00, v1
	v_lshlrev_b64 v[11:12], 2, v[1:2]
	s_cmp_eq_u32 s12, s14
	s_delay_alu instid0(VALU_DEP_2) | instskip(NEXT) | instid1(VALU_DEP_4)
	v_lshlrev_b64 v[13:14], 2, v[3:4]
	v_add_co_u32 v9, vcc_lo, s6, v9
	v_add_co_ci_u32_e32 v10, vcc_lo, s7, v10, vcc_lo
	v_add_nc_u32_e32 v3, 0xfffffb00, v1
	s_delay_alu instid0(VALU_DEP_4)
	v_add_co_u32 v13, vcc_lo, s6, v13
	global_load_b32 v25, v[9:10], off
	v_add_co_ci_u32_e32 v14, vcc_lo, s7, v14, vcc_lo
	v_lshlrev_b64 v[15:16], 2, v[3:4]
	v_add_nc_u32_e32 v3, 0xfffffc00, v1
	global_load_b32 v26, v[13:14], off
	v_add_co_u32 v13, vcc_lo, s6, v15
	v_add_co_ci_u32_e32 v14, vcc_lo, s7, v16, vcc_lo
	v_lshlrev_b64 v[9:10], 2, v[3:4]
	v_add_nc_u32_e32 v3, 0xfffffd00, v1
	global_load_b32 v27, v[13:14], off
	v_add_co_u32 v9, vcc_lo, s6, v9
	v_lshlrev_b64 v[15:16], 2, v[3:4]
	v_add_nc_u32_e32 v3, 0xfffffe00, v1
	v_add_co_ci_u32_e32 v10, vcc_lo, s7, v10, vcc_lo
	global_load_b32 v28, v[9:10], off
	v_lshlrev_b64 v[13:14], 2, v[3:4]
	v_add_nc_u32_e32 v3, 0xffffff00, v1
	v_add_co_u32 v9, vcc_lo, s6, v15
	v_add_co_ci_u32_e32 v10, vcc_lo, s7, v16, vcc_lo
	s_delay_alu instid0(VALU_DEP_4) | instskip(NEXT) | instid1(VALU_DEP_4)
	v_add_co_u32 v13, vcc_lo, s6, v13
	v_lshlrev_b64 v[2:3], 2, v[3:4]
	v_add_co_ci_u32_e32 v14, vcc_lo, s7, v14, vcc_lo
	s_clause 0x1
	global_load_b32 v29, v[9:10], off
	global_load_b32 v30, v[13:14], off
	v_add_co_u32 v2, vcc_lo, s6, v2
	v_add_co_ci_u32_e32 v3, vcc_lo, s7, v3, vcc_lo
	v_add_co_u32 v9, vcc_lo, s6, v11
	v_add_co_ci_u32_e32 v10, vcc_lo, s7, v12, vcc_lo
	s_clause 0x1
	global_load_b32 v2, v[2:3], off
	global_load_b32 v3, v[9:10], off
	ds_load_2addr_b64 v[9:12], v21 offset1:1
	ds_load_2addr_b64 v[13:16], v21 offset0:2 offset1:3
	ds_load_2addr_b64 v[17:20], v21 offset0:4 offset1:5
	;; [unrolled: 1-line block ×3, first 2 shown]
	v_add_nc_u32_e32 v1, 0x800, v1
	s_waitcnt lgkmcnt(1)
	v_sub_f32_e32 v19, v19, v6
	v_sub_f32_e32 v11, v11, v6
	s_waitcnt lgkmcnt(0)
	v_sub_f32_e32 v23, v23, v6
	s_delay_alu instid0(VALU_DEP_3) | instskip(NEXT) | instid1(VALU_DEP_3)
	v_dual_sub_f32 v13, v13, v6 :: v_dual_mul_f32 v36, 0x3fb8aa3b, v19
	v_mul_f32_e32 v32, 0x3fb8aa3b, v11
	s_delay_alu instid0(VALU_DEP_2) | instskip(SKIP_1) | instid1(VALU_DEP_4)
	v_dual_mul_f32 v38, 0x3fb8aa3b, v23 :: v_dual_mul_f32 v33, 0x3fb8aa3b, v13
	v_cmp_ngt_f32_e32 vcc_lo, 0xc2ce8ed0, v13
	v_fma_f32 v49, 0x3fb8aa3b, v19, -v36
	s_delay_alu instid0(VALU_DEP_4) | instskip(SKIP_4) | instid1(VALU_DEP_4)
	v_fma_f32 v41, 0x3fb8aa3b, v11, -v32
	v_rndne_f32_e32 v42, v32
	v_fma_f32 v43, 0x3fb8aa3b, v13, -v33
	v_rndne_f32_e32 v44, v33
	v_rndne_f32_e32 v50, v36
	v_dual_fmac_f32 v41, 0x32a5705f, v11 :: v_dual_sub_f32 v32, v32, v42
	v_sub_f32_e32 v15, v15, v6
	v_fmac_f32_e32 v43, 0x32a5705f, v13
	v_sub_f32_e32 v33, v33, v44
	v_cvt_i32_f32_e32 v42, v42
	v_dual_add_f32 v32, v32, v41 :: v_dual_sub_f32 v9, v9, v6
	v_mul_f32_e32 v34, 0x3fb8aa3b, v15
	s_delay_alu instid0(VALU_DEP_4) | instskip(SKIP_1) | instid1(VALU_DEP_4)
	v_add_f32_e32 v33, v33, v43
	v_cvt_i32_f32_e32 v44, v44
	v_exp_f32_e32 v32, v32
	v_mul_f32_e32 v31, 0x3fb8aa3b, v9
	v_fma_f32 v45, 0x3fb8aa3b, v15, -v34
	v_rndne_f32_e32 v46, v34
	v_exp_f32_e32 v33, v33
	v_cmp_ngt_f32_e64 s5, 0xc2ce8ed0, v9
	v_fma_f32 v39, 0x3fb8aa3b, v9, -v31
	v_rndne_f32_e32 v40, v31
	v_dual_fmac_f32 v45, 0x32a5705f, v15 :: v_dual_sub_f32 v34, v34, v46
	v_sub_f32_e32 v17, v17, v6
	s_delay_alu instid0(VALU_DEP_4) | instskip(NEXT) | instid1(VALU_DEP_4)
	v_fmac_f32_e32 v39, 0x32a5705f, v9
	v_sub_f32_e32 v31, v31, v40
	v_cvt_i32_f32_e32 v40, v40
	v_add_f32_e32 v34, v34, v45
	v_ldexp_f32 v32, v32, v42
	v_ldexp_f32 v33, v33, v44
	v_add_f32_e32 v31, v31, v39
	v_cvt_i32_f32_e32 v46, v46
	v_exp_f32_e32 v34, v34
	v_cmp_ngt_f32_e64 s0, 0xc2ce8ed0, v15
	v_fmac_f32_e32 v49, 0x32a5705f, v19
	v_exp_f32_e32 v31, v31
	v_sub_f32_e32 v36, v36, v50
	v_cvt_i32_f32_e32 v50, v50
	v_cmp_ngt_f32_e64 s1, 0xc2ce8ed0, v17
	v_rndne_f32_e32 v54, v38
	s_delay_alu instid0(VALU_DEP_4) | instskip(NEXT) | instid1(TRANS32_DEP_2)
	v_add_f32_e32 v36, v36, v49
	v_ldexp_f32 v34, v34, v46
	v_cmp_ngt_f32_e64 s2, 0xc2ce8ed0, v19
	s_delay_alu instid0(TRANS32_DEP_1) | instskip(NEXT) | instid1(VALU_DEP_4)
	v_ldexp_f32 v31, v31, v40
	v_exp_f32_e32 v36, v36
	s_delay_alu instid0(VALU_DEP_1) | instskip(SKIP_1) | instid1(VALU_DEP_1)
	v_cndmask_b32_e64 v31, 0, v31, s5
	v_cmp_ngt_f32_e64 s5, 0xc2ce8ed0, v11
	v_cndmask_b32_e64 v32, 0, v32, s5
	v_cmp_nlt_f32_e64 s5, 0x42b17218, v9
	s_waitcnt_depctr 0xfff
	v_ldexp_f32 v36, v36, v50
	v_cndmask_b32_e64 v9, 0x7f800000, v31, s5
	v_cndmask_b32_e32 v31, 0, v33, vcc_lo
	v_cmp_nlt_f32_e32 vcc_lo, 0x42b17218, v11
	s_delay_alu instid0(VALU_DEP_3) | instskip(SKIP_1) | instid1(VALU_DEP_2)
	v_dual_fmac_f32 v8, v9, v10 :: v_dual_cndmask_b32 v11, 0x7f800000, v32
	v_cmp_nlt_f32_e32 vcc_lo, 0x42b17218, v13
	v_fmac_f32_e32 v8, v11, v12
	v_cndmask_b32_e32 v10, 0x7f800000, v31, vcc_lo
	v_cmp_nlt_f32_e32 vcc_lo, 0x42b17218, v15
	v_fma_f32 v53, 0x3fb8aa3b, v23, -v38
	v_sub_f32_e32 v38, v38, v54
	v_cvt_i32_f32_e32 v54, v54
	v_fmac_f32_e32 v8, v10, v14
	v_cmp_ngt_f32_e64 s4, 0xc2ce8ed0, v23
	v_fmac_f32_e32 v53, 0x32a5705f, v23
	s_delay_alu instid0(VALU_DEP_1) | instskip(NEXT) | instid1(VALU_DEP_1)
	v_dual_sub_f32 v21, v21, v6 :: v_dual_add_f32 v38, v38, v53
	v_cmp_ngt_f32_e64 s3, 0xc2ce8ed0, v21
	s_delay_alu instid0(VALU_DEP_2)
	v_exp_f32_e32 v38, v38
	s_waitcnt_depctr 0xfff
	v_ldexp_f32 v38, v38, v54
	s_waitcnt vmcnt(7)
	v_fmac_f32_e32 v7, v25, v9
	v_cndmask_b32_e64 v9, 0, v34, s0
	s_delay_alu instid0(VALU_DEP_1) | instskip(SKIP_1) | instid1(VALU_DEP_3)
	v_cndmask_b32_e32 v9, 0x7f800000, v9, vcc_lo
	s_waitcnt vmcnt(6)
	v_fmac_f32_e32 v7, v26, v11
	v_cmp_nlt_f32_e32 vcc_lo, 0x42b17218, v17
	s_delay_alu instid0(VALU_DEP_3) | instskip(SKIP_1) | instid1(VALU_DEP_3)
	v_dual_fmac_f32 v8, v9, v16 :: v_dual_mul_f32 v35, 0x3fb8aa3b, v17
	s_waitcnt vmcnt(5)
	v_fmac_f32_e32 v7, v27, v10
	s_delay_alu instid0(VALU_DEP_2) | instskip(SKIP_2) | instid1(VALU_DEP_3)
	v_fma_f32 v47, 0x3fb8aa3b, v17, -v35
	v_rndne_f32_e32 v48, v35
	v_cndmask_b32_e64 v10, 0, v36, s2
	v_fmac_f32_e32 v47, 0x32a5705f, v17
	s_delay_alu instid0(VALU_DEP_3) | instskip(SKIP_1) | instid1(VALU_DEP_2)
	v_sub_f32_e32 v35, v35, v48
	v_cvt_i32_f32_e32 v48, v48
	v_add_f32_e32 v35, v35, v47
	s_waitcnt vmcnt(4)
	v_fmac_f32_e32 v7, v28, v9
	s_delay_alu instid0(VALU_DEP_2) | instskip(SKIP_2) | instid1(VALU_DEP_1)
	v_exp_f32_e32 v35, v35
	s_waitcnt_depctr 0xfff
	v_ldexp_f32 v35, v35, v48
	v_cndmask_b32_e64 v11, 0, v35, s1
	s_delay_alu instid0(VALU_DEP_1) | instskip(SKIP_1) | instid1(VALU_DEP_2)
	v_cndmask_b32_e32 v11, 0x7f800000, v11, vcc_lo
	v_cmp_nlt_f32_e32 vcc_lo, 0x42b17218, v19
	v_fmac_f32_e32 v8, v11, v18
	v_cndmask_b32_e32 v10, 0x7f800000, v10, vcc_lo
	v_mul_f32_e32 v37, 0x3fb8aa3b, v21
	s_waitcnt vmcnt(3)
	v_fmac_f32_e32 v7, v29, v11
	v_cmp_nlt_f32_e32 vcc_lo, 0x42b17218, v21
	v_cndmask_b32_e64 v11, 0, v38, s4
	v_fmac_f32_e32 v8, v10, v20
	v_fma_f32 v51, 0x3fb8aa3b, v21, -v37
	v_rndne_f32_e32 v52, v37
	s_waitcnt vmcnt(2)
	v_fmac_f32_e32 v7, v30, v10
	s_delay_alu instid0(VALU_DEP_3) | instskip(NEXT) | instid1(VALU_DEP_3)
	v_fmac_f32_e32 v51, 0x32a5705f, v21
	v_sub_f32_e32 v37, v37, v52
	v_cvt_i32_f32_e32 v52, v52
	s_delay_alu instid0(VALU_DEP_2) | instskip(NEXT) | instid1(VALU_DEP_1)
	v_add_f32_e32 v37, v37, v51
	v_exp_f32_e32 v37, v37
	s_waitcnt_depctr 0xfff
	v_ldexp_f32 v37, v37, v52
	s_delay_alu instid0(VALU_DEP_1) | instskip(NEXT) | instid1(VALU_DEP_1)
	v_cndmask_b32_e64 v9, 0, v37, s3
	v_cndmask_b32_e32 v9, 0x7f800000, v9, vcc_lo
	v_cmp_nlt_f32_e32 vcc_lo, 0x42b17218, v23
	s_delay_alu instid0(VALU_DEP_2) | instskip(SKIP_3) | instid1(VALU_DEP_1)
	v_fmac_f32_e32 v8, v9, v22
	s_waitcnt vmcnt(1)
	v_dual_cndmask_b32 v10, 0x7f800000, v11 :: v_dual_fmac_f32 v7, v2, v9
	s_waitcnt vmcnt(0)
	v_dual_fmac_f32 v8, v10, v24 :: v_dual_fmac_f32 v7, v3, v10
	s_cbranch_scc0 .LBB33_14
; %bb.15:
	s_and_b32 s0, s11, 7
	s_delay_alu instid0(SALU_CYCLE_1)
	s_cmp_eq_u32 s0, 0
	s_cbranch_scc0 .LBB33_18
	s_branch .LBB33_20
.LBB33_16:
	v_mov_b32_e32 v0, 0x7fc00000
	s_branch .LBB33_21
.LBB33_17:
	v_mov_b32_e32 v8, 0
	s_mov_b32 s12, 0
	s_and_b32 s0, s11, 7
	s_delay_alu instid0(SALU_CYCLE_1)
	s_cmp_eq_u32 s0, 0
	s_cbranch_scc1 .LBB33_20
.LBB33_18:
	v_lshl_or_b32 v0, s12, 8, v0
	v_mov_b32_e32 v1, 0
	s_lshl_b32 s1, s12, 3
	s_delay_alu instid0(SALU_CYCLE_1)
	s_add_i32 s1, s1, 0
	s_set_inst_prefetch_distance 0x1
	.p2align	6
.LBB33_19:                              ; =>This Inner Loop Header: Depth=1
	s_delay_alu instid0(VALU_DEP_1) | instskip(SKIP_2) | instid1(VALU_DEP_2)
	v_lshlrev_b64 v[2:3], 2, v[0:1]
	s_add_i32 s0, s0, -1
	v_add_nc_u32_e32 v0, 0x100, v0
	v_add_co_u32 v2, vcc_lo, s6, v2
	s_delay_alu instid0(VALU_DEP_3)
	v_add_co_ci_u32_e32 v3, vcc_lo, s7, v3, vcc_lo
	global_load_b32 v4, v[2:3], off
	v_mov_b32_e32 v2, s1
	s_add_i32 s1, s1, 8
	s_cmp_lg_u32 s0, 0
	ds_load_b64 v[2:3], v2
	s_waitcnt lgkmcnt(0)
	v_sub_f32_e32 v2, v2, v6
	s_delay_alu instid0(VALU_DEP_1) | instskip(SKIP_1) | instid1(VALU_DEP_2)
	v_mul_f32_e32 v9, 0x3fb8aa3b, v2
	v_cmp_ngt_f32_e32 vcc_lo, 0xc2ce8ed0, v2
	v_fma_f32 v10, 0x3fb8aa3b, v2, -v9
	v_rndne_f32_e32 v11, v9
	s_delay_alu instid0(VALU_DEP_1) | instskip(NEXT) | instid1(VALU_DEP_1)
	v_dual_fmac_f32 v10, 0x32a5705f, v2 :: v_dual_sub_f32 v9, v9, v11
	v_add_f32_e32 v9, v9, v10
	v_cvt_i32_f32_e32 v10, v11
	s_delay_alu instid0(VALU_DEP_2) | instskip(SKIP_2) | instid1(VALU_DEP_1)
	v_exp_f32_e32 v9, v9
	s_waitcnt_depctr 0xfff
	v_ldexp_f32 v9, v9, v10
	v_cndmask_b32_e32 v9, 0, v9, vcc_lo
	v_cmp_nlt_f32_e32 vcc_lo, 0x42b17218, v2
	s_delay_alu instid0(VALU_DEP_2) | instskip(SKIP_1) | instid1(VALU_DEP_1)
	v_cndmask_b32_e32 v2, 0x7f800000, v9, vcc_lo
	s_waitcnt vmcnt(0)
	v_dual_fmac_f32 v8, v2, v3 :: v_dual_fmac_f32 v7, v4, v2
	s_cbranch_scc1 .LBB33_19
.LBB33_20:
	s_set_inst_prefetch_distance 0x2
	s_delay_alu instid0(VALU_DEP_1) | instskip(NEXT) | instid1(VALU_DEP_1)
	v_div_scale_f32 v0, null, v8, v8, v7
	v_rcp_f32_e32 v1, v0
	s_waitcnt_depctr 0xfff
	v_fma_f32 v2, -v0, v1, 1.0
	s_delay_alu instid0(VALU_DEP_1) | instskip(SKIP_1) | instid1(VALU_DEP_1)
	v_fmac_f32_e32 v1, v2, v1
	v_div_scale_f32 v2, vcc_lo, v7, v8, v7
	v_mul_f32_e32 v3, v2, v1
	s_delay_alu instid0(VALU_DEP_1) | instskip(NEXT) | instid1(VALU_DEP_1)
	v_fma_f32 v4, -v0, v3, v2
	v_fmac_f32_e32 v3, v4, v1
	s_delay_alu instid0(VALU_DEP_1) | instskip(NEXT) | instid1(VALU_DEP_1)
	v_fma_f32 v0, -v0, v3, v2
	v_div_fmas_f32 v0, v0, v1, v3
	s_delay_alu instid0(VALU_DEP_1)
	v_div_fixup_f32 v0, v0, v8, v7
.LBB33_21:
	s_lshl_b32 s0, s10, 8
	s_delay_alu instid0(SALU_CYCLE_1) | instskip(NEXT) | instid1(SALU_CYCLE_1)
	s_ashr_i32 s1, s0, 31
	s_lshl_b64 s[0:1], s[0:1], 2
	s_delay_alu instid0(SALU_CYCLE_1)
	s_add_u32 s0, s8, s0
	s_addc_u32 s1, s9, s1
	global_store_b32 v5, v0, s[0:1]
	s_nop 0
	s_sendmsg sendmsg(MSG_DEALLOC_VGPRS)
	s_endpgm
	.section	.rodata,"a",@progbits
	.p2align	6, 0x0
	.amdhsa_kernel _ZL26flash_attn_combine_resultsILi256EEvPKfPK15HIP_vector_typeIfLj2EEPfi
		.amdhsa_group_segment_fixed_size 0
		.amdhsa_private_segment_fixed_size 0
		.amdhsa_kernarg_size 288
		.amdhsa_user_sgpr_count 13
		.amdhsa_user_sgpr_dispatch_ptr 0
		.amdhsa_user_sgpr_queue_ptr 0
		.amdhsa_user_sgpr_kernarg_segment_ptr 1
		.amdhsa_user_sgpr_dispatch_id 0
		.amdhsa_user_sgpr_private_segment_size 0
		.amdhsa_wavefront_size32 1
		.amdhsa_uses_dynamic_stack 0
		.amdhsa_enable_private_segment 0
		.amdhsa_system_sgpr_workgroup_id_x 1
		.amdhsa_system_sgpr_workgroup_id_y 1
		.amdhsa_system_sgpr_workgroup_id_z 1
		.amdhsa_system_sgpr_workgroup_info 0
		.amdhsa_system_vgpr_workitem_id 0
		.amdhsa_next_free_vgpr 55
		.amdhsa_next_free_sgpr 16
		.amdhsa_reserve_vcc 1
		.amdhsa_float_round_mode_32 0
		.amdhsa_float_round_mode_16_64 0
		.amdhsa_float_denorm_mode_32 3
		.amdhsa_float_denorm_mode_16_64 3
		.amdhsa_dx10_clamp 1
		.amdhsa_ieee_mode 1
		.amdhsa_fp16_overflow 0
		.amdhsa_workgroup_processor_mode 1
		.amdhsa_memory_ordered 1
		.amdhsa_forward_progress 0
		.amdhsa_shared_vgpr_count 0
		.amdhsa_exception_fp_ieee_invalid_op 0
		.amdhsa_exception_fp_denorm_src 0
		.amdhsa_exception_fp_ieee_div_zero 0
		.amdhsa_exception_fp_ieee_overflow 0
		.amdhsa_exception_fp_ieee_underflow 0
		.amdhsa_exception_fp_ieee_inexact 0
		.amdhsa_exception_int_div_zero 0
	.end_amdhsa_kernel
	.section	.text._ZL26flash_attn_combine_resultsILi256EEvPKfPK15HIP_vector_typeIfLj2EEPfi,"axG",@progbits,_ZL26flash_attn_combine_resultsILi256EEvPKfPK15HIP_vector_typeIfLj2EEPfi,comdat
.Lfunc_end33:
	.size	_ZL26flash_attn_combine_resultsILi256EEvPKfPK15HIP_vector_typeIfLj2EEPfi, .Lfunc_end33-_ZL26flash_attn_combine_resultsILi256EEvPKfPK15HIP_vector_typeIfLj2EEPfi
                                        ; -- End function
	.section	.AMDGPU.csdata,"",@progbits
; Kernel info:
; codeLenInByte = 2352
; NumSgprs: 18
; NumVgprs: 55
; ScratchSize: 0
; MemoryBound: 0
; FloatMode: 240
; IeeeMode: 1
; LDSByteSize: 0 bytes/workgroup (compile time only)
; SGPRBlocks: 2
; VGPRBlocks: 6
; NumSGPRsForWavesPerEU: 18
; NumVGPRsForWavesPerEU: 55
; Occupancy: 16
; WaveLimiterHint : 0
; COMPUTE_PGM_RSRC2:SCRATCH_EN: 0
; COMPUTE_PGM_RSRC2:USER_SGPR: 13
; COMPUTE_PGM_RSRC2:TRAP_HANDLER: 0
; COMPUTE_PGM_RSRC2:TGID_X_EN: 1
; COMPUTE_PGM_RSRC2:TGID_Y_EN: 1
; COMPUTE_PGM_RSRC2:TGID_Z_EN: 1
; COMPUTE_PGM_RSRC2:TIDIG_COMP_CNT: 0
	.section	.text._ZL18flash_attn_ext_f16ILi512ELi512ELi8ELi4ELb0ELb0EEvPKcS1_S1_S1_S1_PKiPfP15HIP_vector_typeIfLj2EEffffjfiS5_IjLj3EEiiiiiiiiiiiliiliiiiil,"axG",@progbits,_ZL18flash_attn_ext_f16ILi512ELi512ELi8ELi4ELb0ELb0EEvPKcS1_S1_S1_S1_PKiPfP15HIP_vector_typeIfLj2EEffffjfiS5_IjLj3EEiiiiiiiiiiiliiliiiiil,comdat
	.globl	_ZL18flash_attn_ext_f16ILi512ELi512ELi8ELi4ELb0ELb0EEvPKcS1_S1_S1_S1_PKiPfP15HIP_vector_typeIfLj2EEffffjfiS5_IjLj3EEiiiiiiiiiiiliiliiiiil ; -- Begin function _ZL18flash_attn_ext_f16ILi512ELi512ELi8ELi4ELb0ELb0EEvPKcS1_S1_S1_S1_PKiPfP15HIP_vector_typeIfLj2EEffffjfiS5_IjLj3EEiiiiiiiiiiiliiliiiiil
	.p2align	8
	.type	_ZL18flash_attn_ext_f16ILi512ELi512ELi8ELi4ELb0ELb0EEvPKcS1_S1_S1_S1_PKiPfP15HIP_vector_typeIfLj2EEffffjfiS5_IjLj3EEiiiiiiiiiiiliiliiiiil,@function
_ZL18flash_attn_ext_f16ILi512ELi512ELi8ELi4ELb0ELb0EEvPKcS1_S1_S1_S1_PKiPfP15HIP_vector_typeIfLj2EEffffjfiS5_IjLj3EEiiiiiiiiiiiliiliiiiil: ; @_ZL18flash_attn_ext_f16ILi512ELi512ELi8ELi4ELb0ELb0EEvPKcS1_S1_S1_S1_PKiPfP15HIP_vector_typeIfLj2EEffffjfiS5_IjLj3EEiiiiiiiiiiiliiliiiiil
; %bb.0:
	v_mov_b32_e32 v0, 0x6e3
	s_add_u32 s8, s0, 0xd0
	s_addc_u32 s9, s1, 0
	s_mov_b32 s32, 0
	s_getpc_b64 s[0:1]
	s_add_u32 s0, s0, _ZL14no_device_codePKciS0_iS0_@rel32@lo+4
	s_addc_u32 s1, s1, _ZL14no_device_codePKciS0_iS0_@rel32@hi+12
	s_delay_alu instid0(SALU_CYCLE_1)
	s_swappc_b64 s[30:31], s[0:1]
	.section	.rodata,"a",@progbits
	.p2align	6, 0x0
	.amdhsa_kernel _ZL18flash_attn_ext_f16ILi512ELi512ELi8ELi4ELb0ELb0EEvPKcS1_S1_S1_S1_PKiPfP15HIP_vector_typeIfLj2EEffffjfiS5_IjLj3EEiiiiiiiiiiiliiliiiiil
		.amdhsa_group_segment_fixed_size 0
		.amdhsa_private_segment_fixed_size 16
		.amdhsa_kernarg_size 464
		.amdhsa_user_sgpr_count 15
		.amdhsa_user_sgpr_dispatch_ptr 0
		.amdhsa_user_sgpr_queue_ptr 0
		.amdhsa_user_sgpr_kernarg_segment_ptr 1
		.amdhsa_user_sgpr_dispatch_id 0
		.amdhsa_user_sgpr_private_segment_size 0
		.amdhsa_wavefront_size32 1
		.amdhsa_uses_dynamic_stack 0
		.amdhsa_enable_private_segment 1
		.amdhsa_system_sgpr_workgroup_id_x 1
		.amdhsa_system_sgpr_workgroup_id_y 0
		.amdhsa_system_sgpr_workgroup_id_z 0
		.amdhsa_system_sgpr_workgroup_info 0
		.amdhsa_system_vgpr_workitem_id 0
		.amdhsa_next_free_vgpr 37
		.amdhsa_next_free_sgpr 34
		.amdhsa_reserve_vcc 1
		.amdhsa_float_round_mode_32 0
		.amdhsa_float_round_mode_16_64 0
		.amdhsa_float_denorm_mode_32 3
		.amdhsa_float_denorm_mode_16_64 3
		.amdhsa_dx10_clamp 1
		.amdhsa_ieee_mode 1
		.amdhsa_fp16_overflow 0
		.amdhsa_workgroup_processor_mode 1
		.amdhsa_memory_ordered 1
		.amdhsa_forward_progress 0
		.amdhsa_shared_vgpr_count 0
		.amdhsa_exception_fp_ieee_invalid_op 0
		.amdhsa_exception_fp_denorm_src 0
		.amdhsa_exception_fp_ieee_div_zero 0
		.amdhsa_exception_fp_ieee_overflow 0
		.amdhsa_exception_fp_ieee_underflow 0
		.amdhsa_exception_fp_ieee_inexact 0
		.amdhsa_exception_int_div_zero 0
	.end_amdhsa_kernel
	.section	.text._ZL18flash_attn_ext_f16ILi512ELi512ELi8ELi4ELb0ELb0EEvPKcS1_S1_S1_S1_PKiPfP15HIP_vector_typeIfLj2EEffffjfiS5_IjLj3EEiiiiiiiiiiiliiliiiiil,"axG",@progbits,_ZL18flash_attn_ext_f16ILi512ELi512ELi8ELi4ELb0ELb0EEvPKcS1_S1_S1_S1_PKiPfP15HIP_vector_typeIfLj2EEffffjfiS5_IjLj3EEiiiiiiiiiiiliiliiiiil,comdat
.Lfunc_end34:
	.size	_ZL18flash_attn_ext_f16ILi512ELi512ELi8ELi4ELb0ELb0EEvPKcS1_S1_S1_S1_PKiPfP15HIP_vector_typeIfLj2EEffffjfiS5_IjLj3EEiiiiiiiiiiiliiliiiiil, .Lfunc_end34-_ZL18flash_attn_ext_f16ILi512ELi512ELi8ELi4ELb0ELb0EEvPKcS1_S1_S1_S1_PKiPfP15HIP_vector_typeIfLj2EEffffjfiS5_IjLj3EEiiiiiiiiiiiliiliiiiil
                                        ; -- End function
	.section	.AMDGPU.csdata,"",@progbits
; Kernel info:
; codeLenInByte = 52
; NumSgprs: 36
; NumVgprs: 37
; ScratchSize: 16
; MemoryBound: 0
; FloatMode: 240
; IeeeMode: 1
; LDSByteSize: 0 bytes/workgroup (compile time only)
; SGPRBlocks: 4
; VGPRBlocks: 4
; NumSGPRsForWavesPerEU: 36
; NumVGPRsForWavesPerEU: 37
; Occupancy: 16
; WaveLimiterHint : 1
; COMPUTE_PGM_RSRC2:SCRATCH_EN: 1
; COMPUTE_PGM_RSRC2:USER_SGPR: 15
; COMPUTE_PGM_RSRC2:TRAP_HANDLER: 0
; COMPUTE_PGM_RSRC2:TGID_X_EN: 1
; COMPUTE_PGM_RSRC2:TGID_Y_EN: 0
; COMPUTE_PGM_RSRC2:TGID_Z_EN: 0
; COMPUTE_PGM_RSRC2:TIDIG_COMP_CNT: 0
	.section	.text._ZL18flash_attn_ext_f16ILi512ELi512ELi8ELi4ELb1ELb0EEvPKcS1_S1_S1_S1_PKiPfP15HIP_vector_typeIfLj2EEffffjfiS5_IjLj3EEiiiiiiiiiiiliiliiiiil,"axG",@progbits,_ZL18flash_attn_ext_f16ILi512ELi512ELi8ELi4ELb1ELb0EEvPKcS1_S1_S1_S1_PKiPfP15HIP_vector_typeIfLj2EEffffjfiS5_IjLj3EEiiiiiiiiiiiliiliiiiil,comdat
	.globl	_ZL18flash_attn_ext_f16ILi512ELi512ELi8ELi4ELb1ELb0EEvPKcS1_S1_S1_S1_PKiPfP15HIP_vector_typeIfLj2EEffffjfiS5_IjLj3EEiiiiiiiiiiiliiliiiiil ; -- Begin function _ZL18flash_attn_ext_f16ILi512ELi512ELi8ELi4ELb1ELb0EEvPKcS1_S1_S1_S1_PKiPfP15HIP_vector_typeIfLj2EEffffjfiS5_IjLj3EEiiiiiiiiiiiliiliiiiil
	.p2align	8
	.type	_ZL18flash_attn_ext_f16ILi512ELi512ELi8ELi4ELb1ELb0EEvPKcS1_S1_S1_S1_PKiPfP15HIP_vector_typeIfLj2EEffffjfiS5_IjLj3EEiiiiiiiiiiiliiliiiiil,@function
_ZL18flash_attn_ext_f16ILi512ELi512ELi8ELi4ELb1ELb0EEvPKcS1_S1_S1_S1_PKiPfP15HIP_vector_typeIfLj2EEffffjfiS5_IjLj3EEiiiiiiiiiiiliiliiiiil: ; @_ZL18flash_attn_ext_f16ILi512ELi512ELi8ELi4ELb1ELb0EEvPKcS1_S1_S1_S1_PKiPfP15HIP_vector_typeIfLj2EEffffjfiS5_IjLj3EEiiiiiiiiiiiliiliiiiil
; %bb.0:
	v_mov_b32_e32 v0, 0x6e3
	s_add_u32 s8, s0, 0xd0
	s_addc_u32 s9, s1, 0
	s_mov_b32 s32, 0
	s_getpc_b64 s[0:1]
	s_add_u32 s0, s0, _ZL14no_device_codePKciS0_iS0_@rel32@lo+4
	s_addc_u32 s1, s1, _ZL14no_device_codePKciS0_iS0_@rel32@hi+12
	s_delay_alu instid0(SALU_CYCLE_1)
	s_swappc_b64 s[30:31], s[0:1]
	.section	.rodata,"a",@progbits
	.p2align	6, 0x0
	.amdhsa_kernel _ZL18flash_attn_ext_f16ILi512ELi512ELi8ELi4ELb1ELb0EEvPKcS1_S1_S1_S1_PKiPfP15HIP_vector_typeIfLj2EEffffjfiS5_IjLj3EEiiiiiiiiiiiliiliiiiil
		.amdhsa_group_segment_fixed_size 0
		.amdhsa_private_segment_fixed_size 16
		.amdhsa_kernarg_size 464
		.amdhsa_user_sgpr_count 15
		.amdhsa_user_sgpr_dispatch_ptr 0
		.amdhsa_user_sgpr_queue_ptr 0
		.amdhsa_user_sgpr_kernarg_segment_ptr 1
		.amdhsa_user_sgpr_dispatch_id 0
		.amdhsa_user_sgpr_private_segment_size 0
		.amdhsa_wavefront_size32 1
		.amdhsa_uses_dynamic_stack 0
		.amdhsa_enable_private_segment 1
		.amdhsa_system_sgpr_workgroup_id_x 1
		.amdhsa_system_sgpr_workgroup_id_y 0
		.amdhsa_system_sgpr_workgroup_id_z 0
		.amdhsa_system_sgpr_workgroup_info 0
		.amdhsa_system_vgpr_workitem_id 0
		.amdhsa_next_free_vgpr 37
		.amdhsa_next_free_sgpr 34
		.amdhsa_reserve_vcc 1
		.amdhsa_float_round_mode_32 0
		.amdhsa_float_round_mode_16_64 0
		.amdhsa_float_denorm_mode_32 3
		.amdhsa_float_denorm_mode_16_64 3
		.amdhsa_dx10_clamp 1
		.amdhsa_ieee_mode 1
		.amdhsa_fp16_overflow 0
		.amdhsa_workgroup_processor_mode 1
		.amdhsa_memory_ordered 1
		.amdhsa_forward_progress 0
		.amdhsa_shared_vgpr_count 0
		.amdhsa_exception_fp_ieee_invalid_op 0
		.amdhsa_exception_fp_denorm_src 0
		.amdhsa_exception_fp_ieee_div_zero 0
		.amdhsa_exception_fp_ieee_overflow 0
		.amdhsa_exception_fp_ieee_underflow 0
		.amdhsa_exception_fp_ieee_inexact 0
		.amdhsa_exception_int_div_zero 0
	.end_amdhsa_kernel
	.section	.text._ZL18flash_attn_ext_f16ILi512ELi512ELi8ELi4ELb1ELb0EEvPKcS1_S1_S1_S1_PKiPfP15HIP_vector_typeIfLj2EEffffjfiS5_IjLj3EEiiiiiiiiiiiliiliiiiil,"axG",@progbits,_ZL18flash_attn_ext_f16ILi512ELi512ELi8ELi4ELb1ELb0EEvPKcS1_S1_S1_S1_PKiPfP15HIP_vector_typeIfLj2EEffffjfiS5_IjLj3EEiiiiiiiiiiiliiliiiiil,comdat
.Lfunc_end35:
	.size	_ZL18flash_attn_ext_f16ILi512ELi512ELi8ELi4ELb1ELb0EEvPKcS1_S1_S1_S1_PKiPfP15HIP_vector_typeIfLj2EEffffjfiS5_IjLj3EEiiiiiiiiiiiliiliiiiil, .Lfunc_end35-_ZL18flash_attn_ext_f16ILi512ELi512ELi8ELi4ELb1ELb0EEvPKcS1_S1_S1_S1_PKiPfP15HIP_vector_typeIfLj2EEffffjfiS5_IjLj3EEiiiiiiiiiiiliiliiiiil
                                        ; -- End function
	.section	.AMDGPU.csdata,"",@progbits
; Kernel info:
; codeLenInByte = 52
; NumSgprs: 36
; NumVgprs: 37
; ScratchSize: 16
; MemoryBound: 0
; FloatMode: 240
; IeeeMode: 1
; LDSByteSize: 0 bytes/workgroup (compile time only)
; SGPRBlocks: 4
; VGPRBlocks: 4
; NumSGPRsForWavesPerEU: 36
; NumVGPRsForWavesPerEU: 37
; Occupancy: 16
; WaveLimiterHint : 1
; COMPUTE_PGM_RSRC2:SCRATCH_EN: 1
; COMPUTE_PGM_RSRC2:USER_SGPR: 15
; COMPUTE_PGM_RSRC2:TRAP_HANDLER: 0
; COMPUTE_PGM_RSRC2:TGID_X_EN: 1
; COMPUTE_PGM_RSRC2:TGID_Y_EN: 0
; COMPUTE_PGM_RSRC2:TGID_Z_EN: 0
; COMPUTE_PGM_RSRC2:TIDIG_COMP_CNT: 0
	.section	.text._ZL33flash_attn_stream_k_fixup_uniformILi512ELi8ELi4EEvPfPK15HIP_vector_typeIfLj2EEiiiiiiS1_IjLj3EES5_S5_,"axG",@progbits,_ZL33flash_attn_stream_k_fixup_uniformILi512ELi8ELi4EEvPfPK15HIP_vector_typeIfLj2EEiiiiiiS1_IjLj3EES5_S5_,comdat
	.globl	_ZL33flash_attn_stream_k_fixup_uniformILi512ELi8ELi4EEvPfPK15HIP_vector_typeIfLj2EEiiiiiiS1_IjLj3EES5_S5_ ; -- Begin function _ZL33flash_attn_stream_k_fixup_uniformILi512ELi8ELi4EEvPfPK15HIP_vector_typeIfLj2EEiiiiiiS1_IjLj3EES5_S5_
	.p2align	8
	.type	_ZL33flash_attn_stream_k_fixup_uniformILi512ELi8ELi4EEvPfPK15HIP_vector_typeIfLj2EEiiiiiiS1_IjLj3EES5_S5_,@function
_ZL33flash_attn_stream_k_fixup_uniformILi512ELi8ELi4EEvPfPK15HIP_vector_typeIfLj2EEiiiiiiS1_IjLj3EES5_S5_: ; @_ZL33flash_attn_stream_k_fixup_uniformILi512ELi8ELi4EEvPfPK15HIP_vector_typeIfLj2EEiiiiiiS1_IjLj3EES5_S5_
; %bb.0:
	s_clause 0x1
	s_load_b256 s[4:11], s[0:1], 0x1c
	s_load_b128 s[16:19], s[0:1], 0x3c
	s_waitcnt lgkmcnt(0)
	s_mul_hi_u32 s2, s7, s13
	s_delay_alu instid0(SALU_CYCLE_1) | instskip(NEXT) | instid1(SALU_CYCLE_1)
	s_add_i32 s2, s13, s2
	s_lshr_b32 s2, s2, s8
	s_delay_alu instid0(SALU_CYCLE_1) | instskip(SKIP_2) | instid1(SALU_CYCLE_1)
	s_mul_i32 s3, s2, s9
	s_load_b64 s[8:9], s[0:1], 0x10
	s_sub_i32 s7, s13, s3
	s_mul_hi_u32 s3, s7, s10
	s_delay_alu instid0(SALU_CYCLE_1) | instskip(NEXT) | instid1(SALU_CYCLE_1)
	s_add_i32 s3, s7, s3
	s_lshr_b32 s3, s3, s11
	s_delay_alu instid0(SALU_CYCLE_1) | instskip(NEXT) | instid1(SALU_CYCLE_1)
	s_mul_i32 s10, s3, s16
	s_sub_i32 s7, s7, s10
	s_delay_alu instid0(SALU_CYCLE_1) | instskip(NEXT) | instid1(SALU_CYCLE_1)
	s_mul_hi_u32 s10, s7, s17
	s_add_i32 s10, s7, s10
	s_delay_alu instid0(SALU_CYCLE_1) | instskip(NEXT) | instid1(SALU_CYCLE_1)
	s_lshr_b32 s10, s10, s18
	s_mul_i32 s11, s10, s19
	s_lshl_b32 s10, s10, 2
	s_sub_i32 s7, s7, s11
	s_delay_alu instid0(SALU_CYCLE_1) | instskip(NEXT) | instid1(SALU_CYCLE_1)
	s_lshl_b32 s11, s7, 3
	s_add_i32 s11, s11, s14
	s_waitcnt lgkmcnt(0)
	s_cmp_lt_i32 s11, s8
	s_cselect_b32 s11, -1, 0
	s_add_i32 s12, s10, s15
	s_delay_alu instid0(SALU_CYCLE_1) | instskip(SKIP_1) | instid1(SALU_CYCLE_1)
	s_cmp_lt_i32 s12, s5
	s_cselect_b32 s12, -1, 0
	s_and_b32 s11, s11, s12
	s_delay_alu instid0(SALU_CYCLE_1)
	s_and_not1_b32 vcc_lo, exec_lo, s11
	s_cbranch_vccnz .LBB36_6
; %bb.1:
	s_mul_i32 s2, s2, s8
	s_mul_i32 s5, s3, s5
	s_add_i32 s2, s2, s14
	s_mul_i32 s7, s9, s7
	s_mul_i32 s2, s2, s9
	s_lshl_b32 s7, s7, 12
	s_add_i32 s8, s2, s15
	s_load_b128 s[0:3], s[0:1], 0x0
	s_add_i32 s5, s8, s5
	s_lshl_b32 s9, s14, 2
	s_add_i32 s5, s5, s10
	s_delay_alu instid0(SALU_CYCLE_1) | instskip(NEXT) | instid1(SALU_CYCLE_1)
	s_lshl_b32 s5, s5, 9
	s_add_i32 s7, s7, s5
	s_mul_i32 s5, s13, s6
	v_or_b32_e32 v1, s7, v0
	s_add_i32 s10, s5, s6
	s_delay_alu instid0(VALU_DEP_1) | instskip(NEXT) | instid1(VALU_DEP_1)
	v_ashrrev_i32_e32 v2, 31, v1
	v_lshlrev_b64 v[1:2], 2, v[1:2]
	s_waitcnt lgkmcnt(0)
	s_delay_alu instid0(VALU_DEP_1) | instskip(NEXT) | instid1(VALU_DEP_2)
	v_add_co_u32 v1, vcc_lo, s0, v1
	v_add_co_ci_u32_e32 v2, vcc_lo, s1, v2, vcc_lo
	s_add_i32 s0, s9, s15
	s_lshl_b32 s1, s10, 5
	s_delay_alu instid0(SALU_CYCLE_1) | instskip(SKIP_2) | instid1(SALU_CYCLE_1)
	s_add_i32 s0, s0, s1
	global_load_b32 v5, v[1:2], off
	s_sub_i32 s0, s0, 32
	s_ashr_i32 s1, s0, 31
	s_delay_alu instid0(SALU_CYCLE_1) | instskip(NEXT) | instid1(SALU_CYCLE_1)
	s_lshl_b64 s[0:1], s[0:1], 3
	s_add_u32 s0, s2, s0
	s_addc_u32 s1, s3, s1
	s_add_i32 s7, s10, -2
	s_load_b32 s11, s[0:1], 0x4
	s_cmp_lt_i32 s7, s5
	s_cbranch_scc1 .LBB36_4
; %bb.2:
	s_lshl_b32 s16, s4, 7
	s_load_b32 s12, s[0:1], 0x0
	s_ashr_i32 s17, s16, 31
	s_delay_alu instid0(SALU_CYCLE_1) | instskip(NEXT) | instid1(SALU_CYCLE_1)
	s_lshl_b64 s[0:1], s[16:17], 2
	s_add_u32 s7, s2, s0
	s_addc_u32 s8, s3, s1
	s_add_i32 s13, s13, 1
	s_lshl_b32 s0, s14, 11
	s_lshl_b32 s1, s15, 9
	s_mul_i32 s6, s6, s13
	s_add_i32 s0, s1, s0
	s_lshl_b32 s1, s6, 14
	s_delay_alu instid0(SALU_CYCLE_1)
	s_add_i32 s0, s0, s1
	s_lshl_b32 s1, s6, 5
	v_or_b32_e32 v0, s0, v0
	s_lshl_b32 s0, s4, 5
	s_add_i32 s1, s15, s1
	s_waitcnt lgkmcnt(0)
	v_mov_b32_e32 v6, s11
	s_add_i32 s0, s1, s0
	v_dual_mov_b32 v0, s12 :: v_dual_add_nc_u32 v3, 0xffff8000, v0
	s_add_i32 s0, s0, s9
	s_add_i32 s4, s10, -1
	s_sub_i32 s0, s0, 64
.LBB36_3:                               ; =>This Inner Loop Header: Depth=1
	s_delay_alu instid0(VALU_DEP_1) | instskip(SKIP_1) | instid1(SALU_CYCLE_1)
	v_ashrrev_i32_e32 v4, 31, v3
	s_ashr_i32 s1, s0, 31
	s_lshl_b64 s[10:11], s[0:1], 3
	s_delay_alu instid0(SALU_CYCLE_1) | instskip(NEXT) | instid1(VALU_DEP_1)
	s_add_u32 s10, s2, s10
	v_lshlrev_b64 v[7:8], 2, v[3:4]
	s_addc_u32 s11, s3, s11
	s_add_i32 s4, s4, -1
	s_sub_i32 s0, s0, 32
	s_cmp_le_i32 s4, s5
	s_load_b64 s[10:11], s[10:11], 0x0
	v_add_co_u32 v7, vcc_lo, s7, v7
	v_add_co_ci_u32_e32 v8, vcc_lo, s8, v8, vcc_lo
	global_load_b32 v4, v[7:8], off
	v_max_f32_e32 v7, v0, v0
	s_waitcnt lgkmcnt(0)
	v_max_f32_e64 v8, s10, s10
	s_delay_alu instid0(VALU_DEP_1) | instskip(NEXT) | instid1(VALU_DEP_1)
	v_max_f32_e32 v7, v7, v8
	v_sub_f32_e32 v8, s10, v7
	s_delay_alu instid0(VALU_DEP_1) | instskip(NEXT) | instid1(VALU_DEP_1)
	v_dual_sub_f32 v0, v0, v7 :: v_dual_mul_f32 v9, 0x3fb8aa3b, v8
	v_fma_f32 v10, 0x3fb8aa3b, v8, -v9
	v_rndne_f32_e32 v11, v9
	s_delay_alu instid0(VALU_DEP_3) | instskip(NEXT) | instid1(VALU_DEP_2)
	v_mul_f32_e32 v12, 0x3fb8aa3b, v0
	v_dual_fmac_f32 v10, 0x32a5705f, v8 :: v_dual_sub_f32 v9, v9, v11
	v_cvt_i32_f32_e32 v11, v11
	s_delay_alu instid0(VALU_DEP_3) | instskip(SKIP_1) | instid1(VALU_DEP_4)
	v_fma_f32 v13, 0x3fb8aa3b, v0, -v12
	v_rndne_f32_e32 v14, v12
	v_add_f32_e32 v9, v9, v10
	v_cmp_ngt_f32_e32 vcc_lo, 0xc2ce8ed0, v8
	s_delay_alu instid0(VALU_DEP_3) | instskip(NEXT) | instid1(VALU_DEP_3)
	v_sub_f32_e32 v10, v12, v14
	v_exp_f32_e32 v9, v9
	s_waitcnt_depctr 0xfff
	v_ldexp_f32 v9, v9, v11
	v_cvt_i32_f32_e32 v11, v14
	s_delay_alu instid0(VALU_DEP_2) | instskip(SKIP_1) | instid1(VALU_DEP_2)
	v_cndmask_b32_e32 v9, 0, v9, vcc_lo
	v_cmp_nlt_f32_e32 vcc_lo, 0x42b17218, v8
	v_cndmask_b32_e32 v9, 0x7f800000, v9, vcc_lo
	v_cmp_ngt_f32_e32 vcc_lo, 0xc2ce8ed0, v0
	v_fmac_f32_e32 v13, 0x32a5705f, v0
	s_delay_alu instid0(VALU_DEP_1) | instskip(NEXT) | instid1(VALU_DEP_1)
	v_add_f32_e32 v10, v10, v13
	v_exp_f32_e32 v10, v10
	s_waitcnt_depctr 0xfff
	v_ldexp_f32 v10, v10, v11
	s_delay_alu instid0(VALU_DEP_1)
	v_dual_mov_b32 v11, v6 :: v_dual_cndmask_b32 v10, 0, v10
	v_cmp_le_f32_e32 vcc_lo, 0xc1a00000, v8
	s_waitcnt vmcnt(1)
	v_dual_cndmask_b32 v8, 0, v9 :: v_dual_mov_b32 v9, v5
	v_cmp_nlt_f32_e32 vcc_lo, 0x42b17218, v0
	v_cndmask_b32_e32 v5, 0x7f800000, v10, vcc_lo
	s_delay_alu instid0(VALU_DEP_3) | instskip(SKIP_2) | instid1(VALU_DEP_3)
	v_mul_f32_e32 v10, s11, v8
	v_cmp_le_f32_e32 vcc_lo, 0xc1a00000, v0
	v_mov_b32_e32 v0, v7
	v_mov_b32_e32 v6, v10
	s_waitcnt vmcnt(0)
	v_dual_cndmask_b32 v12, 0, v5 :: v_dual_mul_f32 v5, v4, v8
	s_delay_alu instid0(VALU_DEP_1) | instskip(NEXT) | instid1(VALU_DEP_2)
	v_dual_fmac_f32 v6, v11, v12 :: v_dual_add_nc_u32 v3, 0xffffc000, v3
	v_fmac_f32_e32 v5, v9, v12
	s_cbranch_scc0 .LBB36_3
	s_branch .LBB36_5
.LBB36_4:
	s_waitcnt lgkmcnt(0)
	v_mov_b32_e32 v6, s11
.LBB36_5:
	s_waitcnt vmcnt(0)
	s_delay_alu instid0(VALU_DEP_1) | instskip(NEXT) | instid1(VALU_DEP_1)
	v_div_scale_f32 v0, null, v6, v6, v5
	v_rcp_f32_e32 v3, v0
	s_waitcnt_depctr 0xfff
	v_fma_f32 v4, -v0, v3, 1.0
	s_delay_alu instid0(VALU_DEP_1) | instskip(SKIP_1) | instid1(VALU_DEP_1)
	v_fmac_f32_e32 v3, v4, v3
	v_div_scale_f32 v4, vcc_lo, v5, v6, v5
	v_mul_f32_e32 v7, v4, v3
	s_delay_alu instid0(VALU_DEP_1) | instskip(NEXT) | instid1(VALU_DEP_1)
	v_fma_f32 v8, -v0, v7, v4
	v_fmac_f32_e32 v7, v8, v3
	s_delay_alu instid0(VALU_DEP_1) | instskip(NEXT) | instid1(VALU_DEP_1)
	v_fma_f32 v0, -v0, v7, v4
	v_div_fmas_f32 v0, v0, v3, v7
	s_delay_alu instid0(VALU_DEP_1)
	v_div_fixup_f32 v0, v0, v6, v5
	global_store_b32 v[1:2], v0, off
.LBB36_6:
	s_nop 0
	s_sendmsg sendmsg(MSG_DEALLOC_VGPRS)
	s_endpgm
	.section	.rodata,"a",@progbits
	.p2align	6, 0x0
	.amdhsa_kernel _ZL33flash_attn_stream_k_fixup_uniformILi512ELi8ELi4EEvPfPK15HIP_vector_typeIfLj2EEiiiiiiS1_IjLj3EES5_S5_
		.amdhsa_group_segment_fixed_size 0
		.amdhsa_private_segment_fixed_size 0
		.amdhsa_kernarg_size 76
		.amdhsa_user_sgpr_count 13
		.amdhsa_user_sgpr_dispatch_ptr 0
		.amdhsa_user_sgpr_queue_ptr 0
		.amdhsa_user_sgpr_kernarg_segment_ptr 1
		.amdhsa_user_sgpr_dispatch_id 0
		.amdhsa_user_sgpr_private_segment_size 0
		.amdhsa_wavefront_size32 1
		.amdhsa_uses_dynamic_stack 0
		.amdhsa_enable_private_segment 0
		.amdhsa_system_sgpr_workgroup_id_x 1
		.amdhsa_system_sgpr_workgroup_id_y 1
		.amdhsa_system_sgpr_workgroup_id_z 1
		.amdhsa_system_sgpr_workgroup_info 0
		.amdhsa_system_vgpr_workitem_id 0
		.amdhsa_next_free_vgpr 15
		.amdhsa_next_free_sgpr 20
		.amdhsa_reserve_vcc 1
		.amdhsa_float_round_mode_32 0
		.amdhsa_float_round_mode_16_64 0
		.amdhsa_float_denorm_mode_32 3
		.amdhsa_float_denorm_mode_16_64 3
		.amdhsa_dx10_clamp 1
		.amdhsa_ieee_mode 1
		.amdhsa_fp16_overflow 0
		.amdhsa_workgroup_processor_mode 1
		.amdhsa_memory_ordered 1
		.amdhsa_forward_progress 0
		.amdhsa_shared_vgpr_count 0
		.amdhsa_exception_fp_ieee_invalid_op 0
		.amdhsa_exception_fp_denorm_src 0
		.amdhsa_exception_fp_ieee_div_zero 0
		.amdhsa_exception_fp_ieee_overflow 0
		.amdhsa_exception_fp_ieee_underflow 0
		.amdhsa_exception_fp_ieee_inexact 0
		.amdhsa_exception_int_div_zero 0
	.end_amdhsa_kernel
	.section	.text._ZL33flash_attn_stream_k_fixup_uniformILi512ELi8ELi4EEvPfPK15HIP_vector_typeIfLj2EEiiiiiiS1_IjLj3EES5_S5_,"axG",@progbits,_ZL33flash_attn_stream_k_fixup_uniformILi512ELi8ELi4EEvPfPK15HIP_vector_typeIfLj2EEiiiiiiS1_IjLj3EES5_S5_,comdat
.Lfunc_end36:
	.size	_ZL33flash_attn_stream_k_fixup_uniformILi512ELi8ELi4EEvPfPK15HIP_vector_typeIfLj2EEiiiiiiS1_IjLj3EES5_S5_, .Lfunc_end36-_ZL33flash_attn_stream_k_fixup_uniformILi512ELi8ELi4EEvPfPK15HIP_vector_typeIfLj2EEiiiiiiS1_IjLj3EES5_S5_
                                        ; -- End function
	.section	.AMDGPU.csdata,"",@progbits
; Kernel info:
; codeLenInByte = 996
; NumSgprs: 22
; NumVgprs: 15
; ScratchSize: 0
; MemoryBound: 0
; FloatMode: 240
; IeeeMode: 1
; LDSByteSize: 0 bytes/workgroup (compile time only)
; SGPRBlocks: 2
; VGPRBlocks: 1
; NumSGPRsForWavesPerEU: 22
; NumVGPRsForWavesPerEU: 15
; Occupancy: 16
; WaveLimiterHint : 0
; COMPUTE_PGM_RSRC2:SCRATCH_EN: 0
; COMPUTE_PGM_RSRC2:USER_SGPR: 13
; COMPUTE_PGM_RSRC2:TRAP_HANDLER: 0
; COMPUTE_PGM_RSRC2:TGID_X_EN: 1
; COMPUTE_PGM_RSRC2:TGID_Y_EN: 1
; COMPUTE_PGM_RSRC2:TGID_Z_EN: 1
; COMPUTE_PGM_RSRC2:TIDIG_COMP_CNT: 0
	.section	.text._ZL33flash_attn_stream_k_fixup_generalILi512ELi8ELi4EEvPfPK15HIP_vector_typeIfLj2EEiiiiS1_IjLj3EES5_S5_S5_,"axG",@progbits,_ZL33flash_attn_stream_k_fixup_generalILi512ELi8ELi4EEvPfPK15HIP_vector_typeIfLj2EEiiiiS1_IjLj3EES5_S5_S5_,comdat
	.globl	_ZL33flash_attn_stream_k_fixup_generalILi512ELi8ELi4EEvPfPK15HIP_vector_typeIfLj2EEiiiiS1_IjLj3EES5_S5_S5_ ; -- Begin function _ZL33flash_attn_stream_k_fixup_generalILi512ELi8ELi4EEvPfPK15HIP_vector_typeIfLj2EEiiiiS1_IjLj3EES5_S5_S5_
	.p2align	8
	.type	_ZL33flash_attn_stream_k_fixup_generalILi512ELi8ELi4EEvPfPK15HIP_vector_typeIfLj2EEiiiiS1_IjLj3EES5_S5_S5_,@function
_ZL33flash_attn_stream_k_fixup_generalILi512ELi8ELi4EEvPfPK15HIP_vector_typeIfLj2EEiiiiS1_IjLj3EES5_S5_S5_: ; @_ZL33flash_attn_stream_k_fixup_generalILi512ELi8ELi4EEvPfPK15HIP_vector_typeIfLj2EEiiiiS1_IjLj3EES5_S5_S5_
; %bb.0:
	s_clause 0x1
	s_load_b128 s[4:7], s[0:1], 0x10
	s_load_b32 s20, s[0:1], 0x50
	s_mov_b32 s2, 0
	s_waitcnt lgkmcnt(0)
	s_mul_hi_i32 s3, s7, s13
	s_mul_i32 s12, s7, s13
	s_cmp_lg_u64 s[2:3], 0
	s_cbranch_scc0 .LBB37_21
; %bb.1:
	v_cvt_f32_ubyte0_e32 v1, 0
	v_cvt_f32_u32_e32 v2, s20
	s_sub_u32 s10, 0, s20
	s_subb_u32 s11, 0, 0
	s_delay_alu instid0(VALU_DEP_1) | instskip(NEXT) | instid1(VALU_DEP_1)
	v_fmamk_f32 v1, v1, 0x4f800000, v2
	v_rcp_f32_e32 v1, v1
	s_waitcnt_depctr 0xfff
	v_mul_f32_e32 v1, 0x5f7ffffc, v1
	s_delay_alu instid0(VALU_DEP_1) | instskip(NEXT) | instid1(VALU_DEP_1)
	v_mul_f32_e32 v2, 0x2f800000, v1
	v_trunc_f32_e32 v2, v2
	s_delay_alu instid0(VALU_DEP_1) | instskip(SKIP_1) | instid1(VALU_DEP_2)
	v_fmamk_f32 v1, v2, 0xcf800000, v1
	v_cvt_u32_f32_e32 v2, v2
	v_cvt_u32_f32_e32 v1, v1
	s_delay_alu instid0(VALU_DEP_2) | instskip(NEXT) | instid1(VALU_DEP_2)
	v_readfirstlane_b32 s8, v2
	v_readfirstlane_b32 s9, v1
	s_delay_alu instid0(VALU_DEP_2) | instskip(NEXT) | instid1(VALU_DEP_1)
	s_mul_i32 s16, s10, s8
	s_mul_hi_u32 s18, s10, s9
	s_mul_i32 s17, s11, s9
	s_add_i32 s16, s18, s16
	s_mul_i32 s19, s10, s9
	s_add_i32 s16, s16, s17
	s_mul_hi_u32 s18, s9, s19
	s_mul_hi_u32 s21, s8, s19
	s_mul_i32 s17, s8, s19
	s_mul_hi_u32 s19, s9, s16
	s_mul_i32 s9, s9, s16
	s_mul_hi_u32 s22, s8, s16
	s_add_u32 s9, s18, s9
	s_addc_u32 s18, 0, s19
	s_add_u32 s9, s9, s17
	s_mul_i32 s16, s8, s16
	s_addc_u32 s9, s18, s21
	s_addc_u32 s17, s22, 0
	s_add_u32 s9, s9, s16
	s_addc_u32 s16, 0, s17
	v_add_co_u32 v1, s9, v1, s9
	s_delay_alu instid0(VALU_DEP_1) | instskip(SKIP_1) | instid1(VALU_DEP_1)
	s_cmp_lg_u32 s9, 0
	s_addc_u32 s8, s8, s16
	v_readfirstlane_b32 s9, v1
	s_mul_i32 s16, s10, s8
	s_delay_alu instid0(VALU_DEP_1)
	s_mul_hi_u32 s17, s10, s9
	s_mul_i32 s11, s11, s9
	s_add_i32 s16, s17, s16
	s_mul_i32 s10, s10, s9
	s_add_i32 s16, s16, s11
	s_mul_hi_u32 s17, s8, s10
	s_mul_i32 s18, s8, s10
	s_mul_hi_u32 s10, s9, s10
	s_mul_hi_u32 s19, s9, s16
	s_mul_i32 s9, s9, s16
	s_mul_hi_u32 s11, s8, s16
	s_add_u32 s9, s10, s9
	s_addc_u32 s10, 0, s19
	s_add_u32 s9, s9, s18
	s_mul_i32 s16, s8, s16
	s_addc_u32 s9, s10, s17
	s_addc_u32 s10, s11, 0
	s_add_u32 s9, s9, s16
	s_addc_u32 s10, 0, s10
	v_add_co_u32 v1, s9, v1, s9
	s_delay_alu instid0(VALU_DEP_1) | instskip(SKIP_2) | instid1(SALU_CYCLE_1)
	s_cmp_lg_u32 s9, 0
	s_addc_u32 s16, s8, s10
	s_ashr_i32 s8, s3, 31
	s_add_u32 s10, s12, s8
	s_addc_u32 s11, s3, s8
	v_readfirstlane_b32 s3, v1
	s_mov_b32 s9, s8
	s_delay_alu instid0(SALU_CYCLE_1) | instskip(NEXT) | instid1(SALU_CYCLE_1)
	s_xor_b64 s[10:11], s[10:11], s[8:9]
	s_mul_i32 s18, s10, s16
	s_delay_alu instid0(VALU_DEP_1)
	s_mul_hi_u32 s19, s10, s3
	s_mul_hi_u32 s17, s10, s16
	;; [unrolled: 1-line block ×3, first 2 shown]
	s_mul_i32 s3, s11, s3
	s_add_u32 s18, s19, s18
	s_addc_u32 s17, 0, s17
	s_mul_hi_u32 s21, s11, s16
	s_add_u32 s3, s18, s3
	s_mul_i32 s16, s11, s16
	s_addc_u32 s3, s17, s22
	s_addc_u32 s17, s21, 0
	s_add_u32 s3, s3, s16
	s_addc_u32 s16, 0, s17
	s_mul_i32 s18, s20, s3
	s_add_u32 s17, s3, 1
	v_sub_co_u32 v1, s10, s10, s18
	s_mul_hi_u32 s18, s20, s3
	s_addc_u32 s19, s16, 0
	s_mul_i32 s21, s20, s16
	s_delay_alu instid0(VALU_DEP_1)
	v_sub_co_u32 v2, s22, v1, s20
	s_add_u32 s23, s3, 2
	s_addc_u32 s24, s16, 0
	s_add_i32 s18, s18, s21
	s_cmp_lg_u32 s10, 0
	v_readfirstlane_b32 s10, v2
	s_subb_u32 s11, s11, s18
	s_cmp_lg_u32 s22, 0
	s_subb_u32 s18, s11, 0
	s_delay_alu instid0(VALU_DEP_1) | instskip(SKIP_4) | instid1(SALU_CYCLE_1)
	s_cmp_ge_u32 s10, s20
	s_cselect_b32 s10, -1, 0
	s_cmp_eq_u32 s18, 0
	v_readfirstlane_b32 s18, v1
	s_cselect_b32 s10, s10, -1
	s_cmp_lg_u32 s10, 0
	s_cselect_b32 s10, s23, s17
	s_cselect_b32 s17, s24, s19
	s_cmp_ge_u32 s18, s20
	s_cselect_b32 s18, -1, 0
	s_cmp_eq_u32 s11, 0
	s_cselect_b32 s11, s18, -1
	s_delay_alu instid0(SALU_CYCLE_1) | instskip(SKIP_2) | instid1(SALU_CYCLE_1)
	s_cmp_lg_u32 s11, 0
	s_cselect_b32 s11, s17, s16
	s_cselect_b32 s10, s10, s3
	s_xor_b64 s[10:11], s[10:11], s[8:9]
	s_delay_alu instid0(SALU_CYCLE_1)
	s_sub_u32 s16, s10, s8
	s_load_b128 s[8:11], s[0:1], 0x44
	s_and_not1_b32 vcc_lo, exec_lo, s2
	s_cbranch_vccnz .LBB37_3
.LBB37_2:
	v_cvt_f32_u32_e32 v1, s20
	s_sub_i32 s3, 0, s20
	s_delay_alu instid0(VALU_DEP_1) | instskip(SKIP_2) | instid1(VALU_DEP_1)
	v_rcp_iflag_f32_e32 v1, v1
	s_waitcnt_depctr 0xfff
	v_mul_f32_e32 v1, 0x4f7ffffe, v1
	v_cvt_u32_f32_e32 v1, v1
	s_delay_alu instid0(VALU_DEP_1) | instskip(NEXT) | instid1(VALU_DEP_1)
	v_readfirstlane_b32 s2, v1
	s_mul_i32 s3, s3, s2
	s_delay_alu instid0(SALU_CYCLE_1) | instskip(NEXT) | instid1(SALU_CYCLE_1)
	s_mul_hi_u32 s3, s2, s3
	s_add_i32 s2, s2, s3
	s_delay_alu instid0(SALU_CYCLE_1) | instskip(NEXT) | instid1(SALU_CYCLE_1)
	s_mul_hi_u32 s2, s12, s2
	s_mul_i32 s3, s2, s20
	s_waitcnt lgkmcnt(0)
	s_add_i32 s11, s2, 1
	s_sub_i32 s3, s12, s3
	s_delay_alu instid0(SALU_CYCLE_1)
	s_sub_i32 s12, s3, s20
	s_cmp_ge_u32 s3, s20
	s_cselect_b32 s2, s11, s2
	s_cselect_b32 s3, s12, s3
	s_add_i32 s11, s2, 1
	s_cmp_ge_u32 s3, s20
	s_cselect_b32 s16, s11, s2
.LBB37_3:
	s_waitcnt lgkmcnt(0)
	s_add_i32 s11, s13, 1
	s_mov_b32 s2, 0
	s_mul_hi_i32 s3, s7, s11
	s_mul_i32 s11, s7, s11
	s_cmp_lg_u64 s[2:3], 0
	s_cbranch_scc0 .LBB37_22
; %bb.4:
	v_cvt_f32_ubyte0_e32 v1, 0
	v_cvt_f32_u32_e32 v2, s20
	s_sub_u32 s18, 0, s20
	s_subb_u32 s19, 0, 0
	s_delay_alu instid0(VALU_DEP_1) | instskip(NEXT) | instid1(VALU_DEP_1)
	v_fmamk_f32 v1, v1, 0x4f800000, v2
	v_rcp_f32_e32 v1, v1
	s_waitcnt_depctr 0xfff
	v_mul_f32_e32 v1, 0x5f7ffffc, v1
	s_delay_alu instid0(VALU_DEP_1) | instskip(NEXT) | instid1(VALU_DEP_1)
	v_mul_f32_e32 v2, 0x2f800000, v1
	v_trunc_f32_e32 v2, v2
	s_delay_alu instid0(VALU_DEP_1) | instskip(SKIP_1) | instid1(VALU_DEP_2)
	v_fmamk_f32 v1, v2, 0xcf800000, v1
	v_cvt_u32_f32_e32 v2, v2
	v_cvt_u32_f32_e32 v1, v1
	s_delay_alu instid0(VALU_DEP_2) | instskip(NEXT) | instid1(VALU_DEP_2)
	v_readfirstlane_b32 s12, v2
	v_readfirstlane_b32 s17, v1
	s_delay_alu instid0(VALU_DEP_2) | instskip(NEXT) | instid1(VALU_DEP_1)
	s_mul_i32 s21, s18, s12
	s_mul_hi_u32 s23, s18, s17
	s_mul_i32 s22, s19, s17
	s_add_i32 s21, s23, s21
	s_mul_i32 s24, s18, s17
	s_add_i32 s21, s21, s22
	s_mul_hi_u32 s23, s17, s24
	s_mul_hi_u32 s25, s12, s24
	s_mul_i32 s22, s12, s24
	s_mul_hi_u32 s24, s17, s21
	s_mul_i32 s17, s17, s21
	s_mul_hi_u32 s26, s12, s21
	s_add_u32 s17, s23, s17
	s_addc_u32 s23, 0, s24
	s_add_u32 s17, s17, s22
	s_mul_i32 s21, s12, s21
	s_addc_u32 s17, s23, s25
	s_addc_u32 s22, s26, 0
	s_add_u32 s17, s17, s21
	s_addc_u32 s21, 0, s22
	v_add_co_u32 v1, s17, v1, s17
	s_delay_alu instid0(VALU_DEP_1) | instskip(SKIP_1) | instid1(VALU_DEP_1)
	s_cmp_lg_u32 s17, 0
	s_addc_u32 s12, s12, s21
	v_readfirstlane_b32 s17, v1
	s_mul_i32 s21, s18, s12
	s_delay_alu instid0(VALU_DEP_1)
	s_mul_hi_u32 s22, s18, s17
	s_mul_i32 s19, s19, s17
	s_add_i32 s21, s22, s21
	s_mul_i32 s18, s18, s17
	s_add_i32 s21, s21, s19
	s_mul_hi_u32 s22, s12, s18
	s_mul_i32 s23, s12, s18
	s_mul_hi_u32 s18, s17, s18
	s_mul_hi_u32 s24, s17, s21
	s_mul_i32 s17, s17, s21
	s_mul_hi_u32 s19, s12, s21
	s_add_u32 s17, s18, s17
	s_addc_u32 s18, 0, s24
	s_add_u32 s17, s17, s23
	s_mul_i32 s21, s12, s21
	s_addc_u32 s17, s18, s22
	s_addc_u32 s18, s19, 0
	s_add_u32 s17, s17, s21
	s_addc_u32 s18, 0, s18
	v_add_co_u32 v1, s17, v1, s17
	s_delay_alu instid0(VALU_DEP_1) | instskip(SKIP_2) | instid1(SALU_CYCLE_1)
	s_cmp_lg_u32 s17, 0
	s_addc_u32 s12, s12, s18
	s_ashr_i32 s18, s3, 31
	s_add_u32 s22, s11, s18
	s_addc_u32 s23, s3, s18
	v_readfirstlane_b32 s3, v1
	s_mov_b32 s19, s18
	s_delay_alu instid0(SALU_CYCLE_1) | instskip(NEXT) | instid1(SALU_CYCLE_1)
	s_xor_b64 s[22:23], s[22:23], s[18:19]
	s_mul_i32 s21, s22, s12
	s_delay_alu instid0(VALU_DEP_1)
	s_mul_hi_u32 s24, s22, s3
	s_mul_hi_u32 s17, s22, s12
	;; [unrolled: 1-line block ×3, first 2 shown]
	s_mul_i32 s3, s23, s3
	s_add_u32 s21, s24, s21
	s_addc_u32 s17, 0, s17
	s_mul_hi_u32 s25, s23, s12
	s_add_u32 s3, s21, s3
	s_mul_i32 s12, s23, s12
	s_addc_u32 s3, s17, s26
	s_addc_u32 s17, s25, 0
	s_add_u32 s3, s3, s12
	s_addc_u32 s12, 0, s17
	s_mul_i32 s21, s20, s3
	s_add_u32 s17, s3, 1
	v_sub_co_u32 v1, s21, s22, s21
	s_mul_hi_u32 s22, s20, s3
	s_addc_u32 s24, s12, 0
	s_mul_i32 s25, s20, s12
	s_delay_alu instid0(VALU_DEP_1)
	v_sub_co_u32 v2, s26, v1, s20
	s_add_u32 s27, s3, 2
	s_addc_u32 s28, s12, 0
	s_add_i32 s22, s22, s25
	s_cmp_lg_u32 s21, 0
	v_readfirstlane_b32 s21, v2
	s_subb_u32 s22, s23, s22
	s_cmp_lg_u32 s26, 0
	s_subb_u32 s23, s22, 0
	s_delay_alu instid0(VALU_DEP_1) | instskip(SKIP_4) | instid1(SALU_CYCLE_1)
	s_cmp_ge_u32 s21, s20
	s_cselect_b32 s21, -1, 0
	s_cmp_eq_u32 s23, 0
	v_readfirstlane_b32 s23, v1
	s_cselect_b32 s21, s21, -1
	s_cmp_lg_u32 s21, 0
	s_cselect_b32 s17, s27, s17
	s_cselect_b32 s21, s28, s24
	s_cmp_ge_u32 s23, s20
	s_cselect_b32 s23, -1, 0
	s_cmp_eq_u32 s22, 0
	s_cselect_b32 s22, s23, -1
	s_delay_alu instid0(SALU_CYCLE_1) | instskip(SKIP_2) | instid1(SALU_CYCLE_1)
	s_cmp_lg_u32 s22, 0
	s_cselect_b32 s23, s21, s12
	s_cselect_b32 s22, s17, s3
	s_xor_b64 s[22:23], s[22:23], s[18:19]
	s_delay_alu instid0(SALU_CYCLE_1)
	s_sub_u32 s18, s22, s18
	s_and_not1_b32 vcc_lo, exec_lo, s2
	s_cbranch_vccnz .LBB37_6
.LBB37_5:
	v_cvt_f32_u32_e32 v1, s20
	s_sub_i32 s3, 0, s20
	s_delay_alu instid0(VALU_DEP_1) | instskip(SKIP_2) | instid1(VALU_DEP_1)
	v_rcp_iflag_f32_e32 v1, v1
	s_waitcnt_depctr 0xfff
	v_mul_f32_e32 v1, 0x4f7ffffe, v1
	v_cvt_u32_f32_e32 v1, v1
	s_delay_alu instid0(VALU_DEP_1) | instskip(NEXT) | instid1(VALU_DEP_1)
	v_readfirstlane_b32 s2, v1
	s_mul_i32 s3, s3, s2
	s_delay_alu instid0(SALU_CYCLE_1) | instskip(NEXT) | instid1(SALU_CYCLE_1)
	s_mul_hi_u32 s3, s2, s3
	s_add_i32 s2, s2, s3
	s_delay_alu instid0(SALU_CYCLE_1) | instskip(NEXT) | instid1(SALU_CYCLE_1)
	s_mul_hi_u32 s2, s11, s2
	s_mul_i32 s3, s2, s20
	s_delay_alu instid0(SALU_CYCLE_1)
	s_sub_i32 s3, s11, s3
	s_add_i32 s11, s2, 1
	s_sub_i32 s12, s3, s20
	s_cmp_ge_u32 s3, s20
	s_cselect_b32 s2, s11, s2
	s_cselect_b32 s3, s12, s3
	s_add_i32 s11, s2, 1
	s_cmp_ge_u32 s3, s20
	s_cselect_b32 s18, s11, s2
.LBB37_6:
	s_delay_alu instid0(SALU_CYCLE_1) | instskip(SKIP_3) | instid1(SALU_CYCLE_1)
	s_cmp_eq_u32 s16, s18
	s_mul_hi_u32 s2, s16, s8
	s_cselect_b32 s3, -1, 0
	s_add_i32 s2, s2, s16
	s_lshr_b32 s11, s2, s9
	s_delay_alu instid0(SALU_CYCLE_1) | instskip(NEXT) | instid1(SALU_CYCLE_1)
	s_mul_i32 s2, s11, s10
	s_cmp_eq_u32 s2, s16
	s_mul_hi_u32 s2, s18, s8
	s_cselect_b32 s12, -1, 0
	s_add_i32 s2, s2, s18
	s_delay_alu instid0(SALU_CYCLE_1) | instskip(NEXT) | instid1(SALU_CYCLE_1)
	s_lshr_b32 s2, s2, s9
	s_cmp_eq_u32 s11, s2
	s_mul_i32 s2, s2, s10
	s_cselect_b32 s17, -1, 0
	s_cmp_lg_u32 s2, s18
	s_cselect_b32 s2, -1, 0
	s_or_b32 s3, s3, s12
	s_and_b32 s2, s17, s2
	s_delay_alu instid0(SALU_CYCLE_1) | instskip(NEXT) | instid1(SALU_CYCLE_1)
	s_or_b32 s2, s3, s2
	s_and_b32 vcc_lo, exec_lo, s2
	s_cbranch_vccnz .LBB37_24
; %bb.7:
	s_load_b256 s[24:31], s[0:1], 0x20
	s_waitcnt lgkmcnt(0)
	s_mul_hi_u32 s2, s16, s24
	s_delay_alu instid0(SALU_CYCLE_1) | instskip(NEXT) | instid1(SALU_CYCLE_1)
	s_add_i32 s2, s2, s16
	s_lshr_b32 s17, s2, s25
	s_load_b32 s2, s[0:1], 0x40
	s_mul_i32 s3, s17, s26
	s_delay_alu instid0(SALU_CYCLE_1) | instskip(NEXT) | instid1(SALU_CYCLE_1)
	s_sub_i32 s3, s16, s3
	s_mul_hi_u32 s12, s3, s27
	s_delay_alu instid0(SALU_CYCLE_1) | instskip(NEXT) | instid1(SALU_CYCLE_1)
	s_add_i32 s12, s3, s12
	s_lshr_b32 s21, s12, s28
	s_delay_alu instid0(SALU_CYCLE_1) | instskip(NEXT) | instid1(SALU_CYCLE_1)
	s_mul_i32 s12, s21, s29
	s_sub_i32 s3, s3, s12
	s_delay_alu instid0(SALU_CYCLE_1) | instskip(NEXT) | instid1(SALU_CYCLE_1)
	s_mul_hi_u32 s12, s3, s30
	s_add_i32 s12, s3, s12
	s_delay_alu instid0(SALU_CYCLE_1)
	s_lshr_b32 s12, s12, s31
	s_waitcnt lgkmcnt(0)
	s_mul_i32 s2, s12, s2
	s_lshl_b32 s23, s12, 2
	s_sub_i32 s2, s3, s2
	s_mov_b32 s12, 0
	s_mul_hi_u32 s3, s2, s8
	s_delay_alu instid0(SALU_CYCLE_1) | instskip(NEXT) | instid1(SALU_CYCLE_1)
	s_add_i32 s2, s2, s3
	s_lshr_b32 s22, s2, s9
	s_delay_alu instid0(SALU_CYCLE_1) | instskip(NEXT) | instid1(SALU_CYCLE_1)
	s_lshl_b32 s2, s22, 3
	s_add_i32 s2, s2, s14
	s_delay_alu instid0(SALU_CYCLE_1) | instskip(SKIP_2) | instid1(SALU_CYCLE_1)
	s_cmp_lt_i32 s2, s4
	s_cselect_b32 s2, -1, 0
	s_add_i32 s3, s23, s15
	s_cmp_lt_i32 s3, s6
	s_cselect_b32 s3, -1, 0
	s_delay_alu instid0(SALU_CYCLE_1) | instskip(NEXT) | instid1(SALU_CYCLE_1)
	s_and_b32 s2, s2, s3
	s_and_not1_b32 vcc_lo, exec_lo, s2
	s_cbranch_vccnz .LBB37_24
; %bb.8:
	s_load_b128 s[0:3], s[0:1], 0x0
	s_lshl_b32 s18, s20, 7
	s_mov_b32 s19, s12
	s_lshl_b32 s24, s14, 2
	s_lshl_b64 s[18:19], s[18:19], 2
	s_mul_i32 s4, s17, s4
	s_add_i32 s17, s24, s15
	s_mul_i32 s21, s21, s6
	v_cvt_f32_ubyte0_e32 v4, 0
	v_cvt_f32_u32_e32 v5, s20
	s_waitcnt lgkmcnt(0)
	s_add_u32 s18, s2, s18
	s_addc_u32 s19, s3, s19
	s_add_i32 s4, s4, s14
	s_delay_alu instid0(SALU_CYCLE_1) | instskip(SKIP_4) | instid1(SALU_CYCLE_1)
	s_mul_i32 s4, s4, s5
	s_mul_i32 s5, s5, s22
	s_add_i32 s4, s4, s15
	s_lshl_b32 s5, s5, 12
	s_add_i32 s4, s4, s21
	s_add_i32 s4, s4, s23
	s_delay_alu instid0(SALU_CYCLE_1) | instskip(NEXT) | instid1(SALU_CYCLE_1)
	s_lshl_b32 s4, s4, 9
	s_add_i32 s5, s5, s4
	s_delay_alu instid0(SALU_CYCLE_1) | instskip(SKIP_1) | instid1(VALU_DEP_2)
	v_or_b32_e32 v1, s5, v0
	v_lshl_or_b32 v0, s17, 9, v0
	v_ashrrev_i32_e32 v2, 31, v1
	s_delay_alu instid0(VALU_DEP_1) | instskip(NEXT) | instid1(VALU_DEP_1)
	v_lshlrev_b64 v[1:2], 2, v[1:2]
	v_add_co_u32 v1, vcc_lo, s0, v1
	s_delay_alu instid0(VALU_DEP_2) | instskip(SKIP_1) | instid1(SALU_CYCLE_1)
	v_add_co_ci_u32_e32 v2, vcc_lo, s1, v2, vcc_lo
	s_lshl_b32 s0, s13, 5
	s_add_i32 s0, s17, s0
	global_load_b32 v3, v[1:2], off
	s_ashr_i32 s1, s0, 31
	s_delay_alu instid0(SALU_CYCLE_1) | instskip(NEXT) | instid1(SALU_CYCLE_1)
	s_lshl_b64 s[0:1], s[0:1], 3
	s_add_u32 s0, s2, s0
	s_addc_u32 s1, s3, s1
	s_add_i32 s14, s13, -1
	s_load_b64 s[0:1], s[0:1], 0x0
	v_fmac_f32_e32 v5, 0x4f800000, v4
	s_sub_i32 s6, 0, s20
	s_waitcnt lgkmcnt(0)
	v_mov_b32_e32 v8, s0
	s_delay_alu instid0(VALU_DEP_2) | instskip(SKIP_2) | instid1(VALU_DEP_2)
	v_rcp_f32_e32 v4, v5
	v_cvt_f32_u32_e32 v5, s20
	v_mov_b32_e32 v7, s1
	v_rcp_iflag_f32_e32 v5, v5
	s_waitcnt_depctr 0xfff
	v_mul_f32_e32 v4, 0x5f7ffffc, v4
	s_delay_alu instid0(VALU_DEP_1) | instskip(SKIP_1) | instid1(VALU_DEP_2)
	v_mul_f32_e32 v6, 0x2f800000, v4
	v_mul_f32_e32 v9, 0x4f7ffffe, v5
	v_trunc_f32_e32 v6, v6
	s_delay_alu instid0(VALU_DEP_1) | instskip(SKIP_1) | instid1(VALU_DEP_4)
	v_fmac_f32_e32 v4, 0xcf800000, v6
	v_cvt_u32_f32_e32 v5, v6
	v_cvt_u32_f32_e32 v6, v9
	s_delay_alu instid0(VALU_DEP_3)
	v_cvt_u32_f32_e32 v4, v4
.LBB37_9:                               ; =>This Inner Loop Header: Depth=1
	s_mul_hi_i32 s13, s14, s7
	s_mul_i32 s4, s14, s7
	s_cmp_lg_u64 s[12:13], 0
	s_mov_b32 s5, -1
                                        ; implicit-def: $sgpr0_sgpr1
	s_cbranch_scc0 .LBB37_11
; %bb.10:                               ;   in Loop: Header=BB37_9 Depth=1
	v_readfirstlane_b32 s0, v4
	v_readfirstlane_b32 s1, v5
	s_sub_u32 s5, 0, s20
	s_subb_u32 s15, 0, 0
	s_delay_alu instid0(VALU_DEP_2) | instskip(NEXT) | instid1(VALU_DEP_1)
	s_mul_hi_u32 s21, s5, s0
	s_mul_i32 s22, s5, s1
	s_mul_i32 s23, s15, s0
	s_add_i32 s21, s21, s22
	s_mul_i32 s22, s5, s0
	s_add_i32 s21, s21, s23
	s_mul_hi_u32 s23, s0, s22
	s_mul_i32 s24, s0, s21
	s_mul_hi_u32 s0, s0, s21
	s_add_u32 s23, s23, s24
	s_mul_i32 s25, s1, s22
	s_addc_u32 s0, 0, s0
	s_mul_hi_u32 s22, s1, s22
	s_mul_hi_u32 s24, s1, s21
	s_add_u32 s23, s23, s25
	s_addc_u32 s0, s0, s22
	s_mul_i32 s21, s1, s21
	s_addc_u32 s22, s24, 0
	s_add_u32 s0, s0, s21
	s_addc_u32 s21, 0, s22
	v_add_co_u32 v9, s0, v4, s0
	s_delay_alu instid0(VALU_DEP_1) | instskip(SKIP_1) | instid1(VALU_DEP_1)
	s_cmp_lg_u32 s0, 0
	s_addc_u32 s1, s1, s21
	v_readfirstlane_b32 s0, v9
	s_mul_i32 s21, s5, s1
	s_delay_alu instid0(VALU_DEP_1)
	s_mul_hi_u32 s22, s5, s0
	s_mul_i32 s15, s15, s0
	s_add_i32 s21, s22, s21
	s_mul_i32 s5, s5, s0
	s_add_i32 s21, s21, s15
	s_mul_hi_u32 s15, s1, s5
	s_mul_i32 s23, s1, s5
	s_mul_i32 s24, s0, s21
	s_mul_hi_u32 s5, s0, s5
	s_mul_hi_u32 s0, s0, s21
	s_add_u32 s5, s5, s24
	s_addc_u32 s0, 0, s0
	s_mul_hi_u32 s22, s1, s21
	s_add_u32 s5, s5, s23
	s_addc_u32 s0, s0, s15
	s_mul_i32 s5, s1, s21
	s_addc_u32 s15, s22, 0
	s_add_u32 s0, s0, s5
	s_addc_u32 s5, 0, s15
	v_add_co_u32 v9, s0, v9, s0
	s_delay_alu instid0(VALU_DEP_1) | instskip(SKIP_2) | instid1(SALU_CYCLE_1)
	s_cmp_lg_u32 s0, 0
	s_addc_u32 s5, s1, s5
	s_ashr_i32 s0, s13, 31
	s_add_u32 s22, s4, s0
	s_addc_u32 s23, s13, s0
	v_readfirstlane_b32 s13, v9
	s_mov_b32 s1, s0
	s_delay_alu instid0(SALU_CYCLE_1) | instskip(NEXT) | instid1(SALU_CYCLE_1)
	s_xor_b64 s[22:23], s[22:23], s[0:1]
	s_mul_i32 s15, s22, s5
	s_delay_alu instid0(VALU_DEP_1)
	s_mul_hi_u32 s21, s22, s13
	s_mul_hi_u32 s24, s22, s5
	s_add_u32 s15, s21, s15
	s_mul_i32 s25, s23, s13
	s_addc_u32 s21, 0, s24
	s_mul_hi_u32 s13, s23, s13
	s_mul_hi_u32 s24, s23, s5
	s_add_u32 s15, s15, s25
	s_addc_u32 s13, s21, s13
	s_mul_i32 s5, s23, s5
	s_addc_u32 s15, s24, 0
	s_add_u32 s5, s13, s5
	s_addc_u32 s13, 0, s15
	s_mul_i32 s21, s20, s5
	s_add_u32 s15, s5, 1
	v_sub_co_u32 v9, s21, s22, s21
	s_addc_u32 s22, s13, 0
	s_mul_i32 s25, s20, s13
	s_mul_hi_u32 s27, s20, s5
	s_delay_alu instid0(VALU_DEP_1)
	v_sub_co_u32 v10, s26, v9, s20
	s_add_u32 s24, s5, 2
	s_addc_u32 s28, s13, 0
	s_add_i32 s27, s27, s25
	s_cmp_lg_u32 s21, 0
	v_readfirstlane_b32 s21, v10
	s_subb_u32 s23, s23, s27
	s_cmp_lg_u32 s26, 0
	s_subb_u32 s25, s23, 0
	s_delay_alu instid0(VALU_DEP_1) | instskip(SKIP_4) | instid1(SALU_CYCLE_1)
	s_cmp_ge_u32 s21, s20
	s_cselect_b32 s21, -1, 0
	s_cmp_eq_u32 s25, 0
	v_readfirstlane_b32 s25, v9
	s_cselect_b32 s21, s21, -1
	s_cmp_lg_u32 s21, 0
	s_cselect_b32 s15, s24, s15
	s_cselect_b32 s21, s28, s22
	s_cmp_ge_u32 s25, s20
	s_cselect_b32 s22, -1, 0
	s_cmp_eq_u32 s23, 0
	s_cselect_b32 s22, s22, -1
	s_delay_alu instid0(SALU_CYCLE_1) | instskip(SKIP_4) | instid1(SALU_CYCLE_1)
	s_cmp_lg_u32 s22, 0
	s_cselect_b32 s23, s21, s13
	s_cselect_b32 s22, s15, s5
	s_mov_b32 s5, 0
	s_xor_b64 s[22:23], s[22:23], s[0:1]
	s_sub_u32 s0, s22, s0
.LBB37_11:                              ;   in Loop: Header=BB37_9 Depth=1
	s_and_not1_b32 vcc_lo, exec_lo, s5
	s_cbranch_vccnz .LBB37_13
; %bb.12:                               ;   in Loop: Header=BB37_9 Depth=1
	v_readfirstlane_b32 s0, v6
	s_delay_alu instid0(VALU_DEP_1) | instskip(NEXT) | instid1(SALU_CYCLE_1)
	s_mul_i32 s1, s6, s0
	s_mul_hi_u32 s1, s0, s1
	s_delay_alu instid0(SALU_CYCLE_1) | instskip(NEXT) | instid1(SALU_CYCLE_1)
	s_add_i32 s0, s0, s1
	s_mul_hi_u32 s0, s4, s0
	s_delay_alu instid0(SALU_CYCLE_1) | instskip(NEXT) | instid1(SALU_CYCLE_1)
	s_mul_i32 s1, s0, s20
	s_sub_i32 s1, s4, s1
	s_add_i32 s4, s0, 1
	s_sub_i32 s5, s1, s20
	s_cmp_ge_u32 s1, s20
	s_cselect_b32 s0, s4, s0
	s_cselect_b32 s1, s5, s1
	s_add_i32 s4, s0, 1
	s_cmp_ge_u32 s1, s20
	s_cselect_b32 s0, s4, s0
.LBB37_13:                              ;   in Loop: Header=BB37_9 Depth=1
	s_delay_alu instid0(SALU_CYCLE_1)
	s_cmp_lg_u32 s16, s0
	s_cbranch_scc0 .LBB37_17
; %bb.14:                               ;   in Loop: Header=BB37_9 Depth=1
	s_add_i32 s1, s14, s20
	s_mov_b32 s5, s12
	s_lshl_b32 s1, s1, 5
	s_mov_b32 s15, s16
	s_add_i32 s4, s1, s17
	s_mul_hi_u32 s1, s0, s8
	s_lshl_b64 s[4:5], s[4:5], 3
	s_delay_alu instid0(SALU_CYCLE_1) | instskip(SKIP_2) | instid1(SALU_CYCLE_1)
	s_add_u32 s4, s2, s4
	s_addc_u32 s5, s3, s5
	s_add_i32 s1, s1, s0
	s_lshr_b32 s1, s1, s9
	s_delay_alu instid0(SALU_CYCLE_1) | instskip(NEXT) | instid1(SALU_CYCLE_1)
	s_mul_i32 s13, s1, s10
	s_cmp_eq_u32 s13, s0
	s_cselect_b32 s13, -1, 0
	s_cmp_lt_u32 s1, s11
	s_cselect_b32 s1, -1, 0
	s_delay_alu instid0(SALU_CYCLE_1)
	s_or_b32 s1, s1, s13
	s_mov_b32 s13, -1
	s_and_b32 vcc_lo, exec_lo, s1
	s_mov_b32 s1, s14
	s_cbranch_vccnz .LBB37_16
; %bb.15:                               ;   in Loop: Header=BB37_9 Depth=1
	s_add_i32 s1, s14, -1
	s_mov_b32 s13, 0
	s_mov_b32 s15, s0
.LBB37_16:                              ;   in Loop: Header=BB37_9 Depth=1
	v_lshl_add_u32 v9, s14, 14, v0
	s_load_b64 s[4:5], s[4:5], 0x0
	s_delay_alu instid0(VALU_DEP_1) | instskip(NEXT) | instid1(VALU_DEP_1)
	v_ashrrev_i32_e32 v10, 31, v9
	v_lshlrev_b64 v[9:10], 2, v[9:10]
	s_delay_alu instid0(VALU_DEP_1) | instskip(NEXT) | instid1(VALU_DEP_2)
	v_add_co_u32 v9, vcc_lo, s18, v9
	v_add_co_ci_u32_e32 v10, vcc_lo, s19, v10, vcc_lo
	s_waitcnt lgkmcnt(0)
	v_max_f32_e64 v11, s4, s4
	global_load_b32 v10, v[9:10], off
	v_max_f32_e32 v9, v8, v8
	s_delay_alu instid0(VALU_DEP_1) | instskip(NEXT) | instid1(VALU_DEP_1)
	v_max_f32_e32 v9, v9, v11
	v_sub_f32_e32 v12, v8, v9
	s_delay_alu instid0(VALU_DEP_1) | instskip(NEXT) | instid1(VALU_DEP_1)
	v_dual_mul_f32 v14, 0x3fb8aa3b, v12 :: v_dual_sub_f32 v11, s4, v9
	v_rndne_f32_e32 v18, v14
	s_delay_alu instid0(VALU_DEP_2) | instskip(SKIP_2) | instid1(VALU_DEP_4)
	v_mul_f32_e32 v13, 0x3fb8aa3b, v11
	v_fma_f32 v17, 0x3fb8aa3b, v12, -v14
	v_cmp_ngt_f32_e32 vcc_lo, 0xc2ce8ed0, v11
	v_sub_f32_e32 v14, v14, v18
	s_delay_alu instid0(VALU_DEP_4) | instskip(SKIP_2) | instid1(VALU_DEP_3)
	v_fma_f32 v15, 0x3fb8aa3b, v11, -v13
	v_rndne_f32_e32 v16, v13
	v_fmac_f32_e32 v17, 0x32a5705f, v12
	v_fmac_f32_e32 v15, 0x32a5705f, v11
	s_delay_alu instid0(VALU_DEP_2) | instskip(NEXT) | instid1(VALU_DEP_1)
	v_dual_sub_f32 v13, v13, v16 :: v_dual_add_f32 v14, v14, v17
	v_add_f32_e32 v13, v13, v15
	s_delay_alu instid0(VALU_DEP_2) | instskip(SKIP_2) | instid1(VALU_DEP_3)
	v_exp_f32_e32 v14, v14
	v_cvt_i32_f32_e32 v15, v16
	v_cvt_i32_f32_e32 v16, v18
	v_exp_f32_e32 v13, v13
	s_waitcnt_depctr 0xfff
	v_ldexp_f32 v14, v14, v16
	v_ldexp_f32 v13, v13, v15
	s_delay_alu instid0(VALU_DEP_1) | instskip(SKIP_1) | instid1(VALU_DEP_4)
	v_cndmask_b32_e32 v13, 0, v13, vcc_lo
	v_cmp_ngt_f32_e32 vcc_lo, 0xc2ce8ed0, v12
	v_cndmask_b32_e32 v14, 0, v14, vcc_lo
	v_cmp_nlt_f32_e32 vcc_lo, 0x42b17218, v11
	s_delay_alu instid0(VALU_DEP_4) | instskip(SKIP_1) | instid1(VALU_DEP_4)
	v_cndmask_b32_e32 v13, 0x7f800000, v13, vcc_lo
	v_cmp_nlt_f32_e32 vcc_lo, 0x42b17218, v12
	v_cndmask_b32_e32 v14, 0x7f800000, v14, vcc_lo
	v_cmp_le_f32_e32 vcc_lo, 0xc1a00000, v11
	s_delay_alu instid0(VALU_DEP_4) | instskip(SKIP_1) | instid1(VALU_DEP_4)
	v_cndmask_b32_e32 v11, 0, v13, vcc_lo
	v_cmp_le_f32_e32 vcc_lo, 0xc1a00000, v12
	v_cndmask_b32_e32 v12, 0, v14, vcc_lo
	s_waitcnt vmcnt(0)
	s_delay_alu instid0(VALU_DEP_3) | instskip(NEXT) | instid1(VALU_DEP_1)
	v_mul_f32_e32 v10, v10, v11
	v_dual_mul_f32 v11, s5, v11 :: v_dual_fmac_f32 v10, v3, v12
	s_delay_alu instid0(VALU_DEP_1)
	v_fmac_f32_e32 v11, v7, v12
	s_cbranch_execz .LBB37_18
	s_branch .LBB37_19
.LBB37_17:                              ;   in Loop: Header=BB37_9 Depth=1
                                        ; implicit-def: $sgpr13
                                        ; implicit-def: $vgpr10
                                        ; implicit-def: $vgpr9
                                        ; implicit-def: $vgpr11
                                        ; implicit-def: $sgpr1
                                        ; implicit-def: $sgpr15
.LBB37_18:                              ;   in Loop: Header=BB37_9 Depth=1
	v_mov_b32_e32 v11, v7
	s_waitcnt vmcnt(0)
	v_dual_mov_b32 v9, v8 :: v_dual_mov_b32 v10, v3
	s_add_i32 s1, s14, -1
	s_mov_b32 s13, 0
	s_mov_b32 s15, s16
.LBB37_19:                              ;   in Loop: Header=BB37_9 Depth=1
	s_and_not1_b32 vcc_lo, exec_lo, s13
	s_cbranch_vccz .LBB37_23
; %bb.20:                               ;   in Loop: Header=BB37_9 Depth=1
	v_dual_mov_b32 v7, v11 :: v_dual_mov_b32 v8, v9
	s_waitcnt vmcnt(0)
	v_mov_b32_e32 v3, v10
	s_mov_b32 s16, s15
	s_mov_b32 s14, s1
	s_branch .LBB37_9
.LBB37_21:
                                        ; implicit-def: $sgpr16_sgpr17
	s_load_b128 s[8:11], s[0:1], 0x44
	s_branch .LBB37_2
.LBB37_22:
                                        ; implicit-def: $sgpr18_sgpr19
	s_branch .LBB37_5
.LBB37_23:
	v_div_scale_f32 v0, null, v11, v11, v10
	s_waitcnt vmcnt(0)
	s_delay_alu instid0(VALU_DEP_1) | instskip(SKIP_2) | instid1(VALU_DEP_1)
	v_rcp_f32_e32 v3, v0
	s_waitcnt_depctr 0xfff
	v_fma_f32 v4, -v0, v3, 1.0
	v_fmac_f32_e32 v3, v4, v3
	v_div_scale_f32 v4, vcc_lo, v10, v11, v10
	s_delay_alu instid0(VALU_DEP_1) | instskip(NEXT) | instid1(VALU_DEP_1)
	v_mul_f32_e32 v5, v4, v3
	v_fma_f32 v6, -v0, v5, v4
	s_delay_alu instid0(VALU_DEP_1) | instskip(NEXT) | instid1(VALU_DEP_1)
	v_fmac_f32_e32 v5, v6, v3
	v_fma_f32 v0, -v0, v5, v4
	s_delay_alu instid0(VALU_DEP_1) | instskip(NEXT) | instid1(VALU_DEP_1)
	v_div_fmas_f32 v0, v0, v3, v5
	v_div_fixup_f32 v0, v0, v11, v10
	global_store_b32 v[1:2], v0, off
.LBB37_24:
	s_nop 0
	s_sendmsg sendmsg(MSG_DEALLOC_VGPRS)
	s_endpgm
	.section	.rodata,"a",@progbits
	.p2align	6, 0x0
	.amdhsa_kernel _ZL33flash_attn_stream_k_fixup_generalILi512ELi8ELi4EEvPfPK15HIP_vector_typeIfLj2EEiiiiS1_IjLj3EES5_S5_S5_
		.amdhsa_group_segment_fixed_size 0
		.amdhsa_private_segment_fixed_size 0
		.amdhsa_kernarg_size 336
		.amdhsa_user_sgpr_count 13
		.amdhsa_user_sgpr_dispatch_ptr 0
		.amdhsa_user_sgpr_queue_ptr 0
		.amdhsa_user_sgpr_kernarg_segment_ptr 1
		.amdhsa_user_sgpr_dispatch_id 0
		.amdhsa_user_sgpr_private_segment_size 0
		.amdhsa_wavefront_size32 1
		.amdhsa_uses_dynamic_stack 0
		.amdhsa_enable_private_segment 0
		.amdhsa_system_sgpr_workgroup_id_x 1
		.amdhsa_system_sgpr_workgroup_id_y 1
		.amdhsa_system_sgpr_workgroup_id_z 1
		.amdhsa_system_sgpr_workgroup_info 0
		.amdhsa_system_vgpr_workitem_id 0
		.amdhsa_next_free_vgpr 19
		.amdhsa_next_free_sgpr 32
		.amdhsa_reserve_vcc 1
		.amdhsa_float_round_mode_32 0
		.amdhsa_float_round_mode_16_64 0
		.amdhsa_float_denorm_mode_32 3
		.amdhsa_float_denorm_mode_16_64 3
		.amdhsa_dx10_clamp 1
		.amdhsa_ieee_mode 1
		.amdhsa_fp16_overflow 0
		.amdhsa_workgroup_processor_mode 1
		.amdhsa_memory_ordered 1
		.amdhsa_forward_progress 0
		.amdhsa_shared_vgpr_count 0
		.amdhsa_exception_fp_ieee_invalid_op 0
		.amdhsa_exception_fp_denorm_src 0
		.amdhsa_exception_fp_ieee_div_zero 0
		.amdhsa_exception_fp_ieee_overflow 0
		.amdhsa_exception_fp_ieee_underflow 0
		.amdhsa_exception_fp_ieee_inexact 0
		.amdhsa_exception_int_div_zero 0
	.end_amdhsa_kernel
	.section	.text._ZL33flash_attn_stream_k_fixup_generalILi512ELi8ELi4EEvPfPK15HIP_vector_typeIfLj2EEiiiiS1_IjLj3EES5_S5_S5_,"axG",@progbits,_ZL33flash_attn_stream_k_fixup_generalILi512ELi8ELi4EEvPfPK15HIP_vector_typeIfLj2EEiiiiS1_IjLj3EES5_S5_S5_,comdat
.Lfunc_end37:
	.size	_ZL33flash_attn_stream_k_fixup_generalILi512ELi8ELi4EEvPfPK15HIP_vector_typeIfLj2EEiiiiS1_IjLj3EES5_S5_S5_, .Lfunc_end37-_ZL33flash_attn_stream_k_fixup_generalILi512ELi8ELi4EEvPfPK15HIP_vector_typeIfLj2EEiiiiS1_IjLj3EES5_S5_S5_
                                        ; -- End function
	.section	.AMDGPU.csdata,"",@progbits
; Kernel info:
; codeLenInByte = 3224
; NumSgprs: 34
; NumVgprs: 19
; ScratchSize: 0
; MemoryBound: 0
; FloatMode: 240
; IeeeMode: 1
; LDSByteSize: 0 bytes/workgroup (compile time only)
; SGPRBlocks: 4
; VGPRBlocks: 2
; NumSGPRsForWavesPerEU: 34
; NumVGPRsForWavesPerEU: 19
; Occupancy: 16
; WaveLimiterHint : 0
; COMPUTE_PGM_RSRC2:SCRATCH_EN: 0
; COMPUTE_PGM_RSRC2:USER_SGPR: 13
; COMPUTE_PGM_RSRC2:TRAP_HANDLER: 0
; COMPUTE_PGM_RSRC2:TGID_X_EN: 1
; COMPUTE_PGM_RSRC2:TGID_Y_EN: 1
; COMPUTE_PGM_RSRC2:TGID_Z_EN: 1
; COMPUTE_PGM_RSRC2:TIDIG_COMP_CNT: 0
	.section	.text._ZL26flash_attn_combine_resultsILi512EEvPKfPK15HIP_vector_typeIfLj2EEPfi,"axG",@progbits,_ZL26flash_attn_combine_resultsILi512EEvPKfPK15HIP_vector_typeIfLj2EEPfi,comdat
	.globl	_ZL26flash_attn_combine_resultsILi512EEvPKfPK15HIP_vector_typeIfLj2EEPfi ; -- Begin function _ZL26flash_attn_combine_resultsILi512EEvPKfPK15HIP_vector_typeIfLj2EEPfi
	.p2align	8
	.type	_ZL26flash_attn_combine_resultsILi512EEvPKfPK15HIP_vector_typeIfLj2EEPfi,@function
_ZL26flash_attn_combine_resultsILi512EEvPKfPK15HIP_vector_typeIfLj2EEPfi: ; @_ZL26flash_attn_combine_resultsILi512EEvPKfPK15HIP_vector_typeIfLj2EEPfi
; %bb.0:
	s_clause 0x3
	s_load_b64 s[2:3], s[0:1], 0x20
	s_load_b32 s11, s[0:1], 0x18
	s_load_b128 s[4:7], s[0:1], 0x0
	s_load_b64 s[8:9], s[0:1], 0x10
	v_lshlrev_b32_e32 v5, 2, v0
	s_mov_b32 s12, exec_lo
	s_waitcnt lgkmcnt(0)
	s_mul_i32 s0, s2, s15
	s_lshl_b32 s1, s11, 1
	s_add_i32 s0, s0, s13
	s_delay_alu instid0(SALU_CYCLE_1) | instskip(NEXT) | instid1(SALU_CYCLE_1)
	s_mul_i32 s10, s0, s3
	s_add_i32 s10, s10, s14
	s_delay_alu instid0(SALU_CYCLE_1)
	s_mul_i32 s2, s10, s11
	v_cmpx_gt_i32_e64 s1, v0
	s_cbranch_execz .LBB38_3
; %bb.1:
	s_ashr_i32 s3, s2, 31
	v_dual_mov_b32 v4, v0 :: v_dual_add_nc_u32 v3, 0, v5
	s_lshl_b64 s[14:15], s[2:3], 3
	s_delay_alu instid0(SALU_CYCLE_1) | instskip(SKIP_2) | instid1(VALU_DEP_1)
	s_add_u32 s0, s6, s14
	s_addc_u32 s3, s7, s15
	v_add_co_u32 v1, s0, s0, v5
	v_add_co_ci_u32_e64 v2, null, s3, 0, s0
	s_mov_b32 s3, 0
	.p2align	6
.LBB38_2:                               ; =>This Inner Loop Header: Depth=1
	global_load_b32 v6, v[1:2], off
	v_add_nc_u32_e32 v4, 0x200, v4
	v_add_co_u32 v1, vcc_lo, 0x800, v1
	v_add_co_ci_u32_e32 v2, vcc_lo, 0, v2, vcc_lo
	s_delay_alu instid0(VALU_DEP_3) | instskip(NEXT) | instid1(VALU_DEP_1)
	v_cmp_le_i32_e64 s0, s1, v4
	s_or_b32 s3, s0, s3
	s_waitcnt vmcnt(0)
	ds_store_b32 v3, v6
	v_add_nc_u32_e32 v3, 0x800, v3
	s_and_not1_b32 exec_lo, exec_lo, s3
	s_cbranch_execnz .LBB38_2
.LBB38_3:
	s_or_b32 exec_lo, exec_lo, s12
	v_mov_b32_e32 v1, 0
	s_waitcnt lgkmcnt(0)
	s_barrier
	buffer_gl0_inv
	s_cmp_lt_i32 s11, 2
	ds_load_b32 v6, v1
	s_cbranch_scc1 .LBB38_11
; %bb.4:
	s_add_i32 s1, s11, -2
	s_add_i32 s0, s11, -1
	s_cmp_lt_u32 s1, 7
	s_cbranch_scc1 .LBB38_8
; %bb.5:
	s_mov_b32 s3, 0
	s_add_i32 s1, 0, 8
	s_and_b32 s6, s0, -8
	.p2align	6
.LBB38_6:                               ; =>This Inner Loop Header: Depth=1
	v_mov_b32_e32 v9, s1
	s_mov_b32 s7, s3
	s_add_i32 s3, s3, 8
	s_add_i32 s1, s1, 64
	s_cmp_eq_u32 s6, s3
	ds_load_2addr_b32 v[1:2], v9 offset1:2
	ds_load_2addr_b32 v[3:4], v9 offset0:4 offset1:6
	ds_load_2addr_b32 v[7:8], v9 offset0:8 offset1:10
	;; [unrolled: 1-line block ×3, first 2 shown]
	s_waitcnt lgkmcnt(3)
	v_max3_f32 v1, v6, v1, v2
	s_waitcnt lgkmcnt(2)
	s_delay_alu instid0(VALU_DEP_1) | instskip(SKIP_1) | instid1(VALU_DEP_1)
	v_max3_f32 v1, v1, v3, v4
	s_waitcnt lgkmcnt(1)
	v_max3_f32 v1, v1, v7, v8
	s_waitcnt lgkmcnt(0)
	s_delay_alu instid0(VALU_DEP_1)
	v_max3_f32 v6, v1, v9, v10
	s_cbranch_scc0 .LBB38_6
; %bb.7:
	s_add_i32 s1, s7, 9
	s_and_b32 s0, s0, 7
	s_delay_alu instid0(SALU_CYCLE_1)
	s_cmp_eq_u32 s0, 0
	s_cbranch_scc0 .LBB38_9
	s_branch .LBB38_11
.LBB38_8:
	s_mov_b32 s1, 1
	s_and_b32 s0, s0, 7
	s_delay_alu instid0(SALU_CYCLE_1)
	s_cmp_eq_u32 s0, 0
	s_cbranch_scc1 .LBB38_11
.LBB38_9:
	s_lshl_b32 s1, s1, 3
	s_delay_alu instid0(SALU_CYCLE_1)
	s_add_i32 s1, s1, 0
.LBB38_10:                              ; =>This Inner Loop Header: Depth=1
	s_waitcnt lgkmcnt(0)
	s_delay_alu instid0(VALU_DEP_1)
	v_dual_mov_b32 v1, s1 :: v_dual_max_f32 v2, v6, v6
	s_add_i32 s0, s0, -1
	s_add_i32 s1, s1, 8
	s_cmp_lg_u32 s0, 0
	ds_load_b32 v1, v1
	s_waitcnt lgkmcnt(0)
	v_max_f32_e32 v1, v1, v1
	s_delay_alu instid0(VALU_DEP_1)
	v_max_f32_e32 v6, v2, v1
	s_cbranch_scc1 .LBB38_10
.LBB38_11:
	s_cmp_lt_i32 s11, 1
	s_cbranch_scc1 .LBB38_16
; %bb.12:
	s_lshl_b32 s0, s2, 9
	v_mov_b32_e32 v7, 0
	s_ashr_i32 s1, s0, 31
	s_mov_b32 s13, 0
	s_lshl_b64 s[0:1], s[0:1], 2
	s_delay_alu instid0(SALU_CYCLE_1)
	s_add_u32 s6, s4, s0
	s_addc_u32 s7, s5, s1
	s_cmp_lt_u32 s11, 8
	s_cbranch_scc1 .LBB38_17
; %bb.13:
	v_or_b32_e32 v1, 0xe00, v0
	v_dual_mov_b32 v4, 0 :: v_dual_mov_b32 v7, 0
	v_mov_b32_e32 v8, 0
	s_and_b32 s12, s11, 0x7ffffff8
	s_mov_b32 s14, 0
.LBB38_14:                              ; =>This Inner Loop Header: Depth=1
	s_delay_alu instid0(VALU_DEP_2) | instskip(SKIP_3) | instid1(VALU_DEP_2)
	v_dual_mov_b32 v2, v4 :: v_dual_add_nc_u32 v3, 0xfffff200, v1
	v_mov_b32_e32 v21, s13
	s_add_i32 s14, s14, 8
	s_add_i32 s13, s13, 64
	v_lshlrev_b64 v[9:10], 2, v[3:4]
	v_add_nc_u32_e32 v3, 0xfffff400, v1
	v_lshlrev_b64 v[11:12], 2, v[1:2]
	s_cmp_eq_u32 s12, s14
	s_delay_alu instid0(VALU_DEP_2) | instskip(NEXT) | instid1(VALU_DEP_4)
	v_lshlrev_b64 v[13:14], 2, v[3:4]
	v_add_co_u32 v9, vcc_lo, s6, v9
	v_add_co_ci_u32_e32 v10, vcc_lo, s7, v10, vcc_lo
	v_add_nc_u32_e32 v3, 0xfffff600, v1
	s_delay_alu instid0(VALU_DEP_4)
	v_add_co_u32 v13, vcc_lo, s6, v13
	global_load_b32 v25, v[9:10], off
	v_add_co_ci_u32_e32 v14, vcc_lo, s7, v14, vcc_lo
	v_lshlrev_b64 v[15:16], 2, v[3:4]
	v_add_nc_u32_e32 v3, 0xfffff800, v1
	global_load_b32 v26, v[13:14], off
	v_add_co_u32 v13, vcc_lo, s6, v15
	v_add_co_ci_u32_e32 v14, vcc_lo, s7, v16, vcc_lo
	v_lshlrev_b64 v[9:10], 2, v[3:4]
	v_add_nc_u32_e32 v3, 0xfffffa00, v1
	global_load_b32 v27, v[13:14], off
	v_add_co_u32 v9, vcc_lo, s6, v9
	v_lshlrev_b64 v[15:16], 2, v[3:4]
	v_add_nc_u32_e32 v3, 0xfffffc00, v1
	v_add_co_ci_u32_e32 v10, vcc_lo, s7, v10, vcc_lo
	global_load_b32 v28, v[9:10], off
	v_lshlrev_b64 v[13:14], 2, v[3:4]
	v_add_nc_u32_e32 v3, 0xfffffe00, v1
	v_add_co_u32 v9, vcc_lo, s6, v15
	v_add_co_ci_u32_e32 v10, vcc_lo, s7, v16, vcc_lo
	s_delay_alu instid0(VALU_DEP_4) | instskip(NEXT) | instid1(VALU_DEP_4)
	v_add_co_u32 v13, vcc_lo, s6, v13
	v_lshlrev_b64 v[2:3], 2, v[3:4]
	v_add_co_ci_u32_e32 v14, vcc_lo, s7, v14, vcc_lo
	s_clause 0x1
	global_load_b32 v29, v[9:10], off
	global_load_b32 v30, v[13:14], off
	v_add_co_u32 v2, vcc_lo, s6, v2
	v_add_co_ci_u32_e32 v3, vcc_lo, s7, v3, vcc_lo
	v_add_co_u32 v9, vcc_lo, s6, v11
	v_add_co_ci_u32_e32 v10, vcc_lo, s7, v12, vcc_lo
	s_clause 0x1
	global_load_b32 v2, v[2:3], off
	global_load_b32 v3, v[9:10], off
	ds_load_2addr_b64 v[9:12], v21 offset1:1
	ds_load_2addr_b64 v[13:16], v21 offset0:2 offset1:3
	ds_load_2addr_b64 v[17:20], v21 offset0:4 offset1:5
	;; [unrolled: 1-line block ×3, first 2 shown]
	v_add_nc_u32_e32 v1, 0x1000, v1
	s_waitcnt lgkmcnt(1)
	v_sub_f32_e32 v19, v19, v6
	v_sub_f32_e32 v11, v11, v6
	s_waitcnt lgkmcnt(0)
	v_sub_f32_e32 v23, v23, v6
	s_delay_alu instid0(VALU_DEP_3) | instskip(NEXT) | instid1(VALU_DEP_3)
	v_dual_sub_f32 v13, v13, v6 :: v_dual_mul_f32 v36, 0x3fb8aa3b, v19
	v_mul_f32_e32 v32, 0x3fb8aa3b, v11
	s_delay_alu instid0(VALU_DEP_2) | instskip(SKIP_1) | instid1(VALU_DEP_4)
	v_dual_mul_f32 v38, 0x3fb8aa3b, v23 :: v_dual_mul_f32 v33, 0x3fb8aa3b, v13
	v_cmp_ngt_f32_e32 vcc_lo, 0xc2ce8ed0, v13
	v_fma_f32 v49, 0x3fb8aa3b, v19, -v36
	s_delay_alu instid0(VALU_DEP_4) | instskip(SKIP_4) | instid1(VALU_DEP_4)
	v_fma_f32 v41, 0x3fb8aa3b, v11, -v32
	v_rndne_f32_e32 v42, v32
	v_fma_f32 v43, 0x3fb8aa3b, v13, -v33
	v_rndne_f32_e32 v44, v33
	v_rndne_f32_e32 v50, v36
	v_dual_fmac_f32 v41, 0x32a5705f, v11 :: v_dual_sub_f32 v32, v32, v42
	v_sub_f32_e32 v15, v15, v6
	v_fmac_f32_e32 v43, 0x32a5705f, v13
	v_sub_f32_e32 v33, v33, v44
	v_cvt_i32_f32_e32 v42, v42
	v_dual_add_f32 v32, v32, v41 :: v_dual_sub_f32 v9, v9, v6
	v_mul_f32_e32 v34, 0x3fb8aa3b, v15
	s_delay_alu instid0(VALU_DEP_4) | instskip(SKIP_1) | instid1(VALU_DEP_4)
	v_add_f32_e32 v33, v33, v43
	v_cvt_i32_f32_e32 v44, v44
	v_exp_f32_e32 v32, v32
	v_mul_f32_e32 v31, 0x3fb8aa3b, v9
	v_fma_f32 v45, 0x3fb8aa3b, v15, -v34
	v_rndne_f32_e32 v46, v34
	v_exp_f32_e32 v33, v33
	v_cmp_ngt_f32_e64 s5, 0xc2ce8ed0, v9
	v_fma_f32 v39, 0x3fb8aa3b, v9, -v31
	v_rndne_f32_e32 v40, v31
	v_dual_fmac_f32 v45, 0x32a5705f, v15 :: v_dual_sub_f32 v34, v34, v46
	v_sub_f32_e32 v17, v17, v6
	s_delay_alu instid0(VALU_DEP_4) | instskip(NEXT) | instid1(VALU_DEP_4)
	v_fmac_f32_e32 v39, 0x32a5705f, v9
	v_sub_f32_e32 v31, v31, v40
	v_cvt_i32_f32_e32 v40, v40
	v_add_f32_e32 v34, v34, v45
	v_ldexp_f32 v32, v32, v42
	v_ldexp_f32 v33, v33, v44
	v_add_f32_e32 v31, v31, v39
	v_cvt_i32_f32_e32 v46, v46
	v_exp_f32_e32 v34, v34
	v_cmp_ngt_f32_e64 s0, 0xc2ce8ed0, v15
	v_fmac_f32_e32 v49, 0x32a5705f, v19
	v_exp_f32_e32 v31, v31
	v_sub_f32_e32 v36, v36, v50
	v_cvt_i32_f32_e32 v50, v50
	v_cmp_ngt_f32_e64 s1, 0xc2ce8ed0, v17
	v_rndne_f32_e32 v54, v38
	s_delay_alu instid0(VALU_DEP_4) | instskip(NEXT) | instid1(TRANS32_DEP_2)
	v_add_f32_e32 v36, v36, v49
	v_ldexp_f32 v34, v34, v46
	v_cmp_ngt_f32_e64 s2, 0xc2ce8ed0, v19
	s_delay_alu instid0(TRANS32_DEP_1) | instskip(NEXT) | instid1(VALU_DEP_4)
	v_ldexp_f32 v31, v31, v40
	v_exp_f32_e32 v36, v36
	s_delay_alu instid0(VALU_DEP_1) | instskip(SKIP_1) | instid1(VALU_DEP_1)
	v_cndmask_b32_e64 v31, 0, v31, s5
	v_cmp_ngt_f32_e64 s5, 0xc2ce8ed0, v11
	v_cndmask_b32_e64 v32, 0, v32, s5
	v_cmp_nlt_f32_e64 s5, 0x42b17218, v9
	s_waitcnt_depctr 0xfff
	v_ldexp_f32 v36, v36, v50
	v_cndmask_b32_e64 v9, 0x7f800000, v31, s5
	v_cndmask_b32_e32 v31, 0, v33, vcc_lo
	v_cmp_nlt_f32_e32 vcc_lo, 0x42b17218, v11
	s_delay_alu instid0(VALU_DEP_3) | instskip(SKIP_1) | instid1(VALU_DEP_2)
	v_dual_fmac_f32 v8, v9, v10 :: v_dual_cndmask_b32 v11, 0x7f800000, v32
	v_cmp_nlt_f32_e32 vcc_lo, 0x42b17218, v13
	v_fmac_f32_e32 v8, v11, v12
	v_cndmask_b32_e32 v10, 0x7f800000, v31, vcc_lo
	v_cmp_nlt_f32_e32 vcc_lo, 0x42b17218, v15
	v_fma_f32 v53, 0x3fb8aa3b, v23, -v38
	v_sub_f32_e32 v38, v38, v54
	v_cvt_i32_f32_e32 v54, v54
	v_fmac_f32_e32 v8, v10, v14
	v_cmp_ngt_f32_e64 s4, 0xc2ce8ed0, v23
	v_fmac_f32_e32 v53, 0x32a5705f, v23
	s_delay_alu instid0(VALU_DEP_1) | instskip(NEXT) | instid1(VALU_DEP_1)
	v_dual_sub_f32 v21, v21, v6 :: v_dual_add_f32 v38, v38, v53
	v_cmp_ngt_f32_e64 s3, 0xc2ce8ed0, v21
	s_delay_alu instid0(VALU_DEP_2)
	v_exp_f32_e32 v38, v38
	s_waitcnt_depctr 0xfff
	v_ldexp_f32 v38, v38, v54
	s_waitcnt vmcnt(7)
	v_fmac_f32_e32 v7, v25, v9
	v_cndmask_b32_e64 v9, 0, v34, s0
	s_delay_alu instid0(VALU_DEP_1) | instskip(SKIP_1) | instid1(VALU_DEP_3)
	v_cndmask_b32_e32 v9, 0x7f800000, v9, vcc_lo
	s_waitcnt vmcnt(6)
	v_fmac_f32_e32 v7, v26, v11
	v_cmp_nlt_f32_e32 vcc_lo, 0x42b17218, v17
	s_delay_alu instid0(VALU_DEP_3) | instskip(SKIP_1) | instid1(VALU_DEP_3)
	v_dual_fmac_f32 v8, v9, v16 :: v_dual_mul_f32 v35, 0x3fb8aa3b, v17
	s_waitcnt vmcnt(5)
	v_fmac_f32_e32 v7, v27, v10
	s_delay_alu instid0(VALU_DEP_2) | instskip(SKIP_2) | instid1(VALU_DEP_3)
	v_fma_f32 v47, 0x3fb8aa3b, v17, -v35
	v_rndne_f32_e32 v48, v35
	v_cndmask_b32_e64 v10, 0, v36, s2
	v_fmac_f32_e32 v47, 0x32a5705f, v17
	s_delay_alu instid0(VALU_DEP_3) | instskip(SKIP_1) | instid1(VALU_DEP_2)
	v_sub_f32_e32 v35, v35, v48
	v_cvt_i32_f32_e32 v48, v48
	v_add_f32_e32 v35, v35, v47
	s_waitcnt vmcnt(4)
	v_fmac_f32_e32 v7, v28, v9
	s_delay_alu instid0(VALU_DEP_2) | instskip(SKIP_2) | instid1(VALU_DEP_1)
	v_exp_f32_e32 v35, v35
	s_waitcnt_depctr 0xfff
	v_ldexp_f32 v35, v35, v48
	v_cndmask_b32_e64 v11, 0, v35, s1
	s_delay_alu instid0(VALU_DEP_1) | instskip(SKIP_1) | instid1(VALU_DEP_2)
	v_cndmask_b32_e32 v11, 0x7f800000, v11, vcc_lo
	v_cmp_nlt_f32_e32 vcc_lo, 0x42b17218, v19
	v_fmac_f32_e32 v8, v11, v18
	v_cndmask_b32_e32 v10, 0x7f800000, v10, vcc_lo
	v_mul_f32_e32 v37, 0x3fb8aa3b, v21
	s_waitcnt vmcnt(3)
	v_fmac_f32_e32 v7, v29, v11
	v_cmp_nlt_f32_e32 vcc_lo, 0x42b17218, v21
	v_cndmask_b32_e64 v11, 0, v38, s4
	v_fmac_f32_e32 v8, v10, v20
	v_fma_f32 v51, 0x3fb8aa3b, v21, -v37
	v_rndne_f32_e32 v52, v37
	s_waitcnt vmcnt(2)
	v_fmac_f32_e32 v7, v30, v10
	s_delay_alu instid0(VALU_DEP_3) | instskip(NEXT) | instid1(VALU_DEP_3)
	v_fmac_f32_e32 v51, 0x32a5705f, v21
	v_sub_f32_e32 v37, v37, v52
	v_cvt_i32_f32_e32 v52, v52
	s_delay_alu instid0(VALU_DEP_2) | instskip(NEXT) | instid1(VALU_DEP_1)
	v_add_f32_e32 v37, v37, v51
	v_exp_f32_e32 v37, v37
	s_waitcnt_depctr 0xfff
	v_ldexp_f32 v37, v37, v52
	s_delay_alu instid0(VALU_DEP_1) | instskip(NEXT) | instid1(VALU_DEP_1)
	v_cndmask_b32_e64 v9, 0, v37, s3
	v_cndmask_b32_e32 v9, 0x7f800000, v9, vcc_lo
	v_cmp_nlt_f32_e32 vcc_lo, 0x42b17218, v23
	s_delay_alu instid0(VALU_DEP_2) | instskip(SKIP_3) | instid1(VALU_DEP_1)
	v_fmac_f32_e32 v8, v9, v22
	s_waitcnt vmcnt(1)
	v_dual_cndmask_b32 v10, 0x7f800000, v11 :: v_dual_fmac_f32 v7, v2, v9
	s_waitcnt vmcnt(0)
	v_dual_fmac_f32 v8, v10, v24 :: v_dual_fmac_f32 v7, v3, v10
	s_cbranch_scc0 .LBB38_14
; %bb.15:
	s_and_b32 s0, s11, 7
	s_delay_alu instid0(SALU_CYCLE_1)
	s_cmp_eq_u32 s0, 0
	s_cbranch_scc0 .LBB38_18
	s_branch .LBB38_20
.LBB38_16:
	v_mov_b32_e32 v0, 0x7fc00000
	s_branch .LBB38_21
.LBB38_17:
	v_mov_b32_e32 v8, 0
	s_mov_b32 s12, 0
	s_and_b32 s0, s11, 7
	s_delay_alu instid0(SALU_CYCLE_1)
	s_cmp_eq_u32 s0, 0
	s_cbranch_scc1 .LBB38_20
.LBB38_18:
	v_lshl_or_b32 v0, s12, 9, v0
	v_mov_b32_e32 v1, 0
	s_lshl_b32 s1, s12, 3
	s_delay_alu instid0(SALU_CYCLE_1)
	s_add_i32 s1, s1, 0
	s_set_inst_prefetch_distance 0x1
	.p2align	6
.LBB38_19:                              ; =>This Inner Loop Header: Depth=1
	s_delay_alu instid0(VALU_DEP_1) | instskip(SKIP_2) | instid1(VALU_DEP_2)
	v_lshlrev_b64 v[2:3], 2, v[0:1]
	s_add_i32 s0, s0, -1
	v_add_nc_u32_e32 v0, 0x200, v0
	v_add_co_u32 v2, vcc_lo, s6, v2
	s_delay_alu instid0(VALU_DEP_3)
	v_add_co_ci_u32_e32 v3, vcc_lo, s7, v3, vcc_lo
	global_load_b32 v4, v[2:3], off
	v_mov_b32_e32 v2, s1
	s_add_i32 s1, s1, 8
	s_cmp_lg_u32 s0, 0
	ds_load_b64 v[2:3], v2
	s_waitcnt lgkmcnt(0)
	v_sub_f32_e32 v2, v2, v6
	s_delay_alu instid0(VALU_DEP_1) | instskip(SKIP_1) | instid1(VALU_DEP_2)
	v_mul_f32_e32 v9, 0x3fb8aa3b, v2
	v_cmp_ngt_f32_e32 vcc_lo, 0xc2ce8ed0, v2
	v_fma_f32 v10, 0x3fb8aa3b, v2, -v9
	v_rndne_f32_e32 v11, v9
	s_delay_alu instid0(VALU_DEP_1) | instskip(NEXT) | instid1(VALU_DEP_1)
	v_dual_fmac_f32 v10, 0x32a5705f, v2 :: v_dual_sub_f32 v9, v9, v11
	v_add_f32_e32 v9, v9, v10
	v_cvt_i32_f32_e32 v10, v11
	s_delay_alu instid0(VALU_DEP_2) | instskip(SKIP_2) | instid1(VALU_DEP_1)
	v_exp_f32_e32 v9, v9
	s_waitcnt_depctr 0xfff
	v_ldexp_f32 v9, v9, v10
	v_cndmask_b32_e32 v9, 0, v9, vcc_lo
	v_cmp_nlt_f32_e32 vcc_lo, 0x42b17218, v2
	s_delay_alu instid0(VALU_DEP_2) | instskip(SKIP_1) | instid1(VALU_DEP_1)
	v_cndmask_b32_e32 v2, 0x7f800000, v9, vcc_lo
	s_waitcnt vmcnt(0)
	v_dual_fmac_f32 v8, v2, v3 :: v_dual_fmac_f32 v7, v4, v2
	s_cbranch_scc1 .LBB38_19
.LBB38_20:
	s_set_inst_prefetch_distance 0x2
	s_delay_alu instid0(VALU_DEP_1) | instskip(NEXT) | instid1(VALU_DEP_1)
	v_div_scale_f32 v0, null, v8, v8, v7
	v_rcp_f32_e32 v1, v0
	s_waitcnt_depctr 0xfff
	v_fma_f32 v2, -v0, v1, 1.0
	s_delay_alu instid0(VALU_DEP_1) | instskip(SKIP_1) | instid1(VALU_DEP_1)
	v_fmac_f32_e32 v1, v2, v1
	v_div_scale_f32 v2, vcc_lo, v7, v8, v7
	v_mul_f32_e32 v3, v2, v1
	s_delay_alu instid0(VALU_DEP_1) | instskip(NEXT) | instid1(VALU_DEP_1)
	v_fma_f32 v4, -v0, v3, v2
	v_fmac_f32_e32 v3, v4, v1
	s_delay_alu instid0(VALU_DEP_1) | instskip(NEXT) | instid1(VALU_DEP_1)
	v_fma_f32 v0, -v0, v3, v2
	v_div_fmas_f32 v0, v0, v1, v3
	s_delay_alu instid0(VALU_DEP_1)
	v_div_fixup_f32 v0, v0, v8, v7
.LBB38_21:
	s_lshl_b32 s0, s10, 9
	s_delay_alu instid0(SALU_CYCLE_1) | instskip(NEXT) | instid1(SALU_CYCLE_1)
	s_ashr_i32 s1, s0, 31
	s_lshl_b64 s[0:1], s[0:1], 2
	s_delay_alu instid0(SALU_CYCLE_1)
	s_add_u32 s0, s8, s0
	s_addc_u32 s1, s9, s1
	global_store_b32 v5, v0, s[0:1]
	s_nop 0
	s_sendmsg sendmsg(MSG_DEALLOC_VGPRS)
	s_endpgm
	.section	.rodata,"a",@progbits
	.p2align	6, 0x0
	.amdhsa_kernel _ZL26flash_attn_combine_resultsILi512EEvPKfPK15HIP_vector_typeIfLj2EEPfi
		.amdhsa_group_segment_fixed_size 0
		.amdhsa_private_segment_fixed_size 0
		.amdhsa_kernarg_size 288
		.amdhsa_user_sgpr_count 13
		.amdhsa_user_sgpr_dispatch_ptr 0
		.amdhsa_user_sgpr_queue_ptr 0
		.amdhsa_user_sgpr_kernarg_segment_ptr 1
		.amdhsa_user_sgpr_dispatch_id 0
		.amdhsa_user_sgpr_private_segment_size 0
		.amdhsa_wavefront_size32 1
		.amdhsa_uses_dynamic_stack 0
		.amdhsa_enable_private_segment 0
		.amdhsa_system_sgpr_workgroup_id_x 1
		.amdhsa_system_sgpr_workgroup_id_y 1
		.amdhsa_system_sgpr_workgroup_id_z 1
		.amdhsa_system_sgpr_workgroup_info 0
		.amdhsa_system_vgpr_workitem_id 0
		.amdhsa_next_free_vgpr 55
		.amdhsa_next_free_sgpr 16
		.amdhsa_reserve_vcc 1
		.amdhsa_float_round_mode_32 0
		.amdhsa_float_round_mode_16_64 0
		.amdhsa_float_denorm_mode_32 3
		.amdhsa_float_denorm_mode_16_64 3
		.amdhsa_dx10_clamp 1
		.amdhsa_ieee_mode 1
		.amdhsa_fp16_overflow 0
		.amdhsa_workgroup_processor_mode 1
		.amdhsa_memory_ordered 1
		.amdhsa_forward_progress 0
		.amdhsa_shared_vgpr_count 0
		.amdhsa_exception_fp_ieee_invalid_op 0
		.amdhsa_exception_fp_denorm_src 0
		.amdhsa_exception_fp_ieee_div_zero 0
		.amdhsa_exception_fp_ieee_overflow 0
		.amdhsa_exception_fp_ieee_underflow 0
		.amdhsa_exception_fp_ieee_inexact 0
		.amdhsa_exception_int_div_zero 0
	.end_amdhsa_kernel
	.section	.text._ZL26flash_attn_combine_resultsILi512EEvPKfPK15HIP_vector_typeIfLj2EEPfi,"axG",@progbits,_ZL26flash_attn_combine_resultsILi512EEvPKfPK15HIP_vector_typeIfLj2EEPfi,comdat
.Lfunc_end38:
	.size	_ZL26flash_attn_combine_resultsILi512EEvPKfPK15HIP_vector_typeIfLj2EEPfi, .Lfunc_end38-_ZL26flash_attn_combine_resultsILi512EEvPKfPK15HIP_vector_typeIfLj2EEPfi
                                        ; -- End function
	.section	.AMDGPU.csdata,"",@progbits
; Kernel info:
; codeLenInByte = 2352
; NumSgprs: 18
; NumVgprs: 55
; ScratchSize: 0
; MemoryBound: 0
; FloatMode: 240
; IeeeMode: 1
; LDSByteSize: 0 bytes/workgroup (compile time only)
; SGPRBlocks: 2
; VGPRBlocks: 6
; NumSGPRsForWavesPerEU: 18
; NumVGPRsForWavesPerEU: 55
; Occupancy: 16
; WaveLimiterHint : 0
; COMPUTE_PGM_RSRC2:SCRATCH_EN: 0
; COMPUTE_PGM_RSRC2:USER_SGPR: 13
; COMPUTE_PGM_RSRC2:TRAP_HANDLER: 0
; COMPUTE_PGM_RSRC2:TGID_X_EN: 1
; COMPUTE_PGM_RSRC2:TGID_Y_EN: 1
; COMPUTE_PGM_RSRC2:TGID_Z_EN: 1
; COMPUTE_PGM_RSRC2:TIDIG_COMP_CNT: 0
	.section	.text._ZL18flash_attn_ext_f16ILi576ELi512ELi8ELi4ELb0ELb1EEvPKcS1_S1_S1_S1_PKiPfP15HIP_vector_typeIfLj2EEffffjfiS5_IjLj3EEiiiiiiiiiiiliiliiiiil,"axG",@progbits,_ZL18flash_attn_ext_f16ILi576ELi512ELi8ELi4ELb0ELb1EEvPKcS1_S1_S1_S1_PKiPfP15HIP_vector_typeIfLj2EEffffjfiS5_IjLj3EEiiiiiiiiiiiliiliiiiil,comdat
	.globl	_ZL18flash_attn_ext_f16ILi576ELi512ELi8ELi4ELb0ELb1EEvPKcS1_S1_S1_S1_PKiPfP15HIP_vector_typeIfLj2EEffffjfiS5_IjLj3EEiiiiiiiiiiiliiliiiiil ; -- Begin function _ZL18flash_attn_ext_f16ILi576ELi512ELi8ELi4ELb0ELb1EEvPKcS1_S1_S1_S1_PKiPfP15HIP_vector_typeIfLj2EEffffjfiS5_IjLj3EEiiiiiiiiiiiliiliiiiil
	.p2align	8
	.type	_ZL18flash_attn_ext_f16ILi576ELi512ELi8ELi4ELb0ELb1EEvPKcS1_S1_S1_S1_PKiPfP15HIP_vector_typeIfLj2EEffffjfiS5_IjLj3EEiiiiiiiiiiiliiliiiiil,@function
_ZL18flash_attn_ext_f16ILi576ELi512ELi8ELi4ELb0ELb1EEvPKcS1_S1_S1_S1_PKiPfP15HIP_vector_typeIfLj2EEffffjfiS5_IjLj3EEiiiiiiiiiiiliiliiiiil: ; @_ZL18flash_attn_ext_f16ILi576ELi512ELi8ELi4ELb0ELb1EEvPKcS1_S1_S1_S1_PKiPfP15HIP_vector_typeIfLj2EEffffjfiS5_IjLj3EEiiiiiiiiiiiliiliiiiil
; %bb.0:
	v_mov_b32_e32 v0, 0x6e3
	s_add_u32 s8, s0, 0xd0
	s_addc_u32 s9, s1, 0
	s_mov_b32 s32, 0
	s_getpc_b64 s[0:1]
	s_add_u32 s0, s0, _ZL14no_device_codePKciS0_iS0_@rel32@lo+4
	s_addc_u32 s1, s1, _ZL14no_device_codePKciS0_iS0_@rel32@hi+12
	s_delay_alu instid0(SALU_CYCLE_1)
	s_swappc_b64 s[30:31], s[0:1]
	.section	.rodata,"a",@progbits
	.p2align	6, 0x0
	.amdhsa_kernel _ZL18flash_attn_ext_f16ILi576ELi512ELi8ELi4ELb0ELb1EEvPKcS1_S1_S1_S1_PKiPfP15HIP_vector_typeIfLj2EEffffjfiS5_IjLj3EEiiiiiiiiiiiliiliiiiil
		.amdhsa_group_segment_fixed_size 0
		.amdhsa_private_segment_fixed_size 16
		.amdhsa_kernarg_size 464
		.amdhsa_user_sgpr_count 15
		.amdhsa_user_sgpr_dispatch_ptr 0
		.amdhsa_user_sgpr_queue_ptr 0
		.amdhsa_user_sgpr_kernarg_segment_ptr 1
		.amdhsa_user_sgpr_dispatch_id 0
		.amdhsa_user_sgpr_private_segment_size 0
		.amdhsa_wavefront_size32 1
		.amdhsa_uses_dynamic_stack 0
		.amdhsa_enable_private_segment 1
		.amdhsa_system_sgpr_workgroup_id_x 1
		.amdhsa_system_sgpr_workgroup_id_y 0
		.amdhsa_system_sgpr_workgroup_id_z 0
		.amdhsa_system_sgpr_workgroup_info 0
		.amdhsa_system_vgpr_workitem_id 0
		.amdhsa_next_free_vgpr 37
		.amdhsa_next_free_sgpr 34
		.amdhsa_reserve_vcc 1
		.amdhsa_float_round_mode_32 0
		.amdhsa_float_round_mode_16_64 0
		.amdhsa_float_denorm_mode_32 3
		.amdhsa_float_denorm_mode_16_64 3
		.amdhsa_dx10_clamp 1
		.amdhsa_ieee_mode 1
		.amdhsa_fp16_overflow 0
		.amdhsa_workgroup_processor_mode 1
		.amdhsa_memory_ordered 1
		.amdhsa_forward_progress 0
		.amdhsa_shared_vgpr_count 0
		.amdhsa_exception_fp_ieee_invalid_op 0
		.amdhsa_exception_fp_denorm_src 0
		.amdhsa_exception_fp_ieee_div_zero 0
		.amdhsa_exception_fp_ieee_overflow 0
		.amdhsa_exception_fp_ieee_underflow 0
		.amdhsa_exception_fp_ieee_inexact 0
		.amdhsa_exception_int_div_zero 0
	.end_amdhsa_kernel
	.section	.text._ZL18flash_attn_ext_f16ILi576ELi512ELi8ELi4ELb0ELb1EEvPKcS1_S1_S1_S1_PKiPfP15HIP_vector_typeIfLj2EEffffjfiS5_IjLj3EEiiiiiiiiiiiliiliiiiil,"axG",@progbits,_ZL18flash_attn_ext_f16ILi576ELi512ELi8ELi4ELb0ELb1EEvPKcS1_S1_S1_S1_PKiPfP15HIP_vector_typeIfLj2EEffffjfiS5_IjLj3EEiiiiiiiiiiiliiliiiiil,comdat
.Lfunc_end39:
	.size	_ZL18flash_attn_ext_f16ILi576ELi512ELi8ELi4ELb0ELb1EEvPKcS1_S1_S1_S1_PKiPfP15HIP_vector_typeIfLj2EEffffjfiS5_IjLj3EEiiiiiiiiiiiliiliiiiil, .Lfunc_end39-_ZL18flash_attn_ext_f16ILi576ELi512ELi8ELi4ELb0ELb1EEvPKcS1_S1_S1_S1_PKiPfP15HIP_vector_typeIfLj2EEffffjfiS5_IjLj3EEiiiiiiiiiiiliiliiiiil
                                        ; -- End function
	.section	.AMDGPU.csdata,"",@progbits
; Kernel info:
; codeLenInByte = 52
; NumSgprs: 36
; NumVgprs: 37
; ScratchSize: 16
; MemoryBound: 0
; FloatMode: 240
; IeeeMode: 1
; LDSByteSize: 0 bytes/workgroup (compile time only)
; SGPRBlocks: 4
; VGPRBlocks: 4
; NumSGPRsForWavesPerEU: 36
; NumVGPRsForWavesPerEU: 37
; Occupancy: 16
; WaveLimiterHint : 1
; COMPUTE_PGM_RSRC2:SCRATCH_EN: 1
; COMPUTE_PGM_RSRC2:USER_SGPR: 15
; COMPUTE_PGM_RSRC2:TRAP_HANDLER: 0
; COMPUTE_PGM_RSRC2:TGID_X_EN: 1
; COMPUTE_PGM_RSRC2:TGID_Y_EN: 0
; COMPUTE_PGM_RSRC2:TGID_Z_EN: 0
; COMPUTE_PGM_RSRC2:TIDIG_COMP_CNT: 0
	.section	.text._ZL18flash_attn_ext_f16ILi576ELi512ELi8ELi4ELb1ELb1EEvPKcS1_S1_S1_S1_PKiPfP15HIP_vector_typeIfLj2EEffffjfiS5_IjLj3EEiiiiiiiiiiiliiliiiiil,"axG",@progbits,_ZL18flash_attn_ext_f16ILi576ELi512ELi8ELi4ELb1ELb1EEvPKcS1_S1_S1_S1_PKiPfP15HIP_vector_typeIfLj2EEffffjfiS5_IjLj3EEiiiiiiiiiiiliiliiiiil,comdat
	.globl	_ZL18flash_attn_ext_f16ILi576ELi512ELi8ELi4ELb1ELb1EEvPKcS1_S1_S1_S1_PKiPfP15HIP_vector_typeIfLj2EEffffjfiS5_IjLj3EEiiiiiiiiiiiliiliiiiil ; -- Begin function _ZL18flash_attn_ext_f16ILi576ELi512ELi8ELi4ELb1ELb1EEvPKcS1_S1_S1_S1_PKiPfP15HIP_vector_typeIfLj2EEffffjfiS5_IjLj3EEiiiiiiiiiiiliiliiiiil
	.p2align	8
	.type	_ZL18flash_attn_ext_f16ILi576ELi512ELi8ELi4ELb1ELb1EEvPKcS1_S1_S1_S1_PKiPfP15HIP_vector_typeIfLj2EEffffjfiS5_IjLj3EEiiiiiiiiiiiliiliiiiil,@function
_ZL18flash_attn_ext_f16ILi576ELi512ELi8ELi4ELb1ELb1EEvPKcS1_S1_S1_S1_PKiPfP15HIP_vector_typeIfLj2EEffffjfiS5_IjLj3EEiiiiiiiiiiiliiliiiiil: ; @_ZL18flash_attn_ext_f16ILi576ELi512ELi8ELi4ELb1ELb1EEvPKcS1_S1_S1_S1_PKiPfP15HIP_vector_typeIfLj2EEffffjfiS5_IjLj3EEiiiiiiiiiiiliiliiiiil
; %bb.0:
	v_mov_b32_e32 v0, 0x6cc
	s_add_u32 s8, s0, 0xd0
	s_addc_u32 s9, s1, 0
	s_mov_b32 s32, 0
	s_getpc_b64 s[0:1]
	s_add_u32 s0, s0, _ZL14no_device_codePKciS0_iS0_@rel32@lo+4
	s_addc_u32 s1, s1, _ZL14no_device_codePKciS0_iS0_@rel32@hi+12
	s_delay_alu instid0(SALU_CYCLE_1)
	s_swappc_b64 s[30:31], s[0:1]
	.section	.rodata,"a",@progbits
	.p2align	6, 0x0
	.amdhsa_kernel _ZL18flash_attn_ext_f16ILi576ELi512ELi8ELi4ELb1ELb1EEvPKcS1_S1_S1_S1_PKiPfP15HIP_vector_typeIfLj2EEffffjfiS5_IjLj3EEiiiiiiiiiiiliiliiiiil
		.amdhsa_group_segment_fixed_size 0
		.amdhsa_private_segment_fixed_size 16
		.amdhsa_kernarg_size 464
		.amdhsa_user_sgpr_count 15
		.amdhsa_user_sgpr_dispatch_ptr 0
		.amdhsa_user_sgpr_queue_ptr 0
		.amdhsa_user_sgpr_kernarg_segment_ptr 1
		.amdhsa_user_sgpr_dispatch_id 0
		.amdhsa_user_sgpr_private_segment_size 0
		.amdhsa_wavefront_size32 1
		.amdhsa_uses_dynamic_stack 0
		.amdhsa_enable_private_segment 1
		.amdhsa_system_sgpr_workgroup_id_x 1
		.amdhsa_system_sgpr_workgroup_id_y 0
		.amdhsa_system_sgpr_workgroup_id_z 0
		.amdhsa_system_sgpr_workgroup_info 0
		.amdhsa_system_vgpr_workitem_id 0
		.amdhsa_next_free_vgpr 37
		.amdhsa_next_free_sgpr 34
		.amdhsa_reserve_vcc 1
		.amdhsa_float_round_mode_32 0
		.amdhsa_float_round_mode_16_64 0
		.amdhsa_float_denorm_mode_32 3
		.amdhsa_float_denorm_mode_16_64 3
		.amdhsa_dx10_clamp 1
		.amdhsa_ieee_mode 1
		.amdhsa_fp16_overflow 0
		.amdhsa_workgroup_processor_mode 1
		.amdhsa_memory_ordered 1
		.amdhsa_forward_progress 0
		.amdhsa_shared_vgpr_count 0
		.amdhsa_exception_fp_ieee_invalid_op 0
		.amdhsa_exception_fp_denorm_src 0
		.amdhsa_exception_fp_ieee_div_zero 0
		.amdhsa_exception_fp_ieee_overflow 0
		.amdhsa_exception_fp_ieee_underflow 0
		.amdhsa_exception_fp_ieee_inexact 0
		.amdhsa_exception_int_div_zero 0
	.end_amdhsa_kernel
	.section	.text._ZL18flash_attn_ext_f16ILi576ELi512ELi8ELi4ELb1ELb1EEvPKcS1_S1_S1_S1_PKiPfP15HIP_vector_typeIfLj2EEffffjfiS5_IjLj3EEiiiiiiiiiiiliiliiiiil,"axG",@progbits,_ZL18flash_attn_ext_f16ILi576ELi512ELi8ELi4ELb1ELb1EEvPKcS1_S1_S1_S1_PKiPfP15HIP_vector_typeIfLj2EEffffjfiS5_IjLj3EEiiiiiiiiiiiliiliiiiil,comdat
.Lfunc_end40:
	.size	_ZL18flash_attn_ext_f16ILi576ELi512ELi8ELi4ELb1ELb1EEvPKcS1_S1_S1_S1_PKiPfP15HIP_vector_typeIfLj2EEffffjfiS5_IjLj3EEiiiiiiiiiiiliiliiiiil, .Lfunc_end40-_ZL18flash_attn_ext_f16ILi576ELi512ELi8ELi4ELb1ELb1EEvPKcS1_S1_S1_S1_PKiPfP15HIP_vector_typeIfLj2EEffffjfiS5_IjLj3EEiiiiiiiiiiiliiliiiiil
                                        ; -- End function
	.section	.AMDGPU.csdata,"",@progbits
; Kernel info:
; codeLenInByte = 52
; NumSgprs: 36
; NumVgprs: 37
; ScratchSize: 16
; MemoryBound: 0
; FloatMode: 240
; IeeeMode: 1
; LDSByteSize: 0 bytes/workgroup (compile time only)
; SGPRBlocks: 4
; VGPRBlocks: 4
; NumSGPRsForWavesPerEU: 36
; NumVGPRsForWavesPerEU: 37
; Occupancy: 16
; WaveLimiterHint : 1
; COMPUTE_PGM_RSRC2:SCRATCH_EN: 1
; COMPUTE_PGM_RSRC2:USER_SGPR: 15
; COMPUTE_PGM_RSRC2:TRAP_HANDLER: 0
; COMPUTE_PGM_RSRC2:TGID_X_EN: 1
; COMPUTE_PGM_RSRC2:TGID_Y_EN: 0
; COMPUTE_PGM_RSRC2:TGID_Z_EN: 0
; COMPUTE_PGM_RSRC2:TIDIG_COMP_CNT: 0
	.text
	.p2alignl 7, 3214868480
	.fill 96, 4, 3214868480
	.type	.str.1,@object                  ; @.str.1
	.section	.rodata.str1.1,"aMS",@progbits,1
.str.1:
	.asciz	"/root/src/amdgpu-assembly/repos/ggml-org__llama.cpp/ggml/src/ggml-cuda/template-instances/../fattn-mma-f16.cuh"
	.size	.str.1, 111

	.type	__FUNCTION__._ZL18flash_attn_ext_f16ILi64ELi64ELi8ELi4ELb1ELb0EEvPKcS1_S1_S1_S1_PKiPfP15HIP_vector_typeIfLj2EEffffjfiS5_IjLj3EEiiiiiiiiiiiliiliiiiil,@object ; @__FUNCTION__._ZL18flash_attn_ext_f16ILi64ELi64ELi8ELi4ELb1ELb0EEvPKcS1_S1_S1_S1_PKiPfP15HIP_vector_typeIfLj2EEffffjfiS5_IjLj3EEiiiiiiiiiiiliiliiiiil
__FUNCTION__._ZL18flash_attn_ext_f16ILi64ELi64ELi8ELi4ELb1ELb0EEvPKcS1_S1_S1_S1_PKiPfP15HIP_vector_typeIfLj2EEffffjfiS5_IjLj3EEiiiiiiiiiiiliiliiiiil:
	.asciz	"flash_attn_ext_f16"
	.size	__FUNCTION__._ZL18flash_attn_ext_f16ILi64ELi64ELi8ELi4ELb1ELb0EEvPKcS1_S1_S1_S1_PKiPfP15HIP_vector_typeIfLj2EEffffjfiS5_IjLj3EEiiiiiiiiiiiliiliiiiil, 19

	.type	.str.3,@object                  ; @.str.3
.str.3:
	.asciz	"%s:%d: ERROR: HIP kernel %s has no device code compatible with HIP arch %d.\n"
	.size	.str.3, 77

	.type	__hip_cuid_79577207fe6bbdab,@object ; @__hip_cuid_79577207fe6bbdab
	.section	.bss,"aw",@nobits
	.globl	__hip_cuid_79577207fe6bbdab
__hip_cuid_79577207fe6bbdab:
	.byte	0                               ; 0x0
	.size	__hip_cuid_79577207fe6bbdab, 1

	.ident	"AMD clang version 19.0.0git (https://github.com/RadeonOpenCompute/llvm-project roc-6.4.0 25133 c7fe45cf4b819c5991fe208aaa96edf142730f1d)"
	.section	".note.GNU-stack","",@progbits
	.addrsig
	.addrsig_sym __hip_cuid_79577207fe6bbdab
	.amdgpu_metadata
---
amdhsa.kernels:
  - .args:
      - .address_space:  global
        .offset:         0
        .size:           8
        .value_kind:     global_buffer
      - .address_space:  global
        .offset:         8
        .size:           8
        .value_kind:     global_buffer
      - .address_space:  global
        .offset:         16
        .size:           8
        .value_kind:     global_buffer
      - .address_space:  global
        .offset:         24
        .size:           8
        .value_kind:     global_buffer
      - .address_space:  global
        .offset:         32
        .size:           8
        .value_kind:     global_buffer
      - .address_space:  global
        .offset:         40
        .size:           8
        .value_kind:     global_buffer
      - .address_space:  global
        .offset:         48
        .size:           8
        .value_kind:     global_buffer
      - .address_space:  global
        .offset:         56
        .size:           8
        .value_kind:     global_buffer
      - .offset:         64
        .size:           4
        .value_kind:     by_value
      - .offset:         68
        .size:           4
        .value_kind:     by_value
      - .offset:         72
        .size:           4
        .value_kind:     by_value
      - .offset:         76
        .size:           4
        .value_kind:     by_value
      - .offset:         80
        .size:           4
        .value_kind:     by_value
      - .offset:         84
        .size:           4
        .value_kind:     by_value
      - .offset:         88
        .size:           4
        .value_kind:     by_value
      - .offset:         92
        .size:           12
        .value_kind:     by_value
      - .offset:         104
        .size:           4
        .value_kind:     by_value
      - .offset:         108
        .size:           4
        .value_kind:     by_value
      - .offset:         112
        .size:           4
        .value_kind:     by_value
      - .offset:         116
        .size:           4
        .value_kind:     by_value
      - .offset:         120
        .size:           4
        .value_kind:     by_value
      - .offset:         124
        .size:           4
        .value_kind:     by_value
      - .offset:         128
        .size:           4
        .value_kind:     by_value
      - .offset:         132
        .size:           4
        .value_kind:     by_value
      - .offset:         136
        .size:           4
        .value_kind:     by_value
      - .offset:         140
        .size:           4
        .value_kind:     by_value
      - .offset:         144
        .size:           4
        .value_kind:     by_value
      - .offset:         152
        .size:           8
        .value_kind:     by_value
      - .offset:         160
        .size:           4
        .value_kind:     by_value
      - .offset:         164
        .size:           4
        .value_kind:     by_value
      - .offset:         168
        .size:           8
        .value_kind:     by_value
      - .offset:         176
        .size:           4
        .value_kind:     by_value
      - .offset:         180
        .size:           4
        .value_kind:     by_value
      - .offset:         184
        .size:           4
        .value_kind:     by_value
      - .offset:         188
        .size:           4
        .value_kind:     by_value
      - .offset:         192
        .size:           4
        .value_kind:     by_value
      - .offset:         200
        .size:           8
        .value_kind:     by_value
      - .offset:         208
        .size:           4
        .value_kind:     hidden_block_count_x
      - .offset:         212
        .size:           4
        .value_kind:     hidden_block_count_y
      - .offset:         216
        .size:           4
        .value_kind:     hidden_block_count_z
      - .offset:         220
        .size:           2
        .value_kind:     hidden_group_size_x
      - .offset:         222
        .size:           2
        .value_kind:     hidden_group_size_y
      - .offset:         224
        .size:           2
        .value_kind:     hidden_group_size_z
      - .offset:         226
        .size:           2
        .value_kind:     hidden_remainder_x
      - .offset:         228
        .size:           2
        .value_kind:     hidden_remainder_y
      - .offset:         230
        .size:           2
        .value_kind:     hidden_remainder_z
      - .offset:         248
        .size:           8
        .value_kind:     hidden_global_offset_x
      - .offset:         256
        .size:           8
        .value_kind:     hidden_global_offset_y
      - .offset:         264
        .size:           8
        .value_kind:     hidden_global_offset_z
      - .offset:         272
        .size:           2
        .value_kind:     hidden_grid_dims
      - .offset:         328
        .size:           4
        .value_kind:     hidden_dynamic_lds_size
    .group_segment_fixed_size: 0
    .kernarg_segment_align: 8
    .kernarg_segment_size: 464
    .language:       OpenCL C
    .language_version:
      - 2
      - 0
    .max_flat_workgroup_size: 128
    .name:           _ZL18flash_attn_ext_f16ILi64ELi64ELi8ELi4ELb0ELb0EEvPKcS1_S1_S1_S1_PKiPfP15HIP_vector_typeIfLj2EEffffjfiS5_IjLj3EEiiiiiiiiiiiliiliiiiil
    .private_segment_fixed_size: 152
    .sgpr_count:     107
    .sgpr_spill_count: 8
    .symbol:         _ZL18flash_attn_ext_f16ILi64ELi64ELi8ELi4ELb0ELb0EEvPKcS1_S1_S1_S1_PKiPfP15HIP_vector_typeIfLj2EEffffjfiS5_IjLj3EEiiiiiiiiiiiliiliiiiil.kd
    .uniform_work_group_size: 1
    .uses_dynamic_stack: false
    .vgpr_count:     256
    .vgpr_spill_count: 37
    .wavefront_size: 32
    .workgroup_processor_mode: 1
  - .args:
      - .address_space:  global
        .offset:         0
        .size:           8
        .value_kind:     global_buffer
      - .address_space:  global
        .offset:         8
        .size:           8
        .value_kind:     global_buffer
      - .address_space:  global
        .offset:         16
        .size:           8
        .value_kind:     global_buffer
      - .address_space:  global
        .offset:         24
        .size:           8
        .value_kind:     global_buffer
      - .address_space:  global
        .offset:         32
        .size:           8
        .value_kind:     global_buffer
      - .address_space:  global
        .offset:         40
        .size:           8
        .value_kind:     global_buffer
      - .address_space:  global
        .offset:         48
        .size:           8
        .value_kind:     global_buffer
      - .address_space:  global
        .offset:         56
        .size:           8
        .value_kind:     global_buffer
      - .offset:         64
        .size:           4
        .value_kind:     by_value
      - .offset:         68
        .size:           4
        .value_kind:     by_value
      - .offset:         72
        .size:           4
        .value_kind:     by_value
      - .offset:         76
        .size:           4
        .value_kind:     by_value
      - .offset:         80
        .size:           4
        .value_kind:     by_value
      - .offset:         84
        .size:           4
        .value_kind:     by_value
      - .offset:         88
        .size:           4
        .value_kind:     by_value
      - .offset:         92
        .size:           12
        .value_kind:     by_value
      - .offset:         104
        .size:           4
        .value_kind:     by_value
      - .offset:         108
        .size:           4
        .value_kind:     by_value
      - .offset:         112
        .size:           4
        .value_kind:     by_value
      - .offset:         116
        .size:           4
        .value_kind:     by_value
      - .offset:         120
        .size:           4
        .value_kind:     by_value
      - .offset:         124
        .size:           4
        .value_kind:     by_value
      - .offset:         128
        .size:           4
        .value_kind:     by_value
      - .offset:         132
        .size:           4
        .value_kind:     by_value
      - .offset:         136
        .size:           4
        .value_kind:     by_value
      - .offset:         140
        .size:           4
        .value_kind:     by_value
      - .offset:         144
        .size:           4
        .value_kind:     by_value
      - .offset:         152
        .size:           8
        .value_kind:     by_value
      - .offset:         160
        .size:           4
        .value_kind:     by_value
      - .offset:         164
        .size:           4
        .value_kind:     by_value
      - .offset:         168
        .size:           8
        .value_kind:     by_value
      - .offset:         176
        .size:           4
        .value_kind:     by_value
      - .offset:         180
        .size:           4
        .value_kind:     by_value
      - .offset:         184
        .size:           4
        .value_kind:     by_value
      - .offset:         188
        .size:           4
        .value_kind:     by_value
      - .offset:         192
        .size:           4
        .value_kind:     by_value
      - .offset:         200
        .size:           8
        .value_kind:     by_value
      - .offset:         208
        .size:           4
        .value_kind:     hidden_block_count_x
      - .offset:         212
        .size:           4
        .value_kind:     hidden_block_count_y
      - .offset:         216
        .size:           4
        .value_kind:     hidden_block_count_z
      - .offset:         220
        .size:           2
        .value_kind:     hidden_group_size_x
      - .offset:         222
        .size:           2
        .value_kind:     hidden_group_size_y
      - .offset:         224
        .size:           2
        .value_kind:     hidden_group_size_z
      - .offset:         226
        .size:           2
        .value_kind:     hidden_remainder_x
      - .offset:         228
        .size:           2
        .value_kind:     hidden_remainder_y
      - .offset:         230
        .size:           2
        .value_kind:     hidden_remainder_z
      - .offset:         248
        .size:           8
        .value_kind:     hidden_global_offset_x
      - .offset:         256
        .size:           8
        .value_kind:     hidden_global_offset_y
      - .offset:         264
        .size:           8
        .value_kind:     hidden_global_offset_z
      - .offset:         272
        .size:           2
        .value_kind:     hidden_grid_dims
      - .offset:         288
        .size:           8
        .value_kind:     hidden_hostcall_buffer
    .group_segment_fixed_size: 0
    .kernarg_segment_align: 8
    .kernarg_segment_size: 464
    .language:       OpenCL C
    .language_version:
      - 2
      - 0
    .max_flat_workgroup_size: 128
    .name:           _ZL18flash_attn_ext_f16ILi64ELi64ELi8ELi4ELb1ELb0EEvPKcS1_S1_S1_S1_PKiPfP15HIP_vector_typeIfLj2EEffffjfiS5_IjLj3EEiiiiiiiiiiiliiliiiiil
    .private_segment_fixed_size: 16
    .sgpr_count:     36
    .sgpr_spill_count: 0
    .symbol:         _ZL18flash_attn_ext_f16ILi64ELi64ELi8ELi4ELb1ELb0EEvPKcS1_S1_S1_S1_PKiPfP15HIP_vector_typeIfLj2EEffffjfiS5_IjLj3EEiiiiiiiiiiiliiliiiiil.kd
    .uniform_work_group_size: 1
    .uses_dynamic_stack: false
    .vgpr_count:     37
    .vgpr_spill_count: 0
    .wavefront_size: 32
    .workgroup_processor_mode: 1
  - .args:
      - .actual_access:  read_only
        .address_space:  global
        .offset:         0
        .size:           8
        .value_kind:     global_buffer
      - .actual_access:  write_only
        .address_space:  global
        .offset:         8
        .size:           8
        .value_kind:     global_buffer
      - .offset:         16
        .size:           4
        .value_kind:     by_value
      - .offset:         20
        .size:           4
        .value_kind:     by_value
      - .offset:         24
        .size:           4
        .value_kind:     by_value
      - .offset:         32
        .size:           4
        .value_kind:     hidden_block_count_x
      - .offset:         36
        .size:           4
        .value_kind:     hidden_block_count_y
      - .offset:         40
        .size:           4
        .value_kind:     hidden_block_count_z
      - .offset:         44
        .size:           2
        .value_kind:     hidden_group_size_x
      - .offset:         46
        .size:           2
        .value_kind:     hidden_group_size_y
      - .offset:         48
        .size:           2
        .value_kind:     hidden_group_size_z
      - .offset:         50
        .size:           2
        .value_kind:     hidden_remainder_x
      - .offset:         52
        .size:           2
        .value_kind:     hidden_remainder_y
      - .offset:         54
        .size:           2
        .value_kind:     hidden_remainder_z
      - .offset:         72
        .size:           8
        .value_kind:     hidden_global_offset_x
      - .offset:         80
        .size:           8
        .value_kind:     hidden_global_offset_y
      - .offset:         88
        .size:           8
        .value_kind:     hidden_global_offset_z
      - .offset:         96
        .size:           2
        .value_kind:     hidden_grid_dims
    .group_segment_fixed_size: 128
    .kernarg_segment_align: 8
    .kernarg_segment_size: 288
    .language:       OpenCL C
    .language_version:
      - 2
      - 0
    .max_flat_workgroup_size: 128
    .name:           _ZL25flash_attn_mask_to_KV_maxILi8EEvPK7__half2Piiii
    .private_segment_fixed_size: 0
    .sgpr_count:     29
    .sgpr_spill_count: 0
    .symbol:         _ZL25flash_attn_mask_to_KV_maxILi8EEvPK7__half2Piiii.kd
    .uniform_work_group_size: 1
    .uses_dynamic_stack: false
    .vgpr_count:     9
    .vgpr_spill_count: 0
    .wavefront_size: 32
    .workgroup_processor_mode: 1
  - .args:
      - .address_space:  global
        .offset:         0
        .size:           8
        .value_kind:     global_buffer
      - .address_space:  global
        .offset:         8
        .size:           8
        .value_kind:     global_buffer
      - .offset:         16
        .size:           4
        .value_kind:     by_value
      - .offset:         20
        .size:           4
        .value_kind:     by_value
      - .offset:         24
        .size:           4
        .value_kind:     by_value
      - .offset:         28
        .size:           4
        .value_kind:     by_value
      - .offset:         32
        .size:           4
        .value_kind:     by_value
      - .offset:         36
        .size:           4
        .value_kind:     by_value
      - .offset:         40
        .size:           12
        .value_kind:     by_value
      - .offset:         52
        .size:           12
        .value_kind:     by_value
      - .offset:         64
        .size:           12
        .value_kind:     by_value
    .group_segment_fixed_size: 0
    .kernarg_segment_align: 8
    .kernarg_segment_size: 76
    .language:       OpenCL C
    .language_version:
      - 2
      - 0
    .max_flat_workgroup_size: 64
    .name:           _ZL33flash_attn_stream_k_fixup_uniformILi64ELi8ELi4EEvPfPK15HIP_vector_typeIfLj2EEiiiiiiS1_IjLj3EES5_S5_
    .private_segment_fixed_size: 0
    .sgpr_count:     22
    .sgpr_spill_count: 0
    .symbol:         _ZL33flash_attn_stream_k_fixup_uniformILi64ELi8ELi4EEvPfPK15HIP_vector_typeIfLj2EEiiiiiiS1_IjLj3EES5_S5_.kd
    .uniform_work_group_size: 1
    .uses_dynamic_stack: false
    .vgpr_count:     15
    .vgpr_spill_count: 0
    .wavefront_size: 32
    .workgroup_processor_mode: 1
  - .args:
      - .address_space:  global
        .offset:         0
        .size:           8
        .value_kind:     global_buffer
      - .address_space:  global
        .offset:         8
        .size:           8
        .value_kind:     global_buffer
      - .offset:         16
        .size:           4
        .value_kind:     by_value
      - .offset:         20
        .size:           4
        .value_kind:     by_value
      - .offset:         24
        .size:           4
        .value_kind:     by_value
      - .offset:         28
        .size:           4
        .value_kind:     by_value
      - .offset:         32
        .size:           12
        .value_kind:     by_value
      - .offset:         44
        .size:           12
        .value_kind:     by_value
      - .offset:         56
        .size:           12
        .value_kind:     by_value
      - .offset:         68
        .size:           12
        .value_kind:     by_value
      - .offset:         80
        .size:           4
        .value_kind:     hidden_block_count_x
      - .offset:         84
        .size:           4
        .value_kind:     hidden_block_count_y
      - .offset:         88
        .size:           4
        .value_kind:     hidden_block_count_z
      - .offset:         92
        .size:           2
        .value_kind:     hidden_group_size_x
      - .offset:         94
        .size:           2
        .value_kind:     hidden_group_size_y
      - .offset:         96
        .size:           2
        .value_kind:     hidden_group_size_z
      - .offset:         98
        .size:           2
        .value_kind:     hidden_remainder_x
      - .offset:         100
        .size:           2
        .value_kind:     hidden_remainder_y
      - .offset:         102
        .size:           2
        .value_kind:     hidden_remainder_z
      - .offset:         120
        .size:           8
        .value_kind:     hidden_global_offset_x
      - .offset:         128
        .size:           8
        .value_kind:     hidden_global_offset_y
      - .offset:         136
        .size:           8
        .value_kind:     hidden_global_offset_z
      - .offset:         144
        .size:           2
        .value_kind:     hidden_grid_dims
    .group_segment_fixed_size: 0
    .kernarg_segment_align: 8
    .kernarg_segment_size: 336
    .language:       OpenCL C
    .language_version:
      - 2
      - 0
    .max_flat_workgroup_size: 64
    .name:           _ZL33flash_attn_stream_k_fixup_generalILi64ELi8ELi4EEvPfPK15HIP_vector_typeIfLj2EEiiiiS1_IjLj3EES5_S5_S5_
    .private_segment_fixed_size: 0
    .sgpr_count:     34
    .sgpr_spill_count: 0
    .symbol:         _ZL33flash_attn_stream_k_fixup_generalILi64ELi8ELi4EEvPfPK15HIP_vector_typeIfLj2EEiiiiS1_IjLj3EES5_S5_S5_.kd
    .uniform_work_group_size: 1
    .uses_dynamic_stack: false
    .vgpr_count:     19
    .vgpr_spill_count: 0
    .wavefront_size: 32
    .workgroup_processor_mode: 1
  - .args:
      - .address_space:  global
        .offset:         0
        .size:           8
        .value_kind:     global_buffer
      - .address_space:  global
        .offset:         8
        .size:           8
        .value_kind:     global_buffer
      - .address_space:  global
        .offset:         16
        .size:           8
        .value_kind:     global_buffer
      - .offset:         24
        .size:           4
        .value_kind:     by_value
      - .offset:         32
        .size:           4
        .value_kind:     hidden_block_count_x
      - .offset:         36
        .size:           4
        .value_kind:     hidden_block_count_y
      - .offset:         40
        .size:           4
        .value_kind:     hidden_block_count_z
      - .offset:         44
        .size:           2
        .value_kind:     hidden_group_size_x
      - .offset:         46
        .size:           2
        .value_kind:     hidden_group_size_y
      - .offset:         48
        .size:           2
        .value_kind:     hidden_group_size_z
      - .offset:         50
        .size:           2
        .value_kind:     hidden_remainder_x
      - .offset:         52
        .size:           2
        .value_kind:     hidden_remainder_y
      - .offset:         54
        .size:           2
        .value_kind:     hidden_remainder_z
      - .offset:         72
        .size:           8
        .value_kind:     hidden_global_offset_x
      - .offset:         80
        .size:           8
        .value_kind:     hidden_global_offset_y
      - .offset:         88
        .size:           8
        .value_kind:     hidden_global_offset_z
      - .offset:         96
        .size:           2
        .value_kind:     hidden_grid_dims
      - .offset:         152
        .size:           4
        .value_kind:     hidden_dynamic_lds_size
    .group_segment_fixed_size: 0
    .kernarg_segment_align: 8
    .kernarg_segment_size: 288
    .language:       OpenCL C
    .language_version:
      - 2
      - 0
    .max_flat_workgroup_size: 64
    .name:           _ZL26flash_attn_combine_resultsILi64EEvPKfPK15HIP_vector_typeIfLj2EEPfi
    .private_segment_fixed_size: 0
    .sgpr_count:     18
    .sgpr_spill_count: 0
    .symbol:         _ZL26flash_attn_combine_resultsILi64EEvPKfPK15HIP_vector_typeIfLj2EEPfi.kd
    .uniform_work_group_size: 1
    .uses_dynamic_stack: false
    .vgpr_count:     55
    .vgpr_spill_count: 0
    .wavefront_size: 32
    .workgroup_processor_mode: 1
  - .args:
      - .address_space:  global
        .offset:         0
        .size:           8
        .value_kind:     global_buffer
      - .address_space:  global
        .offset:         8
        .size:           8
        .value_kind:     global_buffer
      - .address_space:  global
        .offset:         16
        .size:           8
        .value_kind:     global_buffer
      - .address_space:  global
        .offset:         24
        .size:           8
        .value_kind:     global_buffer
      - .address_space:  global
        .offset:         32
        .size:           8
        .value_kind:     global_buffer
      - .address_space:  global
        .offset:         40
        .size:           8
        .value_kind:     global_buffer
      - .address_space:  global
        .offset:         48
        .size:           8
        .value_kind:     global_buffer
      - .address_space:  global
        .offset:         56
        .size:           8
        .value_kind:     global_buffer
      - .offset:         64
        .size:           4
        .value_kind:     by_value
      - .offset:         68
        .size:           4
        .value_kind:     by_value
      - .offset:         72
        .size:           4
        .value_kind:     by_value
      - .offset:         76
        .size:           4
        .value_kind:     by_value
      - .offset:         80
        .size:           4
        .value_kind:     by_value
      - .offset:         84
        .size:           4
        .value_kind:     by_value
      - .offset:         88
        .size:           4
        .value_kind:     by_value
      - .offset:         92
        .size:           12
        .value_kind:     by_value
      - .offset:         104
        .size:           4
        .value_kind:     by_value
      - .offset:         108
        .size:           4
        .value_kind:     by_value
      - .offset:         112
        .size:           4
        .value_kind:     by_value
      - .offset:         116
        .size:           4
        .value_kind:     by_value
      - .offset:         120
        .size:           4
        .value_kind:     by_value
      - .offset:         124
        .size:           4
        .value_kind:     by_value
      - .offset:         128
        .size:           4
        .value_kind:     by_value
      - .offset:         132
        .size:           4
        .value_kind:     by_value
      - .offset:         136
        .size:           4
        .value_kind:     by_value
      - .offset:         140
        .size:           4
        .value_kind:     by_value
      - .offset:         144
        .size:           4
        .value_kind:     by_value
      - .offset:         152
        .size:           8
        .value_kind:     by_value
      - .offset:         160
        .size:           4
        .value_kind:     by_value
      - .offset:         164
        .size:           4
        .value_kind:     by_value
      - .offset:         168
        .size:           8
        .value_kind:     by_value
      - .offset:         176
        .size:           4
        .value_kind:     by_value
      - .offset:         180
        .size:           4
        .value_kind:     by_value
      - .offset:         184
        .size:           4
        .value_kind:     by_value
      - .offset:         188
        .size:           4
        .value_kind:     by_value
      - .offset:         192
        .size:           4
        .value_kind:     by_value
      - .offset:         200
        .size:           8
        .value_kind:     by_value
      - .offset:         208
        .size:           4
        .value_kind:     hidden_block_count_x
      - .offset:         212
        .size:           4
        .value_kind:     hidden_block_count_y
      - .offset:         216
        .size:           4
        .value_kind:     hidden_block_count_z
      - .offset:         220
        .size:           2
        .value_kind:     hidden_group_size_x
      - .offset:         222
        .size:           2
        .value_kind:     hidden_group_size_y
      - .offset:         224
        .size:           2
        .value_kind:     hidden_group_size_z
      - .offset:         226
        .size:           2
        .value_kind:     hidden_remainder_x
      - .offset:         228
        .size:           2
        .value_kind:     hidden_remainder_y
      - .offset:         230
        .size:           2
        .value_kind:     hidden_remainder_z
      - .offset:         248
        .size:           8
        .value_kind:     hidden_global_offset_x
      - .offset:         256
        .size:           8
        .value_kind:     hidden_global_offset_y
      - .offset:         264
        .size:           8
        .value_kind:     hidden_global_offset_z
      - .offset:         272
        .size:           2
        .value_kind:     hidden_grid_dims
      - .offset:         328
        .size:           4
        .value_kind:     hidden_dynamic_lds_size
    .group_segment_fixed_size: 0
    .kernarg_segment_align: 8
    .kernarg_segment_size: 464
    .language:       OpenCL C
    .language_version:
      - 2
      - 0
    .max_flat_workgroup_size: 128
    .name:           _ZL18flash_attn_ext_f16ILi80ELi80ELi8ELi4ELb0ELb0EEvPKcS1_S1_S1_S1_PKiPfP15HIP_vector_typeIfLj2EEffffjfiS5_IjLj3EEiiiiiiiiiiiliiliiiiil
    .private_segment_fixed_size: 584
    .sgpr_count:     107
    .sgpr_spill_count: 14
    .symbol:         _ZL18flash_attn_ext_f16ILi80ELi80ELi8ELi4ELb0ELb0EEvPKcS1_S1_S1_S1_PKiPfP15HIP_vector_typeIfLj2EEffffjfiS5_IjLj3EEiiiiiiiiiiiliiliiiiil.kd
    .uniform_work_group_size: 1
    .uses_dynamic_stack: false
    .vgpr_count:     256
    .vgpr_spill_count: 153
    .wavefront_size: 32
    .workgroup_processor_mode: 1
  - .args:
      - .address_space:  global
        .offset:         0
        .size:           8
        .value_kind:     global_buffer
      - .address_space:  global
        .offset:         8
        .size:           8
        .value_kind:     global_buffer
      - .address_space:  global
        .offset:         16
        .size:           8
        .value_kind:     global_buffer
      - .address_space:  global
        .offset:         24
        .size:           8
        .value_kind:     global_buffer
      - .address_space:  global
        .offset:         32
        .size:           8
        .value_kind:     global_buffer
      - .address_space:  global
        .offset:         40
        .size:           8
        .value_kind:     global_buffer
      - .address_space:  global
        .offset:         48
        .size:           8
        .value_kind:     global_buffer
      - .address_space:  global
        .offset:         56
        .size:           8
        .value_kind:     global_buffer
      - .offset:         64
        .size:           4
        .value_kind:     by_value
      - .offset:         68
        .size:           4
        .value_kind:     by_value
      - .offset:         72
        .size:           4
        .value_kind:     by_value
      - .offset:         76
        .size:           4
        .value_kind:     by_value
      - .offset:         80
        .size:           4
        .value_kind:     by_value
      - .offset:         84
        .size:           4
        .value_kind:     by_value
      - .offset:         88
        .size:           4
        .value_kind:     by_value
      - .offset:         92
        .size:           12
        .value_kind:     by_value
      - .offset:         104
        .size:           4
        .value_kind:     by_value
      - .offset:         108
        .size:           4
        .value_kind:     by_value
      - .offset:         112
        .size:           4
        .value_kind:     by_value
      - .offset:         116
        .size:           4
        .value_kind:     by_value
      - .offset:         120
        .size:           4
        .value_kind:     by_value
      - .offset:         124
        .size:           4
        .value_kind:     by_value
      - .offset:         128
        .size:           4
        .value_kind:     by_value
      - .offset:         132
        .size:           4
        .value_kind:     by_value
      - .offset:         136
        .size:           4
        .value_kind:     by_value
      - .offset:         140
        .size:           4
        .value_kind:     by_value
      - .offset:         144
        .size:           4
        .value_kind:     by_value
      - .offset:         152
        .size:           8
        .value_kind:     by_value
      - .offset:         160
        .size:           4
        .value_kind:     by_value
      - .offset:         164
        .size:           4
        .value_kind:     by_value
      - .offset:         168
        .size:           8
        .value_kind:     by_value
      - .offset:         176
        .size:           4
        .value_kind:     by_value
      - .offset:         180
        .size:           4
        .value_kind:     by_value
      - .offset:         184
        .size:           4
        .value_kind:     by_value
      - .offset:         188
        .size:           4
        .value_kind:     by_value
      - .offset:         192
        .size:           4
        .value_kind:     by_value
      - .offset:         200
        .size:           8
        .value_kind:     by_value
      - .offset:         208
        .size:           4
        .value_kind:     hidden_block_count_x
      - .offset:         212
        .size:           4
        .value_kind:     hidden_block_count_y
      - .offset:         216
        .size:           4
        .value_kind:     hidden_block_count_z
      - .offset:         220
        .size:           2
        .value_kind:     hidden_group_size_x
      - .offset:         222
        .size:           2
        .value_kind:     hidden_group_size_y
      - .offset:         224
        .size:           2
        .value_kind:     hidden_group_size_z
      - .offset:         226
        .size:           2
        .value_kind:     hidden_remainder_x
      - .offset:         228
        .size:           2
        .value_kind:     hidden_remainder_y
      - .offset:         230
        .size:           2
        .value_kind:     hidden_remainder_z
      - .offset:         248
        .size:           8
        .value_kind:     hidden_global_offset_x
      - .offset:         256
        .size:           8
        .value_kind:     hidden_global_offset_y
      - .offset:         264
        .size:           8
        .value_kind:     hidden_global_offset_z
      - .offset:         272
        .size:           2
        .value_kind:     hidden_grid_dims
      - .offset:         288
        .size:           8
        .value_kind:     hidden_hostcall_buffer
    .group_segment_fixed_size: 0
    .kernarg_segment_align: 8
    .kernarg_segment_size: 464
    .language:       OpenCL C
    .language_version:
      - 2
      - 0
    .max_flat_workgroup_size: 128
    .name:           _ZL18flash_attn_ext_f16ILi80ELi80ELi8ELi4ELb1ELb0EEvPKcS1_S1_S1_S1_PKiPfP15HIP_vector_typeIfLj2EEffffjfiS5_IjLj3EEiiiiiiiiiiiliiliiiiil
    .private_segment_fixed_size: 16
    .sgpr_count:     36
    .sgpr_spill_count: 0
    .symbol:         _ZL18flash_attn_ext_f16ILi80ELi80ELi8ELi4ELb1ELb0EEvPKcS1_S1_S1_S1_PKiPfP15HIP_vector_typeIfLj2EEffffjfiS5_IjLj3EEiiiiiiiiiiiliiliiiiil.kd
    .uniform_work_group_size: 1
    .uses_dynamic_stack: false
    .vgpr_count:     37
    .vgpr_spill_count: 0
    .wavefront_size: 32
    .workgroup_processor_mode: 1
  - .args:
      - .address_space:  global
        .offset:         0
        .size:           8
        .value_kind:     global_buffer
      - .address_space:  global
        .offset:         8
        .size:           8
        .value_kind:     global_buffer
      - .offset:         16
        .size:           4
        .value_kind:     by_value
      - .offset:         20
        .size:           4
        .value_kind:     by_value
      - .offset:         24
        .size:           4
        .value_kind:     by_value
      - .offset:         28
        .size:           4
        .value_kind:     by_value
      - .offset:         32
        .size:           4
        .value_kind:     by_value
      - .offset:         36
        .size:           4
        .value_kind:     by_value
      - .offset:         40
        .size:           12
        .value_kind:     by_value
      - .offset:         52
        .size:           12
        .value_kind:     by_value
      - .offset:         64
        .size:           12
        .value_kind:     by_value
    .group_segment_fixed_size: 0
    .kernarg_segment_align: 8
    .kernarg_segment_size: 76
    .language:       OpenCL C
    .language_version:
      - 2
      - 0
    .max_flat_workgroup_size: 80
    .name:           _ZL33flash_attn_stream_k_fixup_uniformILi80ELi8ELi4EEvPfPK15HIP_vector_typeIfLj2EEiiiiiiS1_IjLj3EES5_S5_
    .private_segment_fixed_size: 0
    .sgpr_count:     22
    .sgpr_spill_count: 0
    .symbol:         _ZL33flash_attn_stream_k_fixup_uniformILi80ELi8ELi4EEvPfPK15HIP_vector_typeIfLj2EEiiiiiiS1_IjLj3EES5_S5_.kd
    .uniform_work_group_size: 1
    .uses_dynamic_stack: false
    .vgpr_count:     15
    .vgpr_spill_count: 0
    .wavefront_size: 32
    .workgroup_processor_mode: 1
  - .args:
      - .address_space:  global
        .offset:         0
        .size:           8
        .value_kind:     global_buffer
      - .address_space:  global
        .offset:         8
        .size:           8
        .value_kind:     global_buffer
      - .offset:         16
        .size:           4
        .value_kind:     by_value
      - .offset:         20
        .size:           4
        .value_kind:     by_value
      - .offset:         24
        .size:           4
        .value_kind:     by_value
      - .offset:         28
        .size:           4
        .value_kind:     by_value
      - .offset:         32
        .size:           12
        .value_kind:     by_value
      - .offset:         44
        .size:           12
        .value_kind:     by_value
      - .offset:         56
        .size:           12
        .value_kind:     by_value
      - .offset:         68
        .size:           12
        .value_kind:     by_value
      - .offset:         80
        .size:           4
        .value_kind:     hidden_block_count_x
      - .offset:         84
        .size:           4
        .value_kind:     hidden_block_count_y
      - .offset:         88
        .size:           4
        .value_kind:     hidden_block_count_z
      - .offset:         92
        .size:           2
        .value_kind:     hidden_group_size_x
      - .offset:         94
        .size:           2
        .value_kind:     hidden_group_size_y
      - .offset:         96
        .size:           2
        .value_kind:     hidden_group_size_z
      - .offset:         98
        .size:           2
        .value_kind:     hidden_remainder_x
      - .offset:         100
        .size:           2
        .value_kind:     hidden_remainder_y
      - .offset:         102
        .size:           2
        .value_kind:     hidden_remainder_z
      - .offset:         120
        .size:           8
        .value_kind:     hidden_global_offset_x
      - .offset:         128
        .size:           8
        .value_kind:     hidden_global_offset_y
      - .offset:         136
        .size:           8
        .value_kind:     hidden_global_offset_z
      - .offset:         144
        .size:           2
        .value_kind:     hidden_grid_dims
    .group_segment_fixed_size: 0
    .kernarg_segment_align: 8
    .kernarg_segment_size: 336
    .language:       OpenCL C
    .language_version:
      - 2
      - 0
    .max_flat_workgroup_size: 80
    .name:           _ZL33flash_attn_stream_k_fixup_generalILi80ELi8ELi4EEvPfPK15HIP_vector_typeIfLj2EEiiiiS1_IjLj3EES5_S5_S5_
    .private_segment_fixed_size: 0
    .sgpr_count:     34
    .sgpr_spill_count: 0
    .symbol:         _ZL33flash_attn_stream_k_fixup_generalILi80ELi8ELi4EEvPfPK15HIP_vector_typeIfLj2EEiiiiS1_IjLj3EES5_S5_S5_.kd
    .uniform_work_group_size: 1
    .uses_dynamic_stack: false
    .vgpr_count:     19
    .vgpr_spill_count: 0
    .wavefront_size: 32
    .workgroup_processor_mode: 1
  - .args:
      - .address_space:  global
        .offset:         0
        .size:           8
        .value_kind:     global_buffer
      - .address_space:  global
        .offset:         8
        .size:           8
        .value_kind:     global_buffer
      - .address_space:  global
        .offset:         16
        .size:           8
        .value_kind:     global_buffer
      - .offset:         24
        .size:           4
        .value_kind:     by_value
      - .offset:         32
        .size:           4
        .value_kind:     hidden_block_count_x
      - .offset:         36
        .size:           4
        .value_kind:     hidden_block_count_y
      - .offset:         40
        .size:           4
        .value_kind:     hidden_block_count_z
      - .offset:         44
        .size:           2
        .value_kind:     hidden_group_size_x
      - .offset:         46
        .size:           2
        .value_kind:     hidden_group_size_y
      - .offset:         48
        .size:           2
        .value_kind:     hidden_group_size_z
      - .offset:         50
        .size:           2
        .value_kind:     hidden_remainder_x
      - .offset:         52
        .size:           2
        .value_kind:     hidden_remainder_y
      - .offset:         54
        .size:           2
        .value_kind:     hidden_remainder_z
      - .offset:         72
        .size:           8
        .value_kind:     hidden_global_offset_x
      - .offset:         80
        .size:           8
        .value_kind:     hidden_global_offset_y
      - .offset:         88
        .size:           8
        .value_kind:     hidden_global_offset_z
      - .offset:         96
        .size:           2
        .value_kind:     hidden_grid_dims
      - .offset:         152
        .size:           4
        .value_kind:     hidden_dynamic_lds_size
    .group_segment_fixed_size: 0
    .kernarg_segment_align: 8
    .kernarg_segment_size: 288
    .language:       OpenCL C
    .language_version:
      - 2
      - 0
    .max_flat_workgroup_size: 80
    .name:           _ZL26flash_attn_combine_resultsILi80EEvPKfPK15HIP_vector_typeIfLj2EEPfi
    .private_segment_fixed_size: 0
    .sgpr_count:     22
    .sgpr_spill_count: 0
    .symbol:         _ZL26flash_attn_combine_resultsILi80EEvPKfPK15HIP_vector_typeIfLj2EEPfi.kd
    .uniform_work_group_size: 1
    .uses_dynamic_stack: false
    .vgpr_count:     57
    .vgpr_spill_count: 0
    .wavefront_size: 32
    .workgroup_processor_mode: 1
  - .args:
      - .address_space:  global
        .offset:         0
        .size:           8
        .value_kind:     global_buffer
      - .address_space:  global
        .offset:         8
        .size:           8
        .value_kind:     global_buffer
      - .address_space:  global
        .offset:         16
        .size:           8
        .value_kind:     global_buffer
      - .address_space:  global
        .offset:         24
        .size:           8
        .value_kind:     global_buffer
      - .address_space:  global
        .offset:         32
        .size:           8
        .value_kind:     global_buffer
      - .address_space:  global
        .offset:         40
        .size:           8
        .value_kind:     global_buffer
      - .address_space:  global
        .offset:         48
        .size:           8
        .value_kind:     global_buffer
      - .address_space:  global
        .offset:         56
        .size:           8
        .value_kind:     global_buffer
      - .offset:         64
        .size:           4
        .value_kind:     by_value
      - .offset:         68
        .size:           4
        .value_kind:     by_value
      - .offset:         72
        .size:           4
        .value_kind:     by_value
      - .offset:         76
        .size:           4
        .value_kind:     by_value
      - .offset:         80
        .size:           4
        .value_kind:     by_value
      - .offset:         84
        .size:           4
        .value_kind:     by_value
      - .offset:         88
        .size:           4
        .value_kind:     by_value
      - .offset:         92
        .size:           12
        .value_kind:     by_value
      - .offset:         104
        .size:           4
        .value_kind:     by_value
      - .offset:         108
        .size:           4
        .value_kind:     by_value
      - .offset:         112
        .size:           4
        .value_kind:     by_value
      - .offset:         116
        .size:           4
        .value_kind:     by_value
      - .offset:         120
        .size:           4
        .value_kind:     by_value
      - .offset:         124
        .size:           4
        .value_kind:     by_value
      - .offset:         128
        .size:           4
        .value_kind:     by_value
      - .offset:         132
        .size:           4
        .value_kind:     by_value
      - .offset:         136
        .size:           4
        .value_kind:     by_value
      - .offset:         140
        .size:           4
        .value_kind:     by_value
      - .offset:         144
        .size:           4
        .value_kind:     by_value
      - .offset:         152
        .size:           8
        .value_kind:     by_value
      - .offset:         160
        .size:           4
        .value_kind:     by_value
      - .offset:         164
        .size:           4
        .value_kind:     by_value
      - .offset:         168
        .size:           8
        .value_kind:     by_value
      - .offset:         176
        .size:           4
        .value_kind:     by_value
      - .offset:         180
        .size:           4
        .value_kind:     by_value
      - .offset:         184
        .size:           4
        .value_kind:     by_value
      - .offset:         188
        .size:           4
        .value_kind:     by_value
      - .offset:         192
        .size:           4
        .value_kind:     by_value
      - .offset:         200
        .size:           8
        .value_kind:     by_value
      - .offset:         208
        .size:           4
        .value_kind:     hidden_block_count_x
      - .offset:         212
        .size:           4
        .value_kind:     hidden_block_count_y
      - .offset:         216
        .size:           4
        .value_kind:     hidden_block_count_z
      - .offset:         220
        .size:           2
        .value_kind:     hidden_group_size_x
      - .offset:         222
        .size:           2
        .value_kind:     hidden_group_size_y
      - .offset:         224
        .size:           2
        .value_kind:     hidden_group_size_z
      - .offset:         226
        .size:           2
        .value_kind:     hidden_remainder_x
      - .offset:         228
        .size:           2
        .value_kind:     hidden_remainder_y
      - .offset:         230
        .size:           2
        .value_kind:     hidden_remainder_z
      - .offset:         248
        .size:           8
        .value_kind:     hidden_global_offset_x
      - .offset:         256
        .size:           8
        .value_kind:     hidden_global_offset_y
      - .offset:         264
        .size:           8
        .value_kind:     hidden_global_offset_z
      - .offset:         272
        .size:           2
        .value_kind:     hidden_grid_dims
      - .offset:         328
        .size:           4
        .value_kind:     hidden_dynamic_lds_size
    .group_segment_fixed_size: 0
    .kernarg_segment_align: 8
    .kernarg_segment_size: 464
    .language:       OpenCL C
    .language_version:
      - 2
      - 0
    .max_flat_workgroup_size: 128
    .name:           _ZL18flash_attn_ext_f16ILi96ELi96ELi8ELi4ELb0ELb0EEvPKcS1_S1_S1_S1_PKiPfP15HIP_vector_typeIfLj2EEffffjfiS5_IjLj3EEiiiiiiiiiiiliiliiiiil
    .private_segment_fixed_size: 468
    .sgpr_count:     107
    .sgpr_spill_count: 14
    .symbol:         _ZL18flash_attn_ext_f16ILi96ELi96ELi8ELi4ELb0ELb0EEvPKcS1_S1_S1_S1_PKiPfP15HIP_vector_typeIfLj2EEffffjfiS5_IjLj3EEiiiiiiiiiiiliiliiiiil.kd
    .uniform_work_group_size: 1
    .uses_dynamic_stack: false
    .vgpr_count:     256
    .vgpr_spill_count: 116
    .wavefront_size: 32
    .workgroup_processor_mode: 1
  - .args:
      - .address_space:  global
        .offset:         0
        .size:           8
        .value_kind:     global_buffer
      - .address_space:  global
        .offset:         8
        .size:           8
        .value_kind:     global_buffer
      - .address_space:  global
        .offset:         16
        .size:           8
        .value_kind:     global_buffer
      - .address_space:  global
        .offset:         24
        .size:           8
        .value_kind:     global_buffer
      - .address_space:  global
        .offset:         32
        .size:           8
        .value_kind:     global_buffer
      - .address_space:  global
        .offset:         40
        .size:           8
        .value_kind:     global_buffer
      - .address_space:  global
        .offset:         48
        .size:           8
        .value_kind:     global_buffer
      - .address_space:  global
        .offset:         56
        .size:           8
        .value_kind:     global_buffer
      - .offset:         64
        .size:           4
        .value_kind:     by_value
      - .offset:         68
        .size:           4
        .value_kind:     by_value
      - .offset:         72
        .size:           4
        .value_kind:     by_value
      - .offset:         76
        .size:           4
        .value_kind:     by_value
      - .offset:         80
        .size:           4
        .value_kind:     by_value
      - .offset:         84
        .size:           4
        .value_kind:     by_value
      - .offset:         88
        .size:           4
        .value_kind:     by_value
      - .offset:         92
        .size:           12
        .value_kind:     by_value
      - .offset:         104
        .size:           4
        .value_kind:     by_value
      - .offset:         108
        .size:           4
        .value_kind:     by_value
      - .offset:         112
        .size:           4
        .value_kind:     by_value
      - .offset:         116
        .size:           4
        .value_kind:     by_value
      - .offset:         120
        .size:           4
        .value_kind:     by_value
      - .offset:         124
        .size:           4
        .value_kind:     by_value
      - .offset:         128
        .size:           4
        .value_kind:     by_value
      - .offset:         132
        .size:           4
        .value_kind:     by_value
      - .offset:         136
        .size:           4
        .value_kind:     by_value
      - .offset:         140
        .size:           4
        .value_kind:     by_value
      - .offset:         144
        .size:           4
        .value_kind:     by_value
      - .offset:         152
        .size:           8
        .value_kind:     by_value
      - .offset:         160
        .size:           4
        .value_kind:     by_value
      - .offset:         164
        .size:           4
        .value_kind:     by_value
      - .offset:         168
        .size:           8
        .value_kind:     by_value
      - .offset:         176
        .size:           4
        .value_kind:     by_value
      - .offset:         180
        .size:           4
        .value_kind:     by_value
      - .offset:         184
        .size:           4
        .value_kind:     by_value
      - .offset:         188
        .size:           4
        .value_kind:     by_value
      - .offset:         192
        .size:           4
        .value_kind:     by_value
      - .offset:         200
        .size:           8
        .value_kind:     by_value
      - .offset:         208
        .size:           4
        .value_kind:     hidden_block_count_x
      - .offset:         212
        .size:           4
        .value_kind:     hidden_block_count_y
      - .offset:         216
        .size:           4
        .value_kind:     hidden_block_count_z
      - .offset:         220
        .size:           2
        .value_kind:     hidden_group_size_x
      - .offset:         222
        .size:           2
        .value_kind:     hidden_group_size_y
      - .offset:         224
        .size:           2
        .value_kind:     hidden_group_size_z
      - .offset:         226
        .size:           2
        .value_kind:     hidden_remainder_x
      - .offset:         228
        .size:           2
        .value_kind:     hidden_remainder_y
      - .offset:         230
        .size:           2
        .value_kind:     hidden_remainder_z
      - .offset:         248
        .size:           8
        .value_kind:     hidden_global_offset_x
      - .offset:         256
        .size:           8
        .value_kind:     hidden_global_offset_y
      - .offset:         264
        .size:           8
        .value_kind:     hidden_global_offset_z
      - .offset:         272
        .size:           2
        .value_kind:     hidden_grid_dims
      - .offset:         288
        .size:           8
        .value_kind:     hidden_hostcall_buffer
    .group_segment_fixed_size: 0
    .kernarg_segment_align: 8
    .kernarg_segment_size: 464
    .language:       OpenCL C
    .language_version:
      - 2
      - 0
    .max_flat_workgroup_size: 128
    .name:           _ZL18flash_attn_ext_f16ILi96ELi96ELi8ELi4ELb1ELb0EEvPKcS1_S1_S1_S1_PKiPfP15HIP_vector_typeIfLj2EEffffjfiS5_IjLj3EEiiiiiiiiiiiliiliiiiil
    .private_segment_fixed_size: 16
    .sgpr_count:     36
    .sgpr_spill_count: 0
    .symbol:         _ZL18flash_attn_ext_f16ILi96ELi96ELi8ELi4ELb1ELb0EEvPKcS1_S1_S1_S1_PKiPfP15HIP_vector_typeIfLj2EEffffjfiS5_IjLj3EEiiiiiiiiiiiliiliiiiil.kd
    .uniform_work_group_size: 1
    .uses_dynamic_stack: false
    .vgpr_count:     37
    .vgpr_spill_count: 0
    .wavefront_size: 32
    .workgroup_processor_mode: 1
  - .args:
      - .address_space:  global
        .offset:         0
        .size:           8
        .value_kind:     global_buffer
      - .address_space:  global
        .offset:         8
        .size:           8
        .value_kind:     global_buffer
      - .offset:         16
        .size:           4
        .value_kind:     by_value
      - .offset:         20
        .size:           4
        .value_kind:     by_value
      - .offset:         24
        .size:           4
        .value_kind:     by_value
      - .offset:         28
        .size:           4
        .value_kind:     by_value
      - .offset:         32
        .size:           4
        .value_kind:     by_value
      - .offset:         36
        .size:           4
        .value_kind:     by_value
      - .offset:         40
        .size:           12
        .value_kind:     by_value
      - .offset:         52
        .size:           12
        .value_kind:     by_value
      - .offset:         64
        .size:           12
        .value_kind:     by_value
    .group_segment_fixed_size: 0
    .kernarg_segment_align: 8
    .kernarg_segment_size: 76
    .language:       OpenCL C
    .language_version:
      - 2
      - 0
    .max_flat_workgroup_size: 96
    .name:           _ZL33flash_attn_stream_k_fixup_uniformILi96ELi8ELi4EEvPfPK15HIP_vector_typeIfLj2EEiiiiiiS1_IjLj3EES5_S5_
    .private_segment_fixed_size: 0
    .sgpr_count:     22
    .sgpr_spill_count: 0
    .symbol:         _ZL33flash_attn_stream_k_fixup_uniformILi96ELi8ELi4EEvPfPK15HIP_vector_typeIfLj2EEiiiiiiS1_IjLj3EES5_S5_.kd
    .uniform_work_group_size: 1
    .uses_dynamic_stack: false
    .vgpr_count:     15
    .vgpr_spill_count: 0
    .wavefront_size: 32
    .workgroup_processor_mode: 1
  - .args:
      - .address_space:  global
        .offset:         0
        .size:           8
        .value_kind:     global_buffer
      - .address_space:  global
        .offset:         8
        .size:           8
        .value_kind:     global_buffer
      - .offset:         16
        .size:           4
        .value_kind:     by_value
      - .offset:         20
        .size:           4
        .value_kind:     by_value
      - .offset:         24
        .size:           4
        .value_kind:     by_value
      - .offset:         28
        .size:           4
        .value_kind:     by_value
      - .offset:         32
        .size:           12
        .value_kind:     by_value
      - .offset:         44
        .size:           12
        .value_kind:     by_value
      - .offset:         56
        .size:           12
        .value_kind:     by_value
      - .offset:         68
        .size:           12
        .value_kind:     by_value
      - .offset:         80
        .size:           4
        .value_kind:     hidden_block_count_x
      - .offset:         84
        .size:           4
        .value_kind:     hidden_block_count_y
      - .offset:         88
        .size:           4
        .value_kind:     hidden_block_count_z
      - .offset:         92
        .size:           2
        .value_kind:     hidden_group_size_x
      - .offset:         94
        .size:           2
        .value_kind:     hidden_group_size_y
      - .offset:         96
        .size:           2
        .value_kind:     hidden_group_size_z
      - .offset:         98
        .size:           2
        .value_kind:     hidden_remainder_x
      - .offset:         100
        .size:           2
        .value_kind:     hidden_remainder_y
      - .offset:         102
        .size:           2
        .value_kind:     hidden_remainder_z
      - .offset:         120
        .size:           8
        .value_kind:     hidden_global_offset_x
      - .offset:         128
        .size:           8
        .value_kind:     hidden_global_offset_y
      - .offset:         136
        .size:           8
        .value_kind:     hidden_global_offset_z
      - .offset:         144
        .size:           2
        .value_kind:     hidden_grid_dims
    .group_segment_fixed_size: 0
    .kernarg_segment_align: 8
    .kernarg_segment_size: 336
    .language:       OpenCL C
    .language_version:
      - 2
      - 0
    .max_flat_workgroup_size: 96
    .name:           _ZL33flash_attn_stream_k_fixup_generalILi96ELi8ELi4EEvPfPK15HIP_vector_typeIfLj2EEiiiiS1_IjLj3EES5_S5_S5_
    .private_segment_fixed_size: 0
    .sgpr_count:     34
    .sgpr_spill_count: 0
    .symbol:         _ZL33flash_attn_stream_k_fixup_generalILi96ELi8ELi4EEvPfPK15HIP_vector_typeIfLj2EEiiiiS1_IjLj3EES5_S5_S5_.kd
    .uniform_work_group_size: 1
    .uses_dynamic_stack: false
    .vgpr_count:     19
    .vgpr_spill_count: 0
    .wavefront_size: 32
    .workgroup_processor_mode: 1
  - .args:
      - .address_space:  global
        .offset:         0
        .size:           8
        .value_kind:     global_buffer
      - .address_space:  global
        .offset:         8
        .size:           8
        .value_kind:     global_buffer
      - .address_space:  global
        .offset:         16
        .size:           8
        .value_kind:     global_buffer
      - .offset:         24
        .size:           4
        .value_kind:     by_value
      - .offset:         32
        .size:           4
        .value_kind:     hidden_block_count_x
      - .offset:         36
        .size:           4
        .value_kind:     hidden_block_count_y
      - .offset:         40
        .size:           4
        .value_kind:     hidden_block_count_z
      - .offset:         44
        .size:           2
        .value_kind:     hidden_group_size_x
      - .offset:         46
        .size:           2
        .value_kind:     hidden_group_size_y
      - .offset:         48
        .size:           2
        .value_kind:     hidden_group_size_z
      - .offset:         50
        .size:           2
        .value_kind:     hidden_remainder_x
      - .offset:         52
        .size:           2
        .value_kind:     hidden_remainder_y
      - .offset:         54
        .size:           2
        .value_kind:     hidden_remainder_z
      - .offset:         72
        .size:           8
        .value_kind:     hidden_global_offset_x
      - .offset:         80
        .size:           8
        .value_kind:     hidden_global_offset_y
      - .offset:         88
        .size:           8
        .value_kind:     hidden_global_offset_z
      - .offset:         96
        .size:           2
        .value_kind:     hidden_grid_dims
      - .offset:         152
        .size:           4
        .value_kind:     hidden_dynamic_lds_size
    .group_segment_fixed_size: 0
    .kernarg_segment_align: 8
    .kernarg_segment_size: 288
    .language:       OpenCL C
    .language_version:
      - 2
      - 0
    .max_flat_workgroup_size: 96
    .name:           _ZL26flash_attn_combine_resultsILi96EEvPKfPK15HIP_vector_typeIfLj2EEPfi
    .private_segment_fixed_size: 0
    .sgpr_count:     22
    .sgpr_spill_count: 0
    .symbol:         _ZL26flash_attn_combine_resultsILi96EEvPKfPK15HIP_vector_typeIfLj2EEPfi.kd
    .uniform_work_group_size: 1
    .uses_dynamic_stack: false
    .vgpr_count:     57
    .vgpr_spill_count: 0
    .wavefront_size: 32
    .workgroup_processor_mode: 1
  - .args:
      - .address_space:  global
        .offset:         0
        .size:           8
        .value_kind:     global_buffer
      - .address_space:  global
        .offset:         8
        .size:           8
        .value_kind:     global_buffer
      - .address_space:  global
        .offset:         16
        .size:           8
        .value_kind:     global_buffer
      - .address_space:  global
        .offset:         24
        .size:           8
        .value_kind:     global_buffer
      - .address_space:  global
        .offset:         32
        .size:           8
        .value_kind:     global_buffer
      - .address_space:  global
        .offset:         40
        .size:           8
        .value_kind:     global_buffer
      - .address_space:  global
        .offset:         48
        .size:           8
        .value_kind:     global_buffer
      - .address_space:  global
        .offset:         56
        .size:           8
        .value_kind:     global_buffer
      - .offset:         64
        .size:           4
        .value_kind:     by_value
      - .offset:         68
        .size:           4
        .value_kind:     by_value
      - .offset:         72
        .size:           4
        .value_kind:     by_value
      - .offset:         76
        .size:           4
        .value_kind:     by_value
      - .offset:         80
        .size:           4
        .value_kind:     by_value
      - .offset:         84
        .size:           4
        .value_kind:     by_value
      - .offset:         88
        .size:           4
        .value_kind:     by_value
      - .offset:         92
        .size:           12
        .value_kind:     by_value
      - .offset:         104
        .size:           4
        .value_kind:     by_value
      - .offset:         108
        .size:           4
        .value_kind:     by_value
      - .offset:         112
        .size:           4
        .value_kind:     by_value
      - .offset:         116
        .size:           4
        .value_kind:     by_value
      - .offset:         120
        .size:           4
        .value_kind:     by_value
      - .offset:         124
        .size:           4
        .value_kind:     by_value
      - .offset:         128
        .size:           4
        .value_kind:     by_value
      - .offset:         132
        .size:           4
        .value_kind:     by_value
      - .offset:         136
        .size:           4
        .value_kind:     by_value
      - .offset:         140
        .size:           4
        .value_kind:     by_value
      - .offset:         144
        .size:           4
        .value_kind:     by_value
      - .offset:         152
        .size:           8
        .value_kind:     by_value
      - .offset:         160
        .size:           4
        .value_kind:     by_value
      - .offset:         164
        .size:           4
        .value_kind:     by_value
      - .offset:         168
        .size:           8
        .value_kind:     by_value
      - .offset:         176
        .size:           4
        .value_kind:     by_value
      - .offset:         180
        .size:           4
        .value_kind:     by_value
      - .offset:         184
        .size:           4
        .value_kind:     by_value
      - .offset:         188
        .size:           4
        .value_kind:     by_value
      - .offset:         192
        .size:           4
        .value_kind:     by_value
      - .offset:         200
        .size:           8
        .value_kind:     by_value
      - .offset:         208
        .size:           4
        .value_kind:     hidden_block_count_x
      - .offset:         212
        .size:           4
        .value_kind:     hidden_block_count_y
      - .offset:         216
        .size:           4
        .value_kind:     hidden_block_count_z
      - .offset:         220
        .size:           2
        .value_kind:     hidden_group_size_x
      - .offset:         222
        .size:           2
        .value_kind:     hidden_group_size_y
      - .offset:         224
        .size:           2
        .value_kind:     hidden_group_size_z
      - .offset:         226
        .size:           2
        .value_kind:     hidden_remainder_x
      - .offset:         228
        .size:           2
        .value_kind:     hidden_remainder_y
      - .offset:         230
        .size:           2
        .value_kind:     hidden_remainder_z
      - .offset:         248
        .size:           8
        .value_kind:     hidden_global_offset_x
      - .offset:         256
        .size:           8
        .value_kind:     hidden_global_offset_y
      - .offset:         264
        .size:           8
        .value_kind:     hidden_global_offset_z
      - .offset:         272
        .size:           2
        .value_kind:     hidden_grid_dims
      - .offset:         328
        .size:           4
        .value_kind:     hidden_dynamic_lds_size
    .group_segment_fixed_size: 0
    .kernarg_segment_align: 8
    .kernarg_segment_size: 464
    .language:       OpenCL C
    .language_version:
      - 2
      - 0
    .max_flat_workgroup_size: 128
    .name:           _ZL18flash_attn_ext_f16ILi112ELi112ELi8ELi4ELb0ELb0EEvPKcS1_S1_S1_S1_PKiPfP15HIP_vector_typeIfLj2EEffffjfiS5_IjLj3EEiiiiiiiiiiiliiliiiiil
    .private_segment_fixed_size: 1136
    .sgpr_count:     107
    .sgpr_spill_count: 10
    .symbol:         _ZL18flash_attn_ext_f16ILi112ELi112ELi8ELi4ELb0ELb0EEvPKcS1_S1_S1_S1_PKiPfP15HIP_vector_typeIfLj2EEffffjfiS5_IjLj3EEiiiiiiiiiiiliiliiiiil.kd
    .uniform_work_group_size: 1
    .uses_dynamic_stack: false
    .vgpr_count:     256
    .vgpr_spill_count: 352
    .wavefront_size: 32
    .workgroup_processor_mode: 1
  - .args:
      - .address_space:  global
        .offset:         0
        .size:           8
        .value_kind:     global_buffer
      - .address_space:  global
        .offset:         8
        .size:           8
        .value_kind:     global_buffer
      - .address_space:  global
        .offset:         16
        .size:           8
        .value_kind:     global_buffer
      - .address_space:  global
        .offset:         24
        .size:           8
        .value_kind:     global_buffer
      - .address_space:  global
        .offset:         32
        .size:           8
        .value_kind:     global_buffer
      - .address_space:  global
        .offset:         40
        .size:           8
        .value_kind:     global_buffer
      - .address_space:  global
        .offset:         48
        .size:           8
        .value_kind:     global_buffer
      - .address_space:  global
        .offset:         56
        .size:           8
        .value_kind:     global_buffer
      - .offset:         64
        .size:           4
        .value_kind:     by_value
      - .offset:         68
        .size:           4
        .value_kind:     by_value
      - .offset:         72
        .size:           4
        .value_kind:     by_value
      - .offset:         76
        .size:           4
        .value_kind:     by_value
      - .offset:         80
        .size:           4
        .value_kind:     by_value
      - .offset:         84
        .size:           4
        .value_kind:     by_value
      - .offset:         88
        .size:           4
        .value_kind:     by_value
      - .offset:         92
        .size:           12
        .value_kind:     by_value
      - .offset:         104
        .size:           4
        .value_kind:     by_value
      - .offset:         108
        .size:           4
        .value_kind:     by_value
      - .offset:         112
        .size:           4
        .value_kind:     by_value
      - .offset:         116
        .size:           4
        .value_kind:     by_value
      - .offset:         120
        .size:           4
        .value_kind:     by_value
      - .offset:         124
        .size:           4
        .value_kind:     by_value
      - .offset:         128
        .size:           4
        .value_kind:     by_value
      - .offset:         132
        .size:           4
        .value_kind:     by_value
      - .offset:         136
        .size:           4
        .value_kind:     by_value
      - .offset:         140
        .size:           4
        .value_kind:     by_value
      - .offset:         144
        .size:           4
        .value_kind:     by_value
      - .offset:         152
        .size:           8
        .value_kind:     by_value
      - .offset:         160
        .size:           4
        .value_kind:     by_value
      - .offset:         164
        .size:           4
        .value_kind:     by_value
      - .offset:         168
        .size:           8
        .value_kind:     by_value
      - .offset:         176
        .size:           4
        .value_kind:     by_value
      - .offset:         180
        .size:           4
        .value_kind:     by_value
      - .offset:         184
        .size:           4
        .value_kind:     by_value
      - .offset:         188
        .size:           4
        .value_kind:     by_value
      - .offset:         192
        .size:           4
        .value_kind:     by_value
      - .offset:         200
        .size:           8
        .value_kind:     by_value
      - .offset:         208
        .size:           4
        .value_kind:     hidden_block_count_x
      - .offset:         212
        .size:           4
        .value_kind:     hidden_block_count_y
      - .offset:         216
        .size:           4
        .value_kind:     hidden_block_count_z
      - .offset:         220
        .size:           2
        .value_kind:     hidden_group_size_x
      - .offset:         222
        .size:           2
        .value_kind:     hidden_group_size_y
      - .offset:         224
        .size:           2
        .value_kind:     hidden_group_size_z
      - .offset:         226
        .size:           2
        .value_kind:     hidden_remainder_x
      - .offset:         228
        .size:           2
        .value_kind:     hidden_remainder_y
      - .offset:         230
        .size:           2
        .value_kind:     hidden_remainder_z
      - .offset:         248
        .size:           8
        .value_kind:     hidden_global_offset_x
      - .offset:         256
        .size:           8
        .value_kind:     hidden_global_offset_y
      - .offset:         264
        .size:           8
        .value_kind:     hidden_global_offset_z
      - .offset:         272
        .size:           2
        .value_kind:     hidden_grid_dims
      - .offset:         288
        .size:           8
        .value_kind:     hidden_hostcall_buffer
    .group_segment_fixed_size: 0
    .kernarg_segment_align: 8
    .kernarg_segment_size: 464
    .language:       OpenCL C
    .language_version:
      - 2
      - 0
    .max_flat_workgroup_size: 128
    .name:           _ZL18flash_attn_ext_f16ILi112ELi112ELi8ELi4ELb1ELb0EEvPKcS1_S1_S1_S1_PKiPfP15HIP_vector_typeIfLj2EEffffjfiS5_IjLj3EEiiiiiiiiiiiliiliiiiil
    .private_segment_fixed_size: 16
    .sgpr_count:     36
    .sgpr_spill_count: 0
    .symbol:         _ZL18flash_attn_ext_f16ILi112ELi112ELi8ELi4ELb1ELb0EEvPKcS1_S1_S1_S1_PKiPfP15HIP_vector_typeIfLj2EEffffjfiS5_IjLj3EEiiiiiiiiiiiliiliiiiil.kd
    .uniform_work_group_size: 1
    .uses_dynamic_stack: false
    .vgpr_count:     37
    .vgpr_spill_count: 0
    .wavefront_size: 32
    .workgroup_processor_mode: 1
  - .args:
      - .address_space:  global
        .offset:         0
        .size:           8
        .value_kind:     global_buffer
      - .address_space:  global
        .offset:         8
        .size:           8
        .value_kind:     global_buffer
      - .offset:         16
        .size:           4
        .value_kind:     by_value
      - .offset:         20
        .size:           4
        .value_kind:     by_value
      - .offset:         24
        .size:           4
        .value_kind:     by_value
      - .offset:         28
        .size:           4
        .value_kind:     by_value
      - .offset:         32
        .size:           4
        .value_kind:     by_value
      - .offset:         36
        .size:           4
        .value_kind:     by_value
      - .offset:         40
        .size:           12
        .value_kind:     by_value
      - .offset:         52
        .size:           12
        .value_kind:     by_value
      - .offset:         64
        .size:           12
        .value_kind:     by_value
    .group_segment_fixed_size: 0
    .kernarg_segment_align: 8
    .kernarg_segment_size: 76
    .language:       OpenCL C
    .language_version:
      - 2
      - 0
    .max_flat_workgroup_size: 112
    .name:           _ZL33flash_attn_stream_k_fixup_uniformILi112ELi8ELi4EEvPfPK15HIP_vector_typeIfLj2EEiiiiiiS1_IjLj3EES5_S5_
    .private_segment_fixed_size: 0
    .sgpr_count:     22
    .sgpr_spill_count: 0
    .symbol:         _ZL33flash_attn_stream_k_fixup_uniformILi112ELi8ELi4EEvPfPK15HIP_vector_typeIfLj2EEiiiiiiS1_IjLj3EES5_S5_.kd
    .uniform_work_group_size: 1
    .uses_dynamic_stack: false
    .vgpr_count:     15
    .vgpr_spill_count: 0
    .wavefront_size: 32
    .workgroup_processor_mode: 1
  - .args:
      - .address_space:  global
        .offset:         0
        .size:           8
        .value_kind:     global_buffer
      - .address_space:  global
        .offset:         8
        .size:           8
        .value_kind:     global_buffer
      - .offset:         16
        .size:           4
        .value_kind:     by_value
      - .offset:         20
        .size:           4
        .value_kind:     by_value
      - .offset:         24
        .size:           4
        .value_kind:     by_value
      - .offset:         28
        .size:           4
        .value_kind:     by_value
      - .offset:         32
        .size:           12
        .value_kind:     by_value
      - .offset:         44
        .size:           12
        .value_kind:     by_value
      - .offset:         56
        .size:           12
        .value_kind:     by_value
      - .offset:         68
        .size:           12
        .value_kind:     by_value
      - .offset:         80
        .size:           4
        .value_kind:     hidden_block_count_x
      - .offset:         84
        .size:           4
        .value_kind:     hidden_block_count_y
      - .offset:         88
        .size:           4
        .value_kind:     hidden_block_count_z
      - .offset:         92
        .size:           2
        .value_kind:     hidden_group_size_x
      - .offset:         94
        .size:           2
        .value_kind:     hidden_group_size_y
      - .offset:         96
        .size:           2
        .value_kind:     hidden_group_size_z
      - .offset:         98
        .size:           2
        .value_kind:     hidden_remainder_x
      - .offset:         100
        .size:           2
        .value_kind:     hidden_remainder_y
      - .offset:         102
        .size:           2
        .value_kind:     hidden_remainder_z
      - .offset:         120
        .size:           8
        .value_kind:     hidden_global_offset_x
      - .offset:         128
        .size:           8
        .value_kind:     hidden_global_offset_y
      - .offset:         136
        .size:           8
        .value_kind:     hidden_global_offset_z
      - .offset:         144
        .size:           2
        .value_kind:     hidden_grid_dims
    .group_segment_fixed_size: 0
    .kernarg_segment_align: 8
    .kernarg_segment_size: 336
    .language:       OpenCL C
    .language_version:
      - 2
      - 0
    .max_flat_workgroup_size: 112
    .name:           _ZL33flash_attn_stream_k_fixup_generalILi112ELi8ELi4EEvPfPK15HIP_vector_typeIfLj2EEiiiiS1_IjLj3EES5_S5_S5_
    .private_segment_fixed_size: 0
    .sgpr_count:     34
    .sgpr_spill_count: 0
    .symbol:         _ZL33flash_attn_stream_k_fixup_generalILi112ELi8ELi4EEvPfPK15HIP_vector_typeIfLj2EEiiiiS1_IjLj3EES5_S5_S5_.kd
    .uniform_work_group_size: 1
    .uses_dynamic_stack: false
    .vgpr_count:     19
    .vgpr_spill_count: 0
    .wavefront_size: 32
    .workgroup_processor_mode: 1
  - .args:
      - .address_space:  global
        .offset:         0
        .size:           8
        .value_kind:     global_buffer
      - .address_space:  global
        .offset:         8
        .size:           8
        .value_kind:     global_buffer
      - .address_space:  global
        .offset:         16
        .size:           8
        .value_kind:     global_buffer
      - .offset:         24
        .size:           4
        .value_kind:     by_value
      - .offset:         32
        .size:           4
        .value_kind:     hidden_block_count_x
      - .offset:         36
        .size:           4
        .value_kind:     hidden_block_count_y
      - .offset:         40
        .size:           4
        .value_kind:     hidden_block_count_z
      - .offset:         44
        .size:           2
        .value_kind:     hidden_group_size_x
      - .offset:         46
        .size:           2
        .value_kind:     hidden_group_size_y
      - .offset:         48
        .size:           2
        .value_kind:     hidden_group_size_z
      - .offset:         50
        .size:           2
        .value_kind:     hidden_remainder_x
      - .offset:         52
        .size:           2
        .value_kind:     hidden_remainder_y
      - .offset:         54
        .size:           2
        .value_kind:     hidden_remainder_z
      - .offset:         72
        .size:           8
        .value_kind:     hidden_global_offset_x
      - .offset:         80
        .size:           8
        .value_kind:     hidden_global_offset_y
      - .offset:         88
        .size:           8
        .value_kind:     hidden_global_offset_z
      - .offset:         96
        .size:           2
        .value_kind:     hidden_grid_dims
      - .offset:         152
        .size:           4
        .value_kind:     hidden_dynamic_lds_size
    .group_segment_fixed_size: 0
    .kernarg_segment_align: 8
    .kernarg_segment_size: 288
    .language:       OpenCL C
    .language_version:
      - 2
      - 0
    .max_flat_workgroup_size: 112
    .name:           _ZL26flash_attn_combine_resultsILi112EEvPKfPK15HIP_vector_typeIfLj2EEPfi
    .private_segment_fixed_size: 0
    .sgpr_count:     22
    .sgpr_spill_count: 0
    .symbol:         _ZL26flash_attn_combine_resultsILi112EEvPKfPK15HIP_vector_typeIfLj2EEPfi.kd
    .uniform_work_group_size: 1
    .uses_dynamic_stack: false
    .vgpr_count:     57
    .vgpr_spill_count: 0
    .wavefront_size: 32
    .workgroup_processor_mode: 1
  - .args:
      - .address_space:  global
        .offset:         0
        .size:           8
        .value_kind:     global_buffer
      - .address_space:  global
        .offset:         8
        .size:           8
        .value_kind:     global_buffer
      - .address_space:  global
        .offset:         16
        .size:           8
        .value_kind:     global_buffer
      - .address_space:  global
        .offset:         24
        .size:           8
        .value_kind:     global_buffer
      - .address_space:  global
        .offset:         32
        .size:           8
        .value_kind:     global_buffer
      - .address_space:  global
        .offset:         40
        .size:           8
        .value_kind:     global_buffer
      - .address_space:  global
        .offset:         48
        .size:           8
        .value_kind:     global_buffer
      - .address_space:  global
        .offset:         56
        .size:           8
        .value_kind:     global_buffer
      - .offset:         64
        .size:           4
        .value_kind:     by_value
      - .offset:         68
        .size:           4
        .value_kind:     by_value
      - .offset:         72
        .size:           4
        .value_kind:     by_value
      - .offset:         76
        .size:           4
        .value_kind:     by_value
      - .offset:         80
        .size:           4
        .value_kind:     by_value
      - .offset:         84
        .size:           4
        .value_kind:     by_value
      - .offset:         88
        .size:           4
        .value_kind:     by_value
      - .offset:         92
        .size:           12
        .value_kind:     by_value
      - .offset:         104
        .size:           4
        .value_kind:     by_value
      - .offset:         108
        .size:           4
        .value_kind:     by_value
      - .offset:         112
        .size:           4
        .value_kind:     by_value
      - .offset:         116
        .size:           4
        .value_kind:     by_value
      - .offset:         120
        .size:           4
        .value_kind:     by_value
      - .offset:         124
        .size:           4
        .value_kind:     by_value
      - .offset:         128
        .size:           4
        .value_kind:     by_value
      - .offset:         132
        .size:           4
        .value_kind:     by_value
      - .offset:         136
        .size:           4
        .value_kind:     by_value
      - .offset:         140
        .size:           4
        .value_kind:     by_value
      - .offset:         144
        .size:           4
        .value_kind:     by_value
      - .offset:         152
        .size:           8
        .value_kind:     by_value
      - .offset:         160
        .size:           4
        .value_kind:     by_value
      - .offset:         164
        .size:           4
        .value_kind:     by_value
      - .offset:         168
        .size:           8
        .value_kind:     by_value
      - .offset:         176
        .size:           4
        .value_kind:     by_value
      - .offset:         180
        .size:           4
        .value_kind:     by_value
      - .offset:         184
        .size:           4
        .value_kind:     by_value
      - .offset:         188
        .size:           4
        .value_kind:     by_value
      - .offset:         192
        .size:           4
        .value_kind:     by_value
      - .offset:         200
        .size:           8
        .value_kind:     by_value
      - .offset:         208
        .size:           4
        .value_kind:     hidden_block_count_x
      - .offset:         212
        .size:           4
        .value_kind:     hidden_block_count_y
      - .offset:         216
        .size:           4
        .value_kind:     hidden_block_count_z
      - .offset:         220
        .size:           2
        .value_kind:     hidden_group_size_x
      - .offset:         222
        .size:           2
        .value_kind:     hidden_group_size_y
      - .offset:         224
        .size:           2
        .value_kind:     hidden_group_size_z
      - .offset:         226
        .size:           2
        .value_kind:     hidden_remainder_x
      - .offset:         228
        .size:           2
        .value_kind:     hidden_remainder_y
      - .offset:         230
        .size:           2
        .value_kind:     hidden_remainder_z
      - .offset:         248
        .size:           8
        .value_kind:     hidden_global_offset_x
      - .offset:         256
        .size:           8
        .value_kind:     hidden_global_offset_y
      - .offset:         264
        .size:           8
        .value_kind:     hidden_global_offset_z
      - .offset:         272
        .size:           2
        .value_kind:     hidden_grid_dims
      - .offset:         328
        .size:           4
        .value_kind:     hidden_dynamic_lds_size
    .group_segment_fixed_size: 0
    .kernarg_segment_align: 8
    .kernarg_segment_size: 464
    .language:       OpenCL C
    .language_version:
      - 2
      - 0
    .max_flat_workgroup_size: 128
    .name:           _ZL18flash_attn_ext_f16ILi128ELi128ELi8ELi4ELb0ELb0EEvPKcS1_S1_S1_S1_PKiPfP15HIP_vector_typeIfLj2EEffffjfiS5_IjLj3EEiiiiiiiiiiiliiliiiiil
    .private_segment_fixed_size: 840
    .sgpr_count:     107
    .sgpr_spill_count: 11
    .symbol:         _ZL18flash_attn_ext_f16ILi128ELi128ELi8ELi4ELb0ELb0EEvPKcS1_S1_S1_S1_PKiPfP15HIP_vector_typeIfLj2EEffffjfiS5_IjLj3EEiiiiiiiiiiiliiliiiiil.kd
    .uniform_work_group_size: 1
    .uses_dynamic_stack: false
    .vgpr_count:     256
    .vgpr_spill_count: 244
    .wavefront_size: 32
    .workgroup_processor_mode: 1
  - .args:
      - .address_space:  global
        .offset:         0
        .size:           8
        .value_kind:     global_buffer
      - .address_space:  global
        .offset:         8
        .size:           8
        .value_kind:     global_buffer
      - .address_space:  global
        .offset:         16
        .size:           8
        .value_kind:     global_buffer
      - .address_space:  global
        .offset:         24
        .size:           8
        .value_kind:     global_buffer
      - .address_space:  global
        .offset:         32
        .size:           8
        .value_kind:     global_buffer
      - .address_space:  global
        .offset:         40
        .size:           8
        .value_kind:     global_buffer
      - .address_space:  global
        .offset:         48
        .size:           8
        .value_kind:     global_buffer
      - .address_space:  global
        .offset:         56
        .size:           8
        .value_kind:     global_buffer
      - .offset:         64
        .size:           4
        .value_kind:     by_value
      - .offset:         68
        .size:           4
        .value_kind:     by_value
      - .offset:         72
        .size:           4
        .value_kind:     by_value
      - .offset:         76
        .size:           4
        .value_kind:     by_value
      - .offset:         80
        .size:           4
        .value_kind:     by_value
      - .offset:         84
        .size:           4
        .value_kind:     by_value
      - .offset:         88
        .size:           4
        .value_kind:     by_value
      - .offset:         92
        .size:           12
        .value_kind:     by_value
      - .offset:         104
        .size:           4
        .value_kind:     by_value
      - .offset:         108
        .size:           4
        .value_kind:     by_value
      - .offset:         112
        .size:           4
        .value_kind:     by_value
      - .offset:         116
        .size:           4
        .value_kind:     by_value
      - .offset:         120
        .size:           4
        .value_kind:     by_value
      - .offset:         124
        .size:           4
        .value_kind:     by_value
      - .offset:         128
        .size:           4
        .value_kind:     by_value
      - .offset:         132
        .size:           4
        .value_kind:     by_value
      - .offset:         136
        .size:           4
        .value_kind:     by_value
      - .offset:         140
        .size:           4
        .value_kind:     by_value
      - .offset:         144
        .size:           4
        .value_kind:     by_value
      - .offset:         152
        .size:           8
        .value_kind:     by_value
      - .offset:         160
        .size:           4
        .value_kind:     by_value
      - .offset:         164
        .size:           4
        .value_kind:     by_value
      - .offset:         168
        .size:           8
        .value_kind:     by_value
      - .offset:         176
        .size:           4
        .value_kind:     by_value
      - .offset:         180
        .size:           4
        .value_kind:     by_value
      - .offset:         184
        .size:           4
        .value_kind:     by_value
      - .offset:         188
        .size:           4
        .value_kind:     by_value
      - .offset:         192
        .size:           4
        .value_kind:     by_value
      - .offset:         200
        .size:           8
        .value_kind:     by_value
      - .offset:         208
        .size:           4
        .value_kind:     hidden_block_count_x
      - .offset:         212
        .size:           4
        .value_kind:     hidden_block_count_y
      - .offset:         216
        .size:           4
        .value_kind:     hidden_block_count_z
      - .offset:         220
        .size:           2
        .value_kind:     hidden_group_size_x
      - .offset:         222
        .size:           2
        .value_kind:     hidden_group_size_y
      - .offset:         224
        .size:           2
        .value_kind:     hidden_group_size_z
      - .offset:         226
        .size:           2
        .value_kind:     hidden_remainder_x
      - .offset:         228
        .size:           2
        .value_kind:     hidden_remainder_y
      - .offset:         230
        .size:           2
        .value_kind:     hidden_remainder_z
      - .offset:         248
        .size:           8
        .value_kind:     hidden_global_offset_x
      - .offset:         256
        .size:           8
        .value_kind:     hidden_global_offset_y
      - .offset:         264
        .size:           8
        .value_kind:     hidden_global_offset_z
      - .offset:         272
        .size:           2
        .value_kind:     hidden_grid_dims
      - .offset:         328
        .size:           4
        .value_kind:     hidden_dynamic_lds_size
    .group_segment_fixed_size: 0
    .kernarg_segment_align: 8
    .kernarg_segment_size: 464
    .language:       OpenCL C
    .language_version:
      - 2
      - 0
    .max_flat_workgroup_size: 128
    .name:           _ZL18flash_attn_ext_f16ILi128ELi128ELi8ELi4ELb1ELb0EEvPKcS1_S1_S1_S1_PKiPfP15HIP_vector_typeIfLj2EEffffjfiS5_IjLj3EEiiiiiiiiiiiliiliiiiil
    .private_segment_fixed_size: 780
    .sgpr_count:     107
    .sgpr_spill_count: 10
    .symbol:         _ZL18flash_attn_ext_f16ILi128ELi128ELi8ELi4ELb1ELb0EEvPKcS1_S1_S1_S1_PKiPfP15HIP_vector_typeIfLj2EEffffjfiS5_IjLj3EEiiiiiiiiiiiliiliiiiil.kd
    .uniform_work_group_size: 1
    .uses_dynamic_stack: false
    .vgpr_count:     256
    .vgpr_spill_count: 256
    .wavefront_size: 32
    .workgroup_processor_mode: 1
  - .args:
      - .address_space:  global
        .offset:         0
        .size:           8
        .value_kind:     global_buffer
      - .address_space:  global
        .offset:         8
        .size:           8
        .value_kind:     global_buffer
      - .offset:         16
        .size:           4
        .value_kind:     by_value
      - .offset:         20
        .size:           4
        .value_kind:     by_value
      - .offset:         24
        .size:           4
        .value_kind:     by_value
      - .offset:         28
        .size:           4
        .value_kind:     by_value
      - .offset:         32
        .size:           4
        .value_kind:     by_value
      - .offset:         36
        .size:           4
        .value_kind:     by_value
      - .offset:         40
        .size:           12
        .value_kind:     by_value
      - .offset:         52
        .size:           12
        .value_kind:     by_value
      - .offset:         64
        .size:           12
        .value_kind:     by_value
    .group_segment_fixed_size: 0
    .kernarg_segment_align: 8
    .kernarg_segment_size: 76
    .language:       OpenCL C
    .language_version:
      - 2
      - 0
    .max_flat_workgroup_size: 128
    .name:           _ZL33flash_attn_stream_k_fixup_uniformILi128ELi8ELi4EEvPfPK15HIP_vector_typeIfLj2EEiiiiiiS1_IjLj3EES5_S5_
    .private_segment_fixed_size: 0
    .sgpr_count:     22
    .sgpr_spill_count: 0
    .symbol:         _ZL33flash_attn_stream_k_fixup_uniformILi128ELi8ELi4EEvPfPK15HIP_vector_typeIfLj2EEiiiiiiS1_IjLj3EES5_S5_.kd
    .uniform_work_group_size: 1
    .uses_dynamic_stack: false
    .vgpr_count:     15
    .vgpr_spill_count: 0
    .wavefront_size: 32
    .workgroup_processor_mode: 1
  - .args:
      - .address_space:  global
        .offset:         0
        .size:           8
        .value_kind:     global_buffer
      - .address_space:  global
        .offset:         8
        .size:           8
        .value_kind:     global_buffer
      - .offset:         16
        .size:           4
        .value_kind:     by_value
      - .offset:         20
        .size:           4
        .value_kind:     by_value
      - .offset:         24
        .size:           4
        .value_kind:     by_value
      - .offset:         28
        .size:           4
        .value_kind:     by_value
      - .offset:         32
        .size:           12
        .value_kind:     by_value
      - .offset:         44
        .size:           12
        .value_kind:     by_value
      - .offset:         56
        .size:           12
        .value_kind:     by_value
      - .offset:         68
        .size:           12
        .value_kind:     by_value
      - .offset:         80
        .size:           4
        .value_kind:     hidden_block_count_x
      - .offset:         84
        .size:           4
        .value_kind:     hidden_block_count_y
      - .offset:         88
        .size:           4
        .value_kind:     hidden_block_count_z
      - .offset:         92
        .size:           2
        .value_kind:     hidden_group_size_x
      - .offset:         94
        .size:           2
        .value_kind:     hidden_group_size_y
      - .offset:         96
        .size:           2
        .value_kind:     hidden_group_size_z
      - .offset:         98
        .size:           2
        .value_kind:     hidden_remainder_x
      - .offset:         100
        .size:           2
        .value_kind:     hidden_remainder_y
      - .offset:         102
        .size:           2
        .value_kind:     hidden_remainder_z
      - .offset:         120
        .size:           8
        .value_kind:     hidden_global_offset_x
      - .offset:         128
        .size:           8
        .value_kind:     hidden_global_offset_y
      - .offset:         136
        .size:           8
        .value_kind:     hidden_global_offset_z
      - .offset:         144
        .size:           2
        .value_kind:     hidden_grid_dims
    .group_segment_fixed_size: 0
    .kernarg_segment_align: 8
    .kernarg_segment_size: 336
    .language:       OpenCL C
    .language_version:
      - 2
      - 0
    .max_flat_workgroup_size: 128
    .name:           _ZL33flash_attn_stream_k_fixup_generalILi128ELi8ELi4EEvPfPK15HIP_vector_typeIfLj2EEiiiiS1_IjLj3EES5_S5_S5_
    .private_segment_fixed_size: 0
    .sgpr_count:     34
    .sgpr_spill_count: 0
    .symbol:         _ZL33flash_attn_stream_k_fixup_generalILi128ELi8ELi4EEvPfPK15HIP_vector_typeIfLj2EEiiiiS1_IjLj3EES5_S5_S5_.kd
    .uniform_work_group_size: 1
    .uses_dynamic_stack: false
    .vgpr_count:     19
    .vgpr_spill_count: 0
    .wavefront_size: 32
    .workgroup_processor_mode: 1
  - .args:
      - .address_space:  global
        .offset:         0
        .size:           8
        .value_kind:     global_buffer
      - .address_space:  global
        .offset:         8
        .size:           8
        .value_kind:     global_buffer
      - .address_space:  global
        .offset:         16
        .size:           8
        .value_kind:     global_buffer
      - .offset:         24
        .size:           4
        .value_kind:     by_value
      - .offset:         32
        .size:           4
        .value_kind:     hidden_block_count_x
      - .offset:         36
        .size:           4
        .value_kind:     hidden_block_count_y
      - .offset:         40
        .size:           4
        .value_kind:     hidden_block_count_z
      - .offset:         44
        .size:           2
        .value_kind:     hidden_group_size_x
      - .offset:         46
        .size:           2
        .value_kind:     hidden_group_size_y
      - .offset:         48
        .size:           2
        .value_kind:     hidden_group_size_z
      - .offset:         50
        .size:           2
        .value_kind:     hidden_remainder_x
      - .offset:         52
        .size:           2
        .value_kind:     hidden_remainder_y
      - .offset:         54
        .size:           2
        .value_kind:     hidden_remainder_z
      - .offset:         72
        .size:           8
        .value_kind:     hidden_global_offset_x
      - .offset:         80
        .size:           8
        .value_kind:     hidden_global_offset_y
      - .offset:         88
        .size:           8
        .value_kind:     hidden_global_offset_z
      - .offset:         96
        .size:           2
        .value_kind:     hidden_grid_dims
      - .offset:         152
        .size:           4
        .value_kind:     hidden_dynamic_lds_size
    .group_segment_fixed_size: 0
    .kernarg_segment_align: 8
    .kernarg_segment_size: 288
    .language:       OpenCL C
    .language_version:
      - 2
      - 0
    .max_flat_workgroup_size: 128
    .name:           _ZL26flash_attn_combine_resultsILi128EEvPKfPK15HIP_vector_typeIfLj2EEPfi
    .private_segment_fixed_size: 0
    .sgpr_count:     18
    .sgpr_spill_count: 0
    .symbol:         _ZL26flash_attn_combine_resultsILi128EEvPKfPK15HIP_vector_typeIfLj2EEPfi.kd
    .uniform_work_group_size: 1
    .uses_dynamic_stack: false
    .vgpr_count:     55
    .vgpr_spill_count: 0
    .wavefront_size: 32
    .workgroup_processor_mode: 1
  - .args:
      - .address_space:  global
        .offset:         0
        .size:           8
        .value_kind:     global_buffer
      - .address_space:  global
        .offset:         8
        .size:           8
        .value_kind:     global_buffer
      - .address_space:  global
        .offset:         16
        .size:           8
        .value_kind:     global_buffer
      - .address_space:  global
        .offset:         24
        .size:           8
        .value_kind:     global_buffer
      - .address_space:  global
        .offset:         32
        .size:           8
        .value_kind:     global_buffer
      - .address_space:  global
        .offset:         40
        .size:           8
        .value_kind:     global_buffer
      - .address_space:  global
        .offset:         48
        .size:           8
        .value_kind:     global_buffer
      - .address_space:  global
        .offset:         56
        .size:           8
        .value_kind:     global_buffer
      - .offset:         64
        .size:           4
        .value_kind:     by_value
      - .offset:         68
        .size:           4
        .value_kind:     by_value
      - .offset:         72
        .size:           4
        .value_kind:     by_value
      - .offset:         76
        .size:           4
        .value_kind:     by_value
      - .offset:         80
        .size:           4
        .value_kind:     by_value
      - .offset:         84
        .size:           4
        .value_kind:     by_value
      - .offset:         88
        .size:           4
        .value_kind:     by_value
      - .offset:         92
        .size:           12
        .value_kind:     by_value
      - .offset:         104
        .size:           4
        .value_kind:     by_value
      - .offset:         108
        .size:           4
        .value_kind:     by_value
      - .offset:         112
        .size:           4
        .value_kind:     by_value
      - .offset:         116
        .size:           4
        .value_kind:     by_value
      - .offset:         120
        .size:           4
        .value_kind:     by_value
      - .offset:         124
        .size:           4
        .value_kind:     by_value
      - .offset:         128
        .size:           4
        .value_kind:     by_value
      - .offset:         132
        .size:           4
        .value_kind:     by_value
      - .offset:         136
        .size:           4
        .value_kind:     by_value
      - .offset:         140
        .size:           4
        .value_kind:     by_value
      - .offset:         144
        .size:           4
        .value_kind:     by_value
      - .offset:         152
        .size:           8
        .value_kind:     by_value
      - .offset:         160
        .size:           4
        .value_kind:     by_value
      - .offset:         164
        .size:           4
        .value_kind:     by_value
      - .offset:         168
        .size:           8
        .value_kind:     by_value
      - .offset:         176
        .size:           4
        .value_kind:     by_value
      - .offset:         180
        .size:           4
        .value_kind:     by_value
      - .offset:         184
        .size:           4
        .value_kind:     by_value
      - .offset:         188
        .size:           4
        .value_kind:     by_value
      - .offset:         192
        .size:           4
        .value_kind:     by_value
      - .offset:         200
        .size:           8
        .value_kind:     by_value
      - .offset:         208
        .size:           4
        .value_kind:     hidden_block_count_x
      - .offset:         212
        .size:           4
        .value_kind:     hidden_block_count_y
      - .offset:         216
        .size:           4
        .value_kind:     hidden_block_count_z
      - .offset:         220
        .size:           2
        .value_kind:     hidden_group_size_x
      - .offset:         222
        .size:           2
        .value_kind:     hidden_group_size_y
      - .offset:         224
        .size:           2
        .value_kind:     hidden_group_size_z
      - .offset:         226
        .size:           2
        .value_kind:     hidden_remainder_x
      - .offset:         228
        .size:           2
        .value_kind:     hidden_remainder_y
      - .offset:         230
        .size:           2
        .value_kind:     hidden_remainder_z
      - .offset:         248
        .size:           8
        .value_kind:     hidden_global_offset_x
      - .offset:         256
        .size:           8
        .value_kind:     hidden_global_offset_y
      - .offset:         264
        .size:           8
        .value_kind:     hidden_global_offset_z
      - .offset:         272
        .size:           2
        .value_kind:     hidden_grid_dims
      - .offset:         288
        .size:           8
        .value_kind:     hidden_hostcall_buffer
    .group_segment_fixed_size: 0
    .kernarg_segment_align: 8
    .kernarg_segment_size: 464
    .language:       OpenCL C
    .language_version:
      - 2
      - 0
    .max_flat_workgroup_size: 128
    .name:           _ZL18flash_attn_ext_f16ILi256ELi256ELi8ELi4ELb0ELb0EEvPKcS1_S1_S1_S1_PKiPfP15HIP_vector_typeIfLj2EEffffjfiS5_IjLj3EEiiiiiiiiiiiliiliiiiil
    .private_segment_fixed_size: 16
    .sgpr_count:     36
    .sgpr_spill_count: 0
    .symbol:         _ZL18flash_attn_ext_f16ILi256ELi256ELi8ELi4ELb0ELb0EEvPKcS1_S1_S1_S1_PKiPfP15HIP_vector_typeIfLj2EEffffjfiS5_IjLj3EEiiiiiiiiiiiliiliiiiil.kd
    .uniform_work_group_size: 1
    .uses_dynamic_stack: false
    .vgpr_count:     37
    .vgpr_spill_count: 0
    .wavefront_size: 32
    .workgroup_processor_mode: 1
  - .args:
      - .address_space:  global
        .offset:         0
        .size:           8
        .value_kind:     global_buffer
      - .address_space:  global
        .offset:         8
        .size:           8
        .value_kind:     global_buffer
      - .address_space:  global
        .offset:         16
        .size:           8
        .value_kind:     global_buffer
      - .address_space:  global
        .offset:         24
        .size:           8
        .value_kind:     global_buffer
      - .address_space:  global
        .offset:         32
        .size:           8
        .value_kind:     global_buffer
      - .address_space:  global
        .offset:         40
        .size:           8
        .value_kind:     global_buffer
      - .address_space:  global
        .offset:         48
        .size:           8
        .value_kind:     global_buffer
      - .address_space:  global
        .offset:         56
        .size:           8
        .value_kind:     global_buffer
      - .offset:         64
        .size:           4
        .value_kind:     by_value
      - .offset:         68
        .size:           4
        .value_kind:     by_value
      - .offset:         72
        .size:           4
        .value_kind:     by_value
      - .offset:         76
        .size:           4
        .value_kind:     by_value
      - .offset:         80
        .size:           4
        .value_kind:     by_value
      - .offset:         84
        .size:           4
        .value_kind:     by_value
      - .offset:         88
        .size:           4
        .value_kind:     by_value
      - .offset:         92
        .size:           12
        .value_kind:     by_value
      - .offset:         104
        .size:           4
        .value_kind:     by_value
      - .offset:         108
        .size:           4
        .value_kind:     by_value
      - .offset:         112
        .size:           4
        .value_kind:     by_value
      - .offset:         116
        .size:           4
        .value_kind:     by_value
      - .offset:         120
        .size:           4
        .value_kind:     by_value
      - .offset:         124
        .size:           4
        .value_kind:     by_value
      - .offset:         128
        .size:           4
        .value_kind:     by_value
      - .offset:         132
        .size:           4
        .value_kind:     by_value
      - .offset:         136
        .size:           4
        .value_kind:     by_value
      - .offset:         140
        .size:           4
        .value_kind:     by_value
      - .offset:         144
        .size:           4
        .value_kind:     by_value
      - .offset:         152
        .size:           8
        .value_kind:     by_value
      - .offset:         160
        .size:           4
        .value_kind:     by_value
      - .offset:         164
        .size:           4
        .value_kind:     by_value
      - .offset:         168
        .size:           8
        .value_kind:     by_value
      - .offset:         176
        .size:           4
        .value_kind:     by_value
      - .offset:         180
        .size:           4
        .value_kind:     by_value
      - .offset:         184
        .size:           4
        .value_kind:     by_value
      - .offset:         188
        .size:           4
        .value_kind:     by_value
      - .offset:         192
        .size:           4
        .value_kind:     by_value
      - .offset:         200
        .size:           8
        .value_kind:     by_value
      - .offset:         208
        .size:           4
        .value_kind:     hidden_block_count_x
      - .offset:         212
        .size:           4
        .value_kind:     hidden_block_count_y
      - .offset:         216
        .size:           4
        .value_kind:     hidden_block_count_z
      - .offset:         220
        .size:           2
        .value_kind:     hidden_group_size_x
      - .offset:         222
        .size:           2
        .value_kind:     hidden_group_size_y
      - .offset:         224
        .size:           2
        .value_kind:     hidden_group_size_z
      - .offset:         226
        .size:           2
        .value_kind:     hidden_remainder_x
      - .offset:         228
        .size:           2
        .value_kind:     hidden_remainder_y
      - .offset:         230
        .size:           2
        .value_kind:     hidden_remainder_z
      - .offset:         248
        .size:           8
        .value_kind:     hidden_global_offset_x
      - .offset:         256
        .size:           8
        .value_kind:     hidden_global_offset_y
      - .offset:         264
        .size:           8
        .value_kind:     hidden_global_offset_z
      - .offset:         272
        .size:           2
        .value_kind:     hidden_grid_dims
      - .offset:         288
        .size:           8
        .value_kind:     hidden_hostcall_buffer
    .group_segment_fixed_size: 0
    .kernarg_segment_align: 8
    .kernarg_segment_size: 464
    .language:       OpenCL C
    .language_version:
      - 2
      - 0
    .max_flat_workgroup_size: 128
    .name:           _ZL18flash_attn_ext_f16ILi256ELi256ELi8ELi4ELb1ELb0EEvPKcS1_S1_S1_S1_PKiPfP15HIP_vector_typeIfLj2EEffffjfiS5_IjLj3EEiiiiiiiiiiiliiliiiiil
    .private_segment_fixed_size: 16
    .sgpr_count:     36
    .sgpr_spill_count: 0
    .symbol:         _ZL18flash_attn_ext_f16ILi256ELi256ELi8ELi4ELb1ELb0EEvPKcS1_S1_S1_S1_PKiPfP15HIP_vector_typeIfLj2EEffffjfiS5_IjLj3EEiiiiiiiiiiiliiliiiiil.kd
    .uniform_work_group_size: 1
    .uses_dynamic_stack: false
    .vgpr_count:     37
    .vgpr_spill_count: 0
    .wavefront_size: 32
    .workgroup_processor_mode: 1
  - .args:
      - .address_space:  global
        .offset:         0
        .size:           8
        .value_kind:     global_buffer
      - .address_space:  global
        .offset:         8
        .size:           8
        .value_kind:     global_buffer
      - .offset:         16
        .size:           4
        .value_kind:     by_value
      - .offset:         20
        .size:           4
        .value_kind:     by_value
      - .offset:         24
        .size:           4
        .value_kind:     by_value
      - .offset:         28
        .size:           4
        .value_kind:     by_value
      - .offset:         32
        .size:           4
        .value_kind:     by_value
      - .offset:         36
        .size:           4
        .value_kind:     by_value
      - .offset:         40
        .size:           12
        .value_kind:     by_value
      - .offset:         52
        .size:           12
        .value_kind:     by_value
      - .offset:         64
        .size:           12
        .value_kind:     by_value
    .group_segment_fixed_size: 0
    .kernarg_segment_align: 8
    .kernarg_segment_size: 76
    .language:       OpenCL C
    .language_version:
      - 2
      - 0
    .max_flat_workgroup_size: 256
    .name:           _ZL33flash_attn_stream_k_fixup_uniformILi256ELi8ELi4EEvPfPK15HIP_vector_typeIfLj2EEiiiiiiS1_IjLj3EES5_S5_
    .private_segment_fixed_size: 0
    .sgpr_count:     22
    .sgpr_spill_count: 0
    .symbol:         _ZL33flash_attn_stream_k_fixup_uniformILi256ELi8ELi4EEvPfPK15HIP_vector_typeIfLj2EEiiiiiiS1_IjLj3EES5_S5_.kd
    .uniform_work_group_size: 1
    .uses_dynamic_stack: false
    .vgpr_count:     15
    .vgpr_spill_count: 0
    .wavefront_size: 32
    .workgroup_processor_mode: 1
  - .args:
      - .address_space:  global
        .offset:         0
        .size:           8
        .value_kind:     global_buffer
      - .address_space:  global
        .offset:         8
        .size:           8
        .value_kind:     global_buffer
      - .offset:         16
        .size:           4
        .value_kind:     by_value
      - .offset:         20
        .size:           4
        .value_kind:     by_value
      - .offset:         24
        .size:           4
        .value_kind:     by_value
      - .offset:         28
        .size:           4
        .value_kind:     by_value
      - .offset:         32
        .size:           12
        .value_kind:     by_value
      - .offset:         44
        .size:           12
        .value_kind:     by_value
      - .offset:         56
        .size:           12
        .value_kind:     by_value
      - .offset:         68
        .size:           12
        .value_kind:     by_value
      - .offset:         80
        .size:           4
        .value_kind:     hidden_block_count_x
      - .offset:         84
        .size:           4
        .value_kind:     hidden_block_count_y
      - .offset:         88
        .size:           4
        .value_kind:     hidden_block_count_z
      - .offset:         92
        .size:           2
        .value_kind:     hidden_group_size_x
      - .offset:         94
        .size:           2
        .value_kind:     hidden_group_size_y
      - .offset:         96
        .size:           2
        .value_kind:     hidden_group_size_z
      - .offset:         98
        .size:           2
        .value_kind:     hidden_remainder_x
      - .offset:         100
        .size:           2
        .value_kind:     hidden_remainder_y
      - .offset:         102
        .size:           2
        .value_kind:     hidden_remainder_z
      - .offset:         120
        .size:           8
        .value_kind:     hidden_global_offset_x
      - .offset:         128
        .size:           8
        .value_kind:     hidden_global_offset_y
      - .offset:         136
        .size:           8
        .value_kind:     hidden_global_offset_z
      - .offset:         144
        .size:           2
        .value_kind:     hidden_grid_dims
    .group_segment_fixed_size: 0
    .kernarg_segment_align: 8
    .kernarg_segment_size: 336
    .language:       OpenCL C
    .language_version:
      - 2
      - 0
    .max_flat_workgroup_size: 256
    .name:           _ZL33flash_attn_stream_k_fixup_generalILi256ELi8ELi4EEvPfPK15HIP_vector_typeIfLj2EEiiiiS1_IjLj3EES5_S5_S5_
    .private_segment_fixed_size: 0
    .sgpr_count:     34
    .sgpr_spill_count: 0
    .symbol:         _ZL33flash_attn_stream_k_fixup_generalILi256ELi8ELi4EEvPfPK15HIP_vector_typeIfLj2EEiiiiS1_IjLj3EES5_S5_S5_.kd
    .uniform_work_group_size: 1
    .uses_dynamic_stack: false
    .vgpr_count:     19
    .vgpr_spill_count: 0
    .wavefront_size: 32
    .workgroup_processor_mode: 1
  - .args:
      - .address_space:  global
        .offset:         0
        .size:           8
        .value_kind:     global_buffer
      - .address_space:  global
        .offset:         8
        .size:           8
        .value_kind:     global_buffer
      - .address_space:  global
        .offset:         16
        .size:           8
        .value_kind:     global_buffer
      - .offset:         24
        .size:           4
        .value_kind:     by_value
      - .offset:         32
        .size:           4
        .value_kind:     hidden_block_count_x
      - .offset:         36
        .size:           4
        .value_kind:     hidden_block_count_y
      - .offset:         40
        .size:           4
        .value_kind:     hidden_block_count_z
      - .offset:         44
        .size:           2
        .value_kind:     hidden_group_size_x
      - .offset:         46
        .size:           2
        .value_kind:     hidden_group_size_y
      - .offset:         48
        .size:           2
        .value_kind:     hidden_group_size_z
      - .offset:         50
        .size:           2
        .value_kind:     hidden_remainder_x
      - .offset:         52
        .size:           2
        .value_kind:     hidden_remainder_y
      - .offset:         54
        .size:           2
        .value_kind:     hidden_remainder_z
      - .offset:         72
        .size:           8
        .value_kind:     hidden_global_offset_x
      - .offset:         80
        .size:           8
        .value_kind:     hidden_global_offset_y
      - .offset:         88
        .size:           8
        .value_kind:     hidden_global_offset_z
      - .offset:         96
        .size:           2
        .value_kind:     hidden_grid_dims
      - .offset:         152
        .size:           4
        .value_kind:     hidden_dynamic_lds_size
    .group_segment_fixed_size: 0
    .kernarg_segment_align: 8
    .kernarg_segment_size: 288
    .language:       OpenCL C
    .language_version:
      - 2
      - 0
    .max_flat_workgroup_size: 256
    .name:           _ZL26flash_attn_combine_resultsILi256EEvPKfPK15HIP_vector_typeIfLj2EEPfi
    .private_segment_fixed_size: 0
    .sgpr_count:     18
    .sgpr_spill_count: 0
    .symbol:         _ZL26flash_attn_combine_resultsILi256EEvPKfPK15HIP_vector_typeIfLj2EEPfi.kd
    .uniform_work_group_size: 1
    .uses_dynamic_stack: false
    .vgpr_count:     55
    .vgpr_spill_count: 0
    .wavefront_size: 32
    .workgroup_processor_mode: 1
  - .args:
      - .address_space:  global
        .offset:         0
        .size:           8
        .value_kind:     global_buffer
      - .address_space:  global
        .offset:         8
        .size:           8
        .value_kind:     global_buffer
      - .address_space:  global
        .offset:         16
        .size:           8
        .value_kind:     global_buffer
      - .address_space:  global
        .offset:         24
        .size:           8
        .value_kind:     global_buffer
      - .address_space:  global
        .offset:         32
        .size:           8
        .value_kind:     global_buffer
      - .address_space:  global
        .offset:         40
        .size:           8
        .value_kind:     global_buffer
      - .address_space:  global
        .offset:         48
        .size:           8
        .value_kind:     global_buffer
      - .address_space:  global
        .offset:         56
        .size:           8
        .value_kind:     global_buffer
      - .offset:         64
        .size:           4
        .value_kind:     by_value
      - .offset:         68
        .size:           4
        .value_kind:     by_value
      - .offset:         72
        .size:           4
        .value_kind:     by_value
      - .offset:         76
        .size:           4
        .value_kind:     by_value
      - .offset:         80
        .size:           4
        .value_kind:     by_value
      - .offset:         84
        .size:           4
        .value_kind:     by_value
      - .offset:         88
        .size:           4
        .value_kind:     by_value
      - .offset:         92
        .size:           12
        .value_kind:     by_value
      - .offset:         104
        .size:           4
        .value_kind:     by_value
      - .offset:         108
        .size:           4
        .value_kind:     by_value
      - .offset:         112
        .size:           4
        .value_kind:     by_value
      - .offset:         116
        .size:           4
        .value_kind:     by_value
      - .offset:         120
        .size:           4
        .value_kind:     by_value
      - .offset:         124
        .size:           4
        .value_kind:     by_value
      - .offset:         128
        .size:           4
        .value_kind:     by_value
      - .offset:         132
        .size:           4
        .value_kind:     by_value
      - .offset:         136
        .size:           4
        .value_kind:     by_value
      - .offset:         140
        .size:           4
        .value_kind:     by_value
      - .offset:         144
        .size:           4
        .value_kind:     by_value
      - .offset:         152
        .size:           8
        .value_kind:     by_value
      - .offset:         160
        .size:           4
        .value_kind:     by_value
      - .offset:         164
        .size:           4
        .value_kind:     by_value
      - .offset:         168
        .size:           8
        .value_kind:     by_value
      - .offset:         176
        .size:           4
        .value_kind:     by_value
      - .offset:         180
        .size:           4
        .value_kind:     by_value
      - .offset:         184
        .size:           4
        .value_kind:     by_value
      - .offset:         188
        .size:           4
        .value_kind:     by_value
      - .offset:         192
        .size:           4
        .value_kind:     by_value
      - .offset:         200
        .size:           8
        .value_kind:     by_value
      - .offset:         208
        .size:           4
        .value_kind:     hidden_block_count_x
      - .offset:         212
        .size:           4
        .value_kind:     hidden_block_count_y
      - .offset:         216
        .size:           4
        .value_kind:     hidden_block_count_z
      - .offset:         220
        .size:           2
        .value_kind:     hidden_group_size_x
      - .offset:         222
        .size:           2
        .value_kind:     hidden_group_size_y
      - .offset:         224
        .size:           2
        .value_kind:     hidden_group_size_z
      - .offset:         226
        .size:           2
        .value_kind:     hidden_remainder_x
      - .offset:         228
        .size:           2
        .value_kind:     hidden_remainder_y
      - .offset:         230
        .size:           2
        .value_kind:     hidden_remainder_z
      - .offset:         248
        .size:           8
        .value_kind:     hidden_global_offset_x
      - .offset:         256
        .size:           8
        .value_kind:     hidden_global_offset_y
      - .offset:         264
        .size:           8
        .value_kind:     hidden_global_offset_z
      - .offset:         272
        .size:           2
        .value_kind:     hidden_grid_dims
      - .offset:         288
        .size:           8
        .value_kind:     hidden_hostcall_buffer
    .group_segment_fixed_size: 0
    .kernarg_segment_align: 8
    .kernarg_segment_size: 464
    .language:       OpenCL C
    .language_version:
      - 2
      - 0
    .max_flat_workgroup_size: 128
    .name:           _ZL18flash_attn_ext_f16ILi512ELi512ELi8ELi4ELb0ELb0EEvPKcS1_S1_S1_S1_PKiPfP15HIP_vector_typeIfLj2EEffffjfiS5_IjLj3EEiiiiiiiiiiiliiliiiiil
    .private_segment_fixed_size: 16
    .sgpr_count:     36
    .sgpr_spill_count: 0
    .symbol:         _ZL18flash_attn_ext_f16ILi512ELi512ELi8ELi4ELb0ELb0EEvPKcS1_S1_S1_S1_PKiPfP15HIP_vector_typeIfLj2EEffffjfiS5_IjLj3EEiiiiiiiiiiiliiliiiiil.kd
    .uniform_work_group_size: 1
    .uses_dynamic_stack: false
    .vgpr_count:     37
    .vgpr_spill_count: 0
    .wavefront_size: 32
    .workgroup_processor_mode: 1
  - .args:
      - .address_space:  global
        .offset:         0
        .size:           8
        .value_kind:     global_buffer
      - .address_space:  global
        .offset:         8
        .size:           8
        .value_kind:     global_buffer
      - .address_space:  global
        .offset:         16
        .size:           8
        .value_kind:     global_buffer
      - .address_space:  global
        .offset:         24
        .size:           8
        .value_kind:     global_buffer
      - .address_space:  global
        .offset:         32
        .size:           8
        .value_kind:     global_buffer
      - .address_space:  global
        .offset:         40
        .size:           8
        .value_kind:     global_buffer
      - .address_space:  global
        .offset:         48
        .size:           8
        .value_kind:     global_buffer
      - .address_space:  global
        .offset:         56
        .size:           8
        .value_kind:     global_buffer
      - .offset:         64
        .size:           4
        .value_kind:     by_value
      - .offset:         68
        .size:           4
        .value_kind:     by_value
      - .offset:         72
        .size:           4
        .value_kind:     by_value
      - .offset:         76
        .size:           4
        .value_kind:     by_value
      - .offset:         80
        .size:           4
        .value_kind:     by_value
      - .offset:         84
        .size:           4
        .value_kind:     by_value
      - .offset:         88
        .size:           4
        .value_kind:     by_value
      - .offset:         92
        .size:           12
        .value_kind:     by_value
      - .offset:         104
        .size:           4
        .value_kind:     by_value
      - .offset:         108
        .size:           4
        .value_kind:     by_value
      - .offset:         112
        .size:           4
        .value_kind:     by_value
      - .offset:         116
        .size:           4
        .value_kind:     by_value
      - .offset:         120
        .size:           4
        .value_kind:     by_value
      - .offset:         124
        .size:           4
        .value_kind:     by_value
      - .offset:         128
        .size:           4
        .value_kind:     by_value
      - .offset:         132
        .size:           4
        .value_kind:     by_value
      - .offset:         136
        .size:           4
        .value_kind:     by_value
      - .offset:         140
        .size:           4
        .value_kind:     by_value
      - .offset:         144
        .size:           4
        .value_kind:     by_value
      - .offset:         152
        .size:           8
        .value_kind:     by_value
      - .offset:         160
        .size:           4
        .value_kind:     by_value
      - .offset:         164
        .size:           4
        .value_kind:     by_value
      - .offset:         168
        .size:           8
        .value_kind:     by_value
      - .offset:         176
        .size:           4
        .value_kind:     by_value
      - .offset:         180
        .size:           4
        .value_kind:     by_value
      - .offset:         184
        .size:           4
        .value_kind:     by_value
      - .offset:         188
        .size:           4
        .value_kind:     by_value
      - .offset:         192
        .size:           4
        .value_kind:     by_value
      - .offset:         200
        .size:           8
        .value_kind:     by_value
      - .offset:         208
        .size:           4
        .value_kind:     hidden_block_count_x
      - .offset:         212
        .size:           4
        .value_kind:     hidden_block_count_y
      - .offset:         216
        .size:           4
        .value_kind:     hidden_block_count_z
      - .offset:         220
        .size:           2
        .value_kind:     hidden_group_size_x
      - .offset:         222
        .size:           2
        .value_kind:     hidden_group_size_y
      - .offset:         224
        .size:           2
        .value_kind:     hidden_group_size_z
      - .offset:         226
        .size:           2
        .value_kind:     hidden_remainder_x
      - .offset:         228
        .size:           2
        .value_kind:     hidden_remainder_y
      - .offset:         230
        .size:           2
        .value_kind:     hidden_remainder_z
      - .offset:         248
        .size:           8
        .value_kind:     hidden_global_offset_x
      - .offset:         256
        .size:           8
        .value_kind:     hidden_global_offset_y
      - .offset:         264
        .size:           8
        .value_kind:     hidden_global_offset_z
      - .offset:         272
        .size:           2
        .value_kind:     hidden_grid_dims
      - .offset:         288
        .size:           8
        .value_kind:     hidden_hostcall_buffer
    .group_segment_fixed_size: 0
    .kernarg_segment_align: 8
    .kernarg_segment_size: 464
    .language:       OpenCL C
    .language_version:
      - 2
      - 0
    .max_flat_workgroup_size: 128
    .name:           _ZL18flash_attn_ext_f16ILi512ELi512ELi8ELi4ELb1ELb0EEvPKcS1_S1_S1_S1_PKiPfP15HIP_vector_typeIfLj2EEffffjfiS5_IjLj3EEiiiiiiiiiiiliiliiiiil
    .private_segment_fixed_size: 16
    .sgpr_count:     36
    .sgpr_spill_count: 0
    .symbol:         _ZL18flash_attn_ext_f16ILi512ELi512ELi8ELi4ELb1ELb0EEvPKcS1_S1_S1_S1_PKiPfP15HIP_vector_typeIfLj2EEffffjfiS5_IjLj3EEiiiiiiiiiiiliiliiiiil.kd
    .uniform_work_group_size: 1
    .uses_dynamic_stack: false
    .vgpr_count:     37
    .vgpr_spill_count: 0
    .wavefront_size: 32
    .workgroup_processor_mode: 1
  - .args:
      - .address_space:  global
        .offset:         0
        .size:           8
        .value_kind:     global_buffer
      - .address_space:  global
        .offset:         8
        .size:           8
        .value_kind:     global_buffer
      - .offset:         16
        .size:           4
        .value_kind:     by_value
      - .offset:         20
        .size:           4
        .value_kind:     by_value
      - .offset:         24
        .size:           4
        .value_kind:     by_value
      - .offset:         28
        .size:           4
        .value_kind:     by_value
      - .offset:         32
        .size:           4
        .value_kind:     by_value
      - .offset:         36
        .size:           4
        .value_kind:     by_value
      - .offset:         40
        .size:           12
        .value_kind:     by_value
      - .offset:         52
        .size:           12
        .value_kind:     by_value
      - .offset:         64
        .size:           12
        .value_kind:     by_value
    .group_segment_fixed_size: 0
    .kernarg_segment_align: 8
    .kernarg_segment_size: 76
    .language:       OpenCL C
    .language_version:
      - 2
      - 0
    .max_flat_workgroup_size: 512
    .name:           _ZL33flash_attn_stream_k_fixup_uniformILi512ELi8ELi4EEvPfPK15HIP_vector_typeIfLj2EEiiiiiiS1_IjLj3EES5_S5_
    .private_segment_fixed_size: 0
    .sgpr_count:     22
    .sgpr_spill_count: 0
    .symbol:         _ZL33flash_attn_stream_k_fixup_uniformILi512ELi8ELi4EEvPfPK15HIP_vector_typeIfLj2EEiiiiiiS1_IjLj3EES5_S5_.kd
    .uniform_work_group_size: 1
    .uses_dynamic_stack: false
    .vgpr_count:     15
    .vgpr_spill_count: 0
    .wavefront_size: 32
    .workgroup_processor_mode: 1
  - .args:
      - .address_space:  global
        .offset:         0
        .size:           8
        .value_kind:     global_buffer
      - .address_space:  global
        .offset:         8
        .size:           8
        .value_kind:     global_buffer
      - .offset:         16
        .size:           4
        .value_kind:     by_value
      - .offset:         20
        .size:           4
        .value_kind:     by_value
      - .offset:         24
        .size:           4
        .value_kind:     by_value
      - .offset:         28
        .size:           4
        .value_kind:     by_value
      - .offset:         32
        .size:           12
        .value_kind:     by_value
      - .offset:         44
        .size:           12
        .value_kind:     by_value
      - .offset:         56
        .size:           12
        .value_kind:     by_value
      - .offset:         68
        .size:           12
        .value_kind:     by_value
      - .offset:         80
        .size:           4
        .value_kind:     hidden_block_count_x
      - .offset:         84
        .size:           4
        .value_kind:     hidden_block_count_y
      - .offset:         88
        .size:           4
        .value_kind:     hidden_block_count_z
      - .offset:         92
        .size:           2
        .value_kind:     hidden_group_size_x
      - .offset:         94
        .size:           2
        .value_kind:     hidden_group_size_y
      - .offset:         96
        .size:           2
        .value_kind:     hidden_group_size_z
      - .offset:         98
        .size:           2
        .value_kind:     hidden_remainder_x
      - .offset:         100
        .size:           2
        .value_kind:     hidden_remainder_y
      - .offset:         102
        .size:           2
        .value_kind:     hidden_remainder_z
      - .offset:         120
        .size:           8
        .value_kind:     hidden_global_offset_x
      - .offset:         128
        .size:           8
        .value_kind:     hidden_global_offset_y
      - .offset:         136
        .size:           8
        .value_kind:     hidden_global_offset_z
      - .offset:         144
        .size:           2
        .value_kind:     hidden_grid_dims
    .group_segment_fixed_size: 0
    .kernarg_segment_align: 8
    .kernarg_segment_size: 336
    .language:       OpenCL C
    .language_version:
      - 2
      - 0
    .max_flat_workgroup_size: 512
    .name:           _ZL33flash_attn_stream_k_fixup_generalILi512ELi8ELi4EEvPfPK15HIP_vector_typeIfLj2EEiiiiS1_IjLj3EES5_S5_S5_
    .private_segment_fixed_size: 0
    .sgpr_count:     34
    .sgpr_spill_count: 0
    .symbol:         _ZL33flash_attn_stream_k_fixup_generalILi512ELi8ELi4EEvPfPK15HIP_vector_typeIfLj2EEiiiiS1_IjLj3EES5_S5_S5_.kd
    .uniform_work_group_size: 1
    .uses_dynamic_stack: false
    .vgpr_count:     19
    .vgpr_spill_count: 0
    .wavefront_size: 32
    .workgroup_processor_mode: 1
  - .args:
      - .address_space:  global
        .offset:         0
        .size:           8
        .value_kind:     global_buffer
      - .address_space:  global
        .offset:         8
        .size:           8
        .value_kind:     global_buffer
      - .address_space:  global
        .offset:         16
        .size:           8
        .value_kind:     global_buffer
      - .offset:         24
        .size:           4
        .value_kind:     by_value
      - .offset:         32
        .size:           4
        .value_kind:     hidden_block_count_x
      - .offset:         36
        .size:           4
        .value_kind:     hidden_block_count_y
      - .offset:         40
        .size:           4
        .value_kind:     hidden_block_count_z
      - .offset:         44
        .size:           2
        .value_kind:     hidden_group_size_x
      - .offset:         46
        .size:           2
        .value_kind:     hidden_group_size_y
      - .offset:         48
        .size:           2
        .value_kind:     hidden_group_size_z
      - .offset:         50
        .size:           2
        .value_kind:     hidden_remainder_x
      - .offset:         52
        .size:           2
        .value_kind:     hidden_remainder_y
      - .offset:         54
        .size:           2
        .value_kind:     hidden_remainder_z
      - .offset:         72
        .size:           8
        .value_kind:     hidden_global_offset_x
      - .offset:         80
        .size:           8
        .value_kind:     hidden_global_offset_y
      - .offset:         88
        .size:           8
        .value_kind:     hidden_global_offset_z
      - .offset:         96
        .size:           2
        .value_kind:     hidden_grid_dims
      - .offset:         152
        .size:           4
        .value_kind:     hidden_dynamic_lds_size
    .group_segment_fixed_size: 0
    .kernarg_segment_align: 8
    .kernarg_segment_size: 288
    .language:       OpenCL C
    .language_version:
      - 2
      - 0
    .max_flat_workgroup_size: 512
    .name:           _ZL26flash_attn_combine_resultsILi512EEvPKfPK15HIP_vector_typeIfLj2EEPfi
    .private_segment_fixed_size: 0
    .sgpr_count:     18
    .sgpr_spill_count: 0
    .symbol:         _ZL26flash_attn_combine_resultsILi512EEvPKfPK15HIP_vector_typeIfLj2EEPfi.kd
    .uniform_work_group_size: 1
    .uses_dynamic_stack: false
    .vgpr_count:     55
    .vgpr_spill_count: 0
    .wavefront_size: 32
    .workgroup_processor_mode: 1
  - .args:
      - .address_space:  global
        .offset:         0
        .size:           8
        .value_kind:     global_buffer
      - .address_space:  global
        .offset:         8
        .size:           8
        .value_kind:     global_buffer
      - .address_space:  global
        .offset:         16
        .size:           8
        .value_kind:     global_buffer
      - .address_space:  global
        .offset:         24
        .size:           8
        .value_kind:     global_buffer
      - .address_space:  global
        .offset:         32
        .size:           8
        .value_kind:     global_buffer
      - .address_space:  global
        .offset:         40
        .size:           8
        .value_kind:     global_buffer
      - .address_space:  global
        .offset:         48
        .size:           8
        .value_kind:     global_buffer
      - .address_space:  global
        .offset:         56
        .size:           8
        .value_kind:     global_buffer
      - .offset:         64
        .size:           4
        .value_kind:     by_value
      - .offset:         68
        .size:           4
        .value_kind:     by_value
      - .offset:         72
        .size:           4
        .value_kind:     by_value
      - .offset:         76
        .size:           4
        .value_kind:     by_value
      - .offset:         80
        .size:           4
        .value_kind:     by_value
      - .offset:         84
        .size:           4
        .value_kind:     by_value
      - .offset:         88
        .size:           4
        .value_kind:     by_value
      - .offset:         92
        .size:           12
        .value_kind:     by_value
      - .offset:         104
        .size:           4
        .value_kind:     by_value
      - .offset:         108
        .size:           4
        .value_kind:     by_value
      - .offset:         112
        .size:           4
        .value_kind:     by_value
      - .offset:         116
        .size:           4
        .value_kind:     by_value
      - .offset:         120
        .size:           4
        .value_kind:     by_value
      - .offset:         124
        .size:           4
        .value_kind:     by_value
      - .offset:         128
        .size:           4
        .value_kind:     by_value
      - .offset:         132
        .size:           4
        .value_kind:     by_value
      - .offset:         136
        .size:           4
        .value_kind:     by_value
      - .offset:         140
        .size:           4
        .value_kind:     by_value
      - .offset:         144
        .size:           4
        .value_kind:     by_value
      - .offset:         152
        .size:           8
        .value_kind:     by_value
      - .offset:         160
        .size:           4
        .value_kind:     by_value
      - .offset:         164
        .size:           4
        .value_kind:     by_value
      - .offset:         168
        .size:           8
        .value_kind:     by_value
      - .offset:         176
        .size:           4
        .value_kind:     by_value
      - .offset:         180
        .size:           4
        .value_kind:     by_value
      - .offset:         184
        .size:           4
        .value_kind:     by_value
      - .offset:         188
        .size:           4
        .value_kind:     by_value
      - .offset:         192
        .size:           4
        .value_kind:     by_value
      - .offset:         200
        .size:           8
        .value_kind:     by_value
      - .offset:         208
        .size:           4
        .value_kind:     hidden_block_count_x
      - .offset:         212
        .size:           4
        .value_kind:     hidden_block_count_y
      - .offset:         216
        .size:           4
        .value_kind:     hidden_block_count_z
      - .offset:         220
        .size:           2
        .value_kind:     hidden_group_size_x
      - .offset:         222
        .size:           2
        .value_kind:     hidden_group_size_y
      - .offset:         224
        .size:           2
        .value_kind:     hidden_group_size_z
      - .offset:         226
        .size:           2
        .value_kind:     hidden_remainder_x
      - .offset:         228
        .size:           2
        .value_kind:     hidden_remainder_y
      - .offset:         230
        .size:           2
        .value_kind:     hidden_remainder_z
      - .offset:         248
        .size:           8
        .value_kind:     hidden_global_offset_x
      - .offset:         256
        .size:           8
        .value_kind:     hidden_global_offset_y
      - .offset:         264
        .size:           8
        .value_kind:     hidden_global_offset_z
      - .offset:         272
        .size:           2
        .value_kind:     hidden_grid_dims
      - .offset:         288
        .size:           8
        .value_kind:     hidden_hostcall_buffer
    .group_segment_fixed_size: 0
    .kernarg_segment_align: 8
    .kernarg_segment_size: 464
    .language:       OpenCL C
    .language_version:
      - 2
      - 0
    .max_flat_workgroup_size: 128
    .name:           _ZL18flash_attn_ext_f16ILi576ELi512ELi8ELi4ELb0ELb1EEvPKcS1_S1_S1_S1_PKiPfP15HIP_vector_typeIfLj2EEffffjfiS5_IjLj3EEiiiiiiiiiiiliiliiiiil
    .private_segment_fixed_size: 16
    .sgpr_count:     36
    .sgpr_spill_count: 0
    .symbol:         _ZL18flash_attn_ext_f16ILi576ELi512ELi8ELi4ELb0ELb1EEvPKcS1_S1_S1_S1_PKiPfP15HIP_vector_typeIfLj2EEffffjfiS5_IjLj3EEiiiiiiiiiiiliiliiiiil.kd
    .uniform_work_group_size: 1
    .uses_dynamic_stack: false
    .vgpr_count:     37
    .vgpr_spill_count: 0
    .wavefront_size: 32
    .workgroup_processor_mode: 1
  - .args:
      - .address_space:  global
        .offset:         0
        .size:           8
        .value_kind:     global_buffer
      - .address_space:  global
        .offset:         8
        .size:           8
        .value_kind:     global_buffer
      - .address_space:  global
        .offset:         16
        .size:           8
        .value_kind:     global_buffer
      - .address_space:  global
        .offset:         24
        .size:           8
        .value_kind:     global_buffer
      - .address_space:  global
        .offset:         32
        .size:           8
        .value_kind:     global_buffer
      - .address_space:  global
        .offset:         40
        .size:           8
        .value_kind:     global_buffer
      - .address_space:  global
        .offset:         48
        .size:           8
        .value_kind:     global_buffer
      - .address_space:  global
        .offset:         56
        .size:           8
        .value_kind:     global_buffer
      - .offset:         64
        .size:           4
        .value_kind:     by_value
      - .offset:         68
        .size:           4
        .value_kind:     by_value
      - .offset:         72
        .size:           4
        .value_kind:     by_value
      - .offset:         76
        .size:           4
        .value_kind:     by_value
      - .offset:         80
        .size:           4
        .value_kind:     by_value
      - .offset:         84
        .size:           4
        .value_kind:     by_value
      - .offset:         88
        .size:           4
        .value_kind:     by_value
      - .offset:         92
        .size:           12
        .value_kind:     by_value
      - .offset:         104
        .size:           4
        .value_kind:     by_value
      - .offset:         108
        .size:           4
        .value_kind:     by_value
      - .offset:         112
        .size:           4
        .value_kind:     by_value
      - .offset:         116
        .size:           4
        .value_kind:     by_value
      - .offset:         120
        .size:           4
        .value_kind:     by_value
      - .offset:         124
        .size:           4
        .value_kind:     by_value
      - .offset:         128
        .size:           4
        .value_kind:     by_value
      - .offset:         132
        .size:           4
        .value_kind:     by_value
      - .offset:         136
        .size:           4
        .value_kind:     by_value
      - .offset:         140
        .size:           4
        .value_kind:     by_value
      - .offset:         144
        .size:           4
        .value_kind:     by_value
      - .offset:         152
        .size:           8
        .value_kind:     by_value
      - .offset:         160
        .size:           4
        .value_kind:     by_value
      - .offset:         164
        .size:           4
        .value_kind:     by_value
      - .offset:         168
        .size:           8
        .value_kind:     by_value
      - .offset:         176
        .size:           4
        .value_kind:     by_value
      - .offset:         180
        .size:           4
        .value_kind:     by_value
      - .offset:         184
        .size:           4
        .value_kind:     by_value
      - .offset:         188
        .size:           4
        .value_kind:     by_value
      - .offset:         192
        .size:           4
        .value_kind:     by_value
      - .offset:         200
        .size:           8
        .value_kind:     by_value
      - .offset:         208
        .size:           4
        .value_kind:     hidden_block_count_x
      - .offset:         212
        .size:           4
        .value_kind:     hidden_block_count_y
      - .offset:         216
        .size:           4
        .value_kind:     hidden_block_count_z
      - .offset:         220
        .size:           2
        .value_kind:     hidden_group_size_x
      - .offset:         222
        .size:           2
        .value_kind:     hidden_group_size_y
      - .offset:         224
        .size:           2
        .value_kind:     hidden_group_size_z
      - .offset:         226
        .size:           2
        .value_kind:     hidden_remainder_x
      - .offset:         228
        .size:           2
        .value_kind:     hidden_remainder_y
      - .offset:         230
        .size:           2
        .value_kind:     hidden_remainder_z
      - .offset:         248
        .size:           8
        .value_kind:     hidden_global_offset_x
      - .offset:         256
        .size:           8
        .value_kind:     hidden_global_offset_y
      - .offset:         264
        .size:           8
        .value_kind:     hidden_global_offset_z
      - .offset:         272
        .size:           2
        .value_kind:     hidden_grid_dims
      - .offset:         288
        .size:           8
        .value_kind:     hidden_hostcall_buffer
    .group_segment_fixed_size: 0
    .kernarg_segment_align: 8
    .kernarg_segment_size: 464
    .language:       OpenCL C
    .language_version:
      - 2
      - 0
    .max_flat_workgroup_size: 128
    .name:           _ZL18flash_attn_ext_f16ILi576ELi512ELi8ELi4ELb1ELb1EEvPKcS1_S1_S1_S1_PKiPfP15HIP_vector_typeIfLj2EEffffjfiS5_IjLj3EEiiiiiiiiiiiliiliiiiil
    .private_segment_fixed_size: 16
    .sgpr_count:     36
    .sgpr_spill_count: 0
    .symbol:         _ZL18flash_attn_ext_f16ILi576ELi512ELi8ELi4ELb1ELb1EEvPKcS1_S1_S1_S1_PKiPfP15HIP_vector_typeIfLj2EEffffjfiS5_IjLj3EEiiiiiiiiiiiliiliiiiil.kd
    .uniform_work_group_size: 1
    .uses_dynamic_stack: false
    .vgpr_count:     37
    .vgpr_spill_count: 0
    .wavefront_size: 32
    .workgroup_processor_mode: 1
amdhsa.target:   amdgcn-amd-amdhsa--gfx1100
amdhsa.version:
  - 1
  - 2
...

	.end_amdgpu_metadata
